;; amdgpu-corpus repo=ROCm/rocSPARSE kind=compiled arch=gfx950 opt=O3
	.amdgcn_target "amdgcn-amd-amdhsa--gfx950"
	.amdhsa_code_object_version 6
	.section	.text._ZN9rocsparseL22csrmvn_adaptive_kernelIiiffffEEvbT_PKS1_PjPKT0_NS_24const_host_device_scalarIT4_EES3_S7_PKT1_PKT2_SA_PT3_21rocsparse_index_base_b,"axG",@progbits,_ZN9rocsparseL22csrmvn_adaptive_kernelIiiffffEEvbT_PKS1_PjPKT0_NS_24const_host_device_scalarIT4_EES3_S7_PKT1_PKT2_SA_PT3_21rocsparse_index_base_b,comdat
	.globl	_ZN9rocsparseL22csrmvn_adaptive_kernelIiiffffEEvbT_PKS1_PjPKT0_NS_24const_host_device_scalarIT4_EES3_S7_PKT1_PKT2_SA_PT3_21rocsparse_index_base_b ; -- Begin function _ZN9rocsparseL22csrmvn_adaptive_kernelIiiffffEEvbT_PKS1_PjPKT0_NS_24const_host_device_scalarIT4_EES3_S7_PKT1_PKT2_SA_PT3_21rocsparse_index_base_b
	.p2align	8
	.type	_ZN9rocsparseL22csrmvn_adaptive_kernelIiiffffEEvbT_PKS1_PjPKT0_NS_24const_host_device_scalarIT4_EES3_S7_PKT1_PKT2_SA_PT3_21rocsparse_index_base_b,@function
_ZN9rocsparseL22csrmvn_adaptive_kernelIiiffffEEvbT_PKS1_PjPKT0_NS_24const_host_device_scalarIT4_EES3_S7_PKT1_PKT2_SA_PT3_21rocsparse_index_base_b: ; @_ZN9rocsparseL22csrmvn_adaptive_kernelIiiffffEEvbT_PKS1_PjPKT0_NS_24const_host_device_scalarIT4_EES3_S7_PKT1_PKT2_SA_PT3_21rocsparse_index_base_b
; %bb.0:
	s_load_dwordx2 s[42:43], s[0:1], 0x58
	s_load_dwordx2 s[40:41], s[0:1], 0x20
	;; [unrolled: 1-line block ×3, first 2 shown]
	s_waitcnt lgkmcnt(0)
	s_bitcmp1_b32 s43, 0
	s_cselect_b64 s[6:7], -1, 0
	s_xor_b64 s[4:5], s[6:7], -1
	s_and_b64 vcc, exec, s[6:7]
	s_cbranch_vccnz .LBB0_2
; %bb.1:
	s_load_dword s40, s[40:41], 0x0
.LBB0_2:
	s_andn2_b64 vcc, exec, s[4:5]
	s_cbranch_vccnz .LBB0_4
; %bb.3:
	s_load_dword s22, s[22:23], 0x0
.LBB0_4:
	s_waitcnt lgkmcnt(0)
	v_cmp_neq_f32_e64 s[4:5], s40, 0
	v_cmp_neq_f32_e64 s[6:7], s22, 1.0
	s_or_b64 s[4:5], s[4:5], s[6:7]
	s_andn2_b64 vcc, exec, s[4:5]
	s_cbranch_vccnz .LBB0_121
; %bb.5:
	s_load_dwordx2 s[4:5], s[0:1], 0x8
	s_load_dwordx2 s[6:7], s[0:1], 0x18
	s_ashr_i32 s3, s2, 31
	s_lshl_b64 s[46:47], s[2:3], 2
	s_waitcnt lgkmcnt(0)
	s_add_u32 s4, s4, s46
	s_addc_u32 s5, s5, s47
	s_load_dwordx2 s[36:37], s[4:5], 0x0
	s_load_dwordx2 s[34:35], s[0:1], 0x50
	s_load_dwordx8 s[24:31], s[0:1], 0x28
	s_waitcnt lgkmcnt(0)
	s_sub_i32 s3, s37, s36
	s_add_u32 s6, s6, s46
	s_mov_b32 s4, s36
	s_addc_u32 s7, s7, s47
	s_ashr_i32 s5, s36, 31
	s_lshl_b64 s[44:45], s[4:5], 2
	s_add_u32 s38, s24, s44
	s_addc_u32 s39, s25, s45
	s_load_dword s23, s[6:7], 0x0
	s_load_dword s33, s[38:39], 0x0
	s_cmp_lt_i32 s3, 2
	s_mov_b64 s[4:5], -1
	s_cbranch_scc0 .LBB0_70
; %bb.6:
	s_cmp_lg_u32 s3, 1
	s_cselect_b64 s[4:5], -1, 0
	s_waitcnt lgkmcnt(0)
	s_cmp_lg_u32 s23, 0
	s_cselect_b64 s[6:7], -1, 0
	s_or_b64 s[4:5], s[4:5], s[6:7]
	s_mov_b64 s[18:19], -1
	s_and_b64 vcc, exec, s[4:5]
	v_cmp_gt_u32_e64 s[4:5], 64, v0
	v_cmp_gt_u32_e64 s[6:7], 32, v0
	;; [unrolled: 1-line block ×6, first 2 shown]
	v_cmp_eq_u32_e64 s[16:17], 0, v0
	s_cbranch_vccnz .LBB0_34
; %bb.7:
	v_cmp_neq_f32_e64 s[20:21], s22, 0
	s_movk_i32 s3, 0x80
	v_subrev_u32_e32 v1, s42, v0
	v_cndmask_b32_e64 v2, 0, 1, s[20:21]
	v_lshlrev_b32_e32 v8, 2, v0
	v_cmp_gt_u32_e64 s[18:19], s3, v0
	s_mov_b64 s[48:49], 0x400
	v_mov_b32_e32 v9, 0
	v_cmp_ne_u32_e64 s[20:21], 1, v2
	s_mov_b32 s50, s36
	s_branch .LBB0_10
.LBB0_8:                                ;   in Loop: Header=BB0_10 Depth=1
	s_add_u32 s52, s34, s52
	s_addc_u32 s53, s35, s53
	s_waitcnt lgkmcnt(0)
	global_store_dword v9, v2, s[52:53]
.LBB0_9:                                ;   in Loop: Header=BB0_10 Depth=1
	s_or_b64 exec, exec, s[54:55]
	s_add_i32 s50, s50, 1
	s_cmp_ge_i32 s50, s37
	s_cbranch_scc1 .LBB0_33
.LBB0_10:                               ; =>This Loop Header: Depth=1
                                        ;     Child Loop BB0_12 Depth 2
	s_ashr_i32 s51, s50, 31
	s_lshl_b64 s[52:53], s[50:51], 2
	s_add_u32 s54, s24, s52
	s_addc_u32 s55, s25, s53
	s_load_dwordx2 s[56:57], s[54:55], 0x0
	v_mov_b32_e32 v3, 0
	s_waitcnt lgkmcnt(0)
	s_sub_i32 s3, s57, s42
	v_add_u32_e32 v2, s56, v1
	v_cmp_gt_i32_e32 vcc, s3, v2
	s_and_saveexec_b64 s[54:55], vcc
	s_cbranch_execz .LBB0_14
; %bb.11:                               ;   in Loop: Header=BB0_10 Depth=1
	v_ashrrev_i32_e32 v3, 31, v2
	v_lshlrev_b64 v[6:7], 2, v[2:3]
	v_lshl_add_u64 v[4:5], s[28:29], 0, v[6:7]
	v_lshl_add_u64 v[6:7], s[26:27], 0, v[6:7]
	v_mov_b32_e32 v3, 0
	s_mov_b64 s[56:57], 0
.LBB0_12:                               ;   Parent Loop BB0_10 Depth=1
                                        ; =>  This Inner Loop Header: Depth=2
	global_load_dword v10, v[6:7], off
	global_load_dword v12, v[4:5], off
	v_add_u32_e32 v2, 0x100, v2
	v_cmp_le_i32_e32 vcc, s3, v2
	v_lshl_add_u64 v[4:5], v[4:5], 0, s[48:49]
	v_lshl_add_u64 v[6:7], v[6:7], 0, s[48:49]
	s_or_b64 s[56:57], vcc, s[56:57]
	s_waitcnt vmcnt(1)
	v_subrev_u32_e32 v10, s42, v10
	v_ashrrev_i32_e32 v11, 31, v10
	v_lshl_add_u64 v[10:11], v[10:11], 2, s[30:31]
	global_load_dword v10, v[10:11], off
	s_waitcnt vmcnt(1)
	v_mul_f32_e32 v11, s40, v12
	s_waitcnt vmcnt(0)
	v_fmac_f32_e32 v3, v11, v10
	s_andn2_b64 exec, exec, s[56:57]
	s_cbranch_execnz .LBB0_12
; %bb.13:                               ;   in Loop: Header=BB0_10 Depth=1
	s_or_b64 exec, exec, s[56:57]
.LBB0_14:                               ;   in Loop: Header=BB0_10 Depth=1
	s_or_b64 exec, exec, s[54:55]
	ds_write_b32 v8, v3
	s_waitcnt lgkmcnt(0)
	s_barrier
	s_and_saveexec_b64 s[54:55], s[18:19]
	s_cbranch_execz .LBB0_16
; %bb.15:                               ;   in Loop: Header=BB0_10 Depth=1
	ds_read2st64_b32 v[2:3], v8 offset1:2
	s_waitcnt lgkmcnt(0)
	v_add_f32_e32 v2, v2, v3
	ds_write_b32 v8, v2
.LBB0_16:                               ;   in Loop: Header=BB0_10 Depth=1
	s_or_b64 exec, exec, s[54:55]
	s_waitcnt lgkmcnt(0)
	s_barrier
	s_and_saveexec_b64 s[54:55], s[4:5]
	s_cbranch_execz .LBB0_18
; %bb.17:                               ;   in Loop: Header=BB0_10 Depth=1
	ds_read2st64_b32 v[2:3], v8 offset1:1
	s_waitcnt lgkmcnt(0)
	v_add_f32_e32 v2, v2, v3
	ds_write_b32 v8, v2
.LBB0_18:                               ;   in Loop: Header=BB0_10 Depth=1
	s_or_b64 exec, exec, s[54:55]
	s_waitcnt lgkmcnt(0)
	s_barrier
	s_and_saveexec_b64 s[54:55], s[6:7]
	s_cbranch_execz .LBB0_20
; %bb.19:                               ;   in Loop: Header=BB0_10 Depth=1
	ds_read2_b32 v[2:3], v8 offset1:32
	s_waitcnt lgkmcnt(0)
	v_add_f32_e32 v2, v2, v3
	ds_write_b32 v8, v2
.LBB0_20:                               ;   in Loop: Header=BB0_10 Depth=1
	s_or_b64 exec, exec, s[54:55]
	s_waitcnt lgkmcnt(0)
	s_barrier
	s_and_saveexec_b64 s[54:55], s[8:9]
	s_cbranch_execz .LBB0_22
; %bb.21:                               ;   in Loop: Header=BB0_10 Depth=1
	ds_read2_b32 v[2:3], v8 offset1:16
	s_waitcnt lgkmcnt(0)
	v_add_f32_e32 v2, v2, v3
	ds_write_b32 v8, v2
.LBB0_22:                               ;   in Loop: Header=BB0_10 Depth=1
	;; [unrolled: 11-line block ×5, first 2 shown]
	s_or_b64 exec, exec, s[54:55]
	s_waitcnt lgkmcnt(0)
	s_barrier
	s_and_saveexec_b64 s[54:55], s[16:17]
	s_cbranch_execz .LBB0_30
; %bb.29:                               ;   in Loop: Header=BB0_10 Depth=1
	ds_read_b64 v[2:3], v9
	s_waitcnt lgkmcnt(0)
	v_add_f32_e32 v2, v2, v3
	ds_write_b32 v9, v2
.LBB0_30:                               ;   in Loop: Header=BB0_10 Depth=1
	s_or_b64 exec, exec, s[54:55]
	s_waitcnt lgkmcnt(0)
	s_barrier
	s_and_saveexec_b64 s[54:55], s[16:17]
	s_cbranch_execz .LBB0_9
; %bb.31:                               ;   in Loop: Header=BB0_10 Depth=1
	ds_read_b32 v2, v9
	s_and_b64 vcc, exec, s[20:21]
	s_cbranch_vccnz .LBB0_8
; %bb.32:                               ;   in Loop: Header=BB0_10 Depth=1
	s_add_u32 s56, s34, s52
	s_addc_u32 s57, s35, s53
	global_load_dword v3, v9, s[56:57]
	s_waitcnt vmcnt(0) lgkmcnt(0)
	v_fmac_f32_e32 v2, s22, v3
	s_branch .LBB0_8
.LBB0_33:
	s_mov_b64 s[18:19], 0
.LBB0_34:
	s_and_b64 vcc, exec, s[18:19]
	s_cbranch_vccz .LBB0_69
; %bb.35:
	s_load_dwordx2 s[4:5], s[0:1], 0x10
	s_sub_i32 s6, s2, s23
	v_mov_b32_e32 v8, 0
	v_or_b32_e32 v2, s23, v0
	v_cmp_eq_u32_e32 vcc, 0, v2
	s_waitcnt lgkmcnt(0)
	s_add_u32 s2, s4, s46
	s_addc_u32 s3, s5, s47
	global_load_dword v1, v8, s[2:3]
	s_and_saveexec_b64 s[8:9], vcc
	s_cbranch_execz .LBB0_39
; %bb.36:
	s_add_u32 s12, s34, s44
	s_addc_u32 s13, s35, s45
	v_mov_b32_e32 v4, 0
	global_load_dword v2, v4, s[12:13]
	s_mov_b64 s[10:11], exec
	v_mbcnt_lo_u32_b32 v5, s10, 0
	v_mbcnt_hi_u32_b32 v5, s11, v5
	v_add_f32_e64 v3, s22, -1.0
	v_cmp_eq_u32_e32 vcc, 0, v5
	s_waitcnt vmcnt(0) expcnt(0) lgkmcnt(0)
	s_and_saveexec_b64 s[12:13], vcc
	s_cbranch_execz .LBB0_38
; %bb.37:
	s_ashr_i32 s7, s6, 31
	s_lshl_b64 s[14:15], s[6:7], 2
	s_add_u32 s14, s4, s14
	s_addc_u32 s15, s5, s15
	s_bcnt1_i32_b64 s7, s[10:11]
	s_and_b32 s7, s7, 1
	v_mov_b32_e32 v5, s7
	global_atomic_xor v4, v5, s[14:15]
.LBB0_38:
	s_or_b64 exec, exec, s[12:13]
	v_mul_f32_e32 v8, v3, v2
.LBB0_39:
	s_or_b64 exec, exec, s[8:9]
	s_load_dword s8, s[38:39], 0x4
	s_mul_i32 s7, s23, 0xc00
	s_sub_i32 s9, s33, s42
	s_add_i32 s7, s9, s7
	v_add_u32_e32 v2, s7, v0
	s_waitcnt lgkmcnt(0)
	s_sub_i32 s10, s8, s42
	v_cmp_gt_i32_e32 vcc, s10, v2
	s_and_saveexec_b64 s[8:9], vcc
	s_cbranch_execz .LBB0_43
; %bb.40:
	v_ashrrev_i32_e32 v3, 31, v2
	s_addk_i32 s7, 0xc00
	v_lshlrev_b64 v[6:7], 2, v[2:3]
	s_min_i32 s7, s7, s10
	v_lshl_add_u64 v[4:5], s[28:29], 0, v[6:7]
	v_lshl_add_u64 v[6:7], s[26:27], 0, v[6:7]
	s_mov_b64 s[10:11], 0
	s_mov_b64 s[12:13], 0x400
.LBB0_41:                               ; =>This Inner Loop Header: Depth=1
	global_load_dword v3, v[6:7], off
	global_load_dword v9, v[4:5], off
	v_add_u32_e32 v2, 0x100, v2
	v_cmp_le_i32_e32 vcc, s7, v2
	v_lshl_add_u64 v[4:5], v[4:5], 0, s[12:13]
	v_lshl_add_u64 v[6:7], v[6:7], 0, s[12:13]
	s_or_b64 s[10:11], vcc, s[10:11]
	s_waitcnt vmcnt(1)
	v_subrev_u32_e32 v10, s42, v3
	v_ashrrev_i32_e32 v11, 31, v10
	v_lshl_add_u64 v[10:11], v[10:11], 2, s[30:31]
	global_load_dword v3, v[10:11], off
	s_waitcnt vmcnt(1)
	v_mul_f32_e32 v9, s40, v9
	s_waitcnt vmcnt(0)
	v_fmac_f32_e32 v8, v9, v3
	s_andn2_b64 exec, exec, s[10:11]
	s_cbranch_execnz .LBB0_41
; %bb.42:
	s_or_b64 exec, exec, s[10:11]
.LBB0_43:
	s_or_b64 exec, exec, s[8:9]
	s_movk_i32 s7, 0x80
	v_lshlrev_b32_e32 v2, 2, v0
	v_cmp_gt_u32_e32 vcc, s7, v0
	ds_write_b32 v2, v8
	s_waitcnt lgkmcnt(0)
	s_barrier
	s_and_saveexec_b64 s[8:9], vcc
	s_cbranch_execz .LBB0_45
; %bb.44:
	ds_read2st64_b32 v[4:5], v2 offset1:2
	s_waitcnt lgkmcnt(0)
	v_add_f32_e32 v3, v4, v5
	ds_write_b32 v2, v3
.LBB0_45:
	s_or_b64 exec, exec, s[8:9]
	v_cmp_gt_u32_e32 vcc, 64, v0
	s_waitcnt lgkmcnt(0)
	s_barrier
	s_and_saveexec_b64 s[8:9], vcc
	s_cbranch_execz .LBB0_47
; %bb.46:
	ds_read2st64_b32 v[4:5], v2 offset1:1
	s_waitcnt lgkmcnt(0)
	v_add_f32_e32 v3, v4, v5
	ds_write_b32 v2, v3
.LBB0_47:
	s_or_b64 exec, exec, s[8:9]
	v_cmp_gt_u32_e32 vcc, 32, v0
	s_waitcnt lgkmcnt(0)
	s_barrier
	s_and_saveexec_b64 s[8:9], vcc
	s_cbranch_execz .LBB0_49
; %bb.48:
	ds_read2_b32 v[4:5], v2 offset1:32
	s_waitcnt lgkmcnt(0)
	v_add_f32_e32 v3, v4, v5
	ds_write_b32 v2, v3
.LBB0_49:
	s_or_b64 exec, exec, s[8:9]
	v_cmp_gt_u32_e32 vcc, 16, v0
	s_waitcnt lgkmcnt(0)
	s_barrier
	s_and_saveexec_b64 s[8:9], vcc
	s_cbranch_execz .LBB0_51
; %bb.50:
	ds_read2_b32 v[4:5], v2 offset1:16
	s_waitcnt lgkmcnt(0)
	v_add_f32_e32 v3, v4, v5
	ds_write_b32 v2, v3
.LBB0_51:
	;; [unrolled: 12-line block ×5, first 2 shown]
	s_or_b64 exec, exec, s[8:9]
	v_cmp_eq_u32_e32 vcc, 0, v0
	s_waitcnt lgkmcnt(0)
	s_barrier
	s_and_saveexec_b64 s[8:9], vcc
	s_cbranch_execz .LBB0_59
; %bb.58:
	v_mov_b32_e32 v4, 0
	ds_read_b64 v[2:3], v4
	s_waitcnt lgkmcnt(0)
	v_add_f32_e32 v2, v2, v3
	ds_write_b32 v4, v2
.LBB0_59:
	s_or_b64 exec, exec, s[8:9]
	s_waitcnt lgkmcnt(0)
	s_barrier
	s_and_saveexec_b64 s[8:9], vcc
	s_cbranch_execz .LBB0_68
; %bb.60:
	s_cmp_eq_u32 s23, 0
	s_cbranch_scc1 .LBB0_66
; %bb.61:
	s_ashr_i32 s7, s6, 31
	s_lshl_b64 s[6:7], s[6:7], 2
	s_add_u32 s4, s4, s6
	s_addc_u32 s5, s5, s7
	v_mov_b32_e32 v2, 0
	s_branch .LBB0_63
.LBB0_62:                               ;   in Loop: Header=BB0_63 Depth=1
	s_or_b64 exec, exec, s[6:7]
	s_waitcnt vmcnt(0)
	v_readfirstlane_b32 s6, v3
	s_nop 1
	v_cmp_eq_u32_e32 vcc, s6, v1
	s_cbranch_vccz .LBB0_65
.LBB0_63:                               ; =>This Inner Loop Header: Depth=1
	v_mbcnt_lo_u32_b32 v3, exec_lo, 0
	v_mbcnt_hi_u32_b32 v3, exec_hi, v3
	v_cmp_eq_u32_e32 vcc, 0, v3
                                        ; implicit-def: $vgpr3
	s_and_saveexec_b64 s[6:7], vcc
	s_cbranch_execz .LBB0_62
; %bb.64:                               ;   in Loop: Header=BB0_63 Depth=1
	global_load_dword v3, v2, s[4:5] sc1
	s_branch .LBB0_62
.LBB0_65:
	v_mov_b32_e32 v1, 0
	global_load_ushort v2, v1, s[2:3]
	s_waitcnt vmcnt(0)
	v_xor_b32_e32 v2, 1, v2
	global_store_short v1, v2, s[2:3]
.LBB0_66:
	s_mov_b64 s[2:3], exec
	s_waitcnt vmcnt(0)
	v_mbcnt_lo_u32_b32 v1, s2, 0
	v_mbcnt_hi_u32_b32 v1, s3, v1
	v_cmp_eq_u32_e32 vcc, 0, v1
	s_and_b64 s[4:5], exec, vcc
	s_mov_b64 exec, s[4:5]
	s_cbranch_execz .LBB0_68
; %bb.67:
	v_mov_b32_e32 v1, 0
	ds_read_b32 v2, v1
	s_add_u32 s4, s34, s44
	s_addc_u32 s5, s35, s45
	s_bcnt1_i32_b64 s2, s[2:3]
	v_cvt_f32_ubyte0_e32 v3, s2
	s_waitcnt lgkmcnt(0)
	v_mul_f32_e32 v2, v2, v3
	global_atomic_add_f32 v1, v2, s[4:5]
.LBB0_68:
	s_or_b64 exec, exec, s[8:9]
.LBB0_69:
	s_mov_b64 s[4:5], 0
.LBB0_70:
	s_andn2_b64 vcc, exec, s[4:5]
	s_cbranch_vccnz .LBB0_121
; %bb.71:
	s_load_dword s0, s[0:1], 0x4
	s_waitcnt vmcnt(0)
	v_subrev_u32_e32 v1, s42, v0
	s_waitcnt lgkmcnt(0)
	v_add_u32_e32 v2, s33, v1
	v_add_u32_e32 v1, 0x300, v2
	v_cmp_le_i32_e32 vcc, s0, v1
	s_and_saveexec_b64 s[0:1], vcc
	s_xor_b64 s[0:1], exec, s[0:1]
	s_cbranch_execz .LBB0_83
; %bb.72:
	s_ashr_i32 s3, s37, 31
	s_mov_b32 s2, s37
	s_lshl_b64 s[2:3], s[2:3], 2
	s_add_u32 s2, s24, s2
	s_addc_u32 s3, s25, s3
	s_load_dword s2, s[2:3], 0x0
	s_waitcnt lgkmcnt(0)
	s_sub_i32 s12, s2, s42
	v_cmp_gt_i32_e32 vcc, s12, v2
	s_and_saveexec_b64 s[2:3], vcc
	s_cbranch_execz .LBB0_82
; %bb.73:
	v_add_u32_e32 v1, s33, v0
	v_subrev_u32_e32 v1, s42, v1
	v_add_u32_e32 v1, 0x100, v1
	v_max_i32_e32 v1, s12, v1
	v_not_b32_e32 v3, v0
	v_add3_u32 v1, s42, v1, v3
	v_subrev_u32_e32 v3, s33, v1
	s_movk_i32 s4, 0x1100
	s_movk_i32 s6, 0x10ff
	v_cmp_gt_u32_e64 s[4:5], s4, v3
	v_cmp_lt_u32_e32 vcc, s6, v3
	v_mov_b32_e32 v1, 0
	s_and_saveexec_b64 s[6:7], vcc
	s_cbranch_execz .LBB0_79
; %bb.74:
	v_and_b32_e32 v1, 0xffffff00, v3
	v_add_u32_e32 v1, v2, v1
	v_cmp_ge_i32_e32 vcc, v1, v2
	s_mov_b64 s[10:11], -1
	v_mov_b32_e32 v1, 0
	s_and_saveexec_b64 s[8:9], vcc
	s_cbranch_execz .LBB0_78
; %bb.75:
	v_lshrrev_b32_e32 v1, 8, v3
	v_add_u32_e32 v3, 1, v1
	v_and_b32_e32 v4, 0x1fffffe, v3
	v_lshlrev_b32_e32 v5, 2, v0
	v_mov_b32_e32 v1, v2
	s_mov_b32 s41, s40
	s_mov_b32 s13, s42
	s_movk_i32 s14, 0x100
	s_mov_b32 s15, 0
	s_mov_b64 s[10:11], 0
	v_mov_b32_e32 v6, v4
.LBB0_76:                               ; =>This Inner Loop Header: Depth=1
	v_add_u32_e32 v8, s15, v2
	v_add_u32_e32 v10, s14, v1
	v_ashrrev_i32_e32 v9, 31, v8
	v_ashrrev_i32_e32 v11, 31, v10
	v_lshlrev_b64 v[8:9], 2, v[8:9]
	v_lshlrev_b64 v[10:11], 2, v[10:11]
	v_lshl_add_u64 v[12:13], s[26:27], 0, v[8:9]
	v_lshl_add_u64 v[14:15], s[26:27], 0, v[10:11]
	global_load_dword v7, v[12:13], off
	global_load_dword v16, v[14:15], off
	v_lshl_add_u64 v[8:9], s[28:29], 0, v[8:9]
	v_lshl_add_u64 v[10:11], s[28:29], 0, v[10:11]
	global_load_dword v12, v[8:9], off
	global_load_dword v13, v[10:11], off
	v_add_u32_e32 v6, -2, v6
	s_addk_i32 s15, 0x200
	s_addk_i32 s14, 0x200
	v_cmp_eq_u32_e32 vcc, 0, v6
	s_or_b64 s[10:11], vcc, s[10:11]
	s_waitcnt vmcnt(3)
	v_subrev_u32_e32 v8, s42, v7
	s_waitcnt vmcnt(2)
	v_subrev_u32_e32 v10, s13, v16
	v_ashrrev_i32_e32 v9, 31, v8
	v_ashrrev_i32_e32 v11, 31, v10
	v_lshl_add_u64 v[8:9], v[8:9], 2, s[30:31]
	v_lshl_add_u64 v[10:11], v[10:11], 2, s[30:31]
	global_load_dword v14, v[8:9], off
	global_load_dword v15, v[10:11], off
	s_waitcnt vmcnt(2)
	v_pk_mul_f32 v[8:9], s[40:41], v[12:13]
	s_waitcnt vmcnt(0)
	v_pk_mul_f32 v[8:9], v[8:9], v[14:15]
	ds_write2st64_b32 v5, v8, v9 offset1:4
	v_add_u32_e32 v5, 0x800, v5
	s_andn2_b64 exec, exec, s[10:11]
	s_cbranch_execnz .LBB0_76
; %bb.77:
	s_or_b64 exec, exec, s[10:11]
	v_cmp_ne_u32_e32 vcc, v3, v4
	v_lshlrev_b32_e32 v1, 8, v4
	s_orn2_b64 s[10:11], vcc, exec
.LBB0_78:
	s_or_b64 exec, exec, s[8:9]
	s_andn2_b64 s[4:5], s[4:5], exec
	s_and_b64 s[8:9], s[10:11], exec
	s_or_b64 s[4:5], s[4:5], s[8:9]
.LBB0_79:
	s_or_b64 exec, exec, s[6:7]
	s_and_b64 exec, exec, s[4:5]
	s_cbranch_execz .LBB0_82
; %bb.80:
	v_add3_u32 v2, v0, v1, s33
	v_lshlrev_b32_e32 v1, 2, v1
	v_subrev_u32_e32 v2, s42, v2
	v_lshl_add_u32 v1, v0, 2, v1
	s_mov_b64 s[4:5], 0
.LBB0_81:                               ; =>This Inner Loop Header: Depth=1
	v_ashrrev_i32_e32 v3, 31, v2
	v_lshlrev_b64 v[4:5], 2, v[2:3]
	v_lshl_add_u64 v[6:7], s[26:27], 0, v[4:5]
	global_load_dword v3, v[6:7], off
	v_lshl_add_u64 v[4:5], s[28:29], 0, v[4:5]
	global_load_dword v6, v[4:5], off
	v_add_u32_e32 v2, 0x100, v2
	v_cmp_le_i32_e32 vcc, s12, v2
	s_or_b64 s[4:5], vcc, s[4:5]
	s_waitcnt vmcnt(1)
	v_subrev_u32_e32 v4, s42, v3
	v_ashrrev_i32_e32 v5, 31, v4
	v_lshl_add_u64 v[4:5], v[4:5], 2, s[30:31]
	global_load_dword v3, v[4:5], off
	s_waitcnt vmcnt(1)
	v_mul_f32_e32 v4, s40, v6
	s_waitcnt vmcnt(0)
	v_mul_f32_e32 v3, v4, v3
	ds_write_b32 v1, v3
	v_add_u32_e32 v1, 0x400, v1
	s_andn2_b64 exec, exec, s[4:5]
	s_cbranch_execnz .LBB0_81
.LBB0_82:
	s_or_b64 exec, exec, s[2:3]
                                        ; implicit-def: $vgpr2
.LBB0_83:
	s_or_saveexec_b64 s[0:1], s[0:1]
	v_lshlrev_b32_e32 v1, 2, v0
	s_xor_b64 exec, exec, s[0:1]
	s_cbranch_execz .LBB0_85
; %bb.84:
	v_ashrrev_i32_e32 v3, 31, v2
	v_lshlrev_b64 v[2:3], 2, v[2:3]
	v_lshl_add_u64 v[4:5], s[26:27], 0, v[2:3]
	global_load_dword v6, v[4:5], off
	global_load_dword v7, v[4:5], off offset:1024
	global_load_dword v8, v[4:5], off offset:2048
	;; [unrolled: 1-line block ×3, first 2 shown]
	v_lshl_add_u64 v[2:3], s[28:29], 0, v[2:3]
	global_load_dword v10, v[2:3], off
	global_load_dword v11, v[2:3], off offset:1024
	global_load_dword v12, v[2:3], off offset:2048
	;; [unrolled: 1-line block ×3, first 2 shown]
	s_waitcnt vmcnt(7)
	v_subrev_u32_e32 v2, s42, v6
	s_waitcnt vmcnt(6)
	v_subrev_u32_e32 v4, s42, v7
	;; [unrolled: 2-line block ×4, first 2 shown]
	v_ashrrev_i32_e32 v3, 31, v2
	v_ashrrev_i32_e32 v5, 31, v4
	;; [unrolled: 1-line block ×4, first 2 shown]
	v_lshl_add_u64 v[2:3], v[2:3], 2, s[30:31]
	v_lshl_add_u64 v[4:5], v[4:5], 2, s[30:31]
	;; [unrolled: 1-line block ×4, first 2 shown]
	global_load_dword v14, v[2:3], off
	global_load_dword v15, v[4:5], off
	;; [unrolled: 1-line block ×4, first 2 shown]
	s_waitcnt vmcnt(7)
	v_mul_f32_e32 v2, s40, v10
	s_waitcnt vmcnt(6)
	v_mul_f32_e32 v3, s40, v11
	s_waitcnt vmcnt(5)
	v_mul_f32_e32 v4, s40, v12
	s_waitcnt vmcnt(4)
	v_mul_f32_e32 v5, s40, v13
	s_waitcnt vmcnt(3)
	v_mul_f32_e32 v2, v2, v14
	s_waitcnt vmcnt(2)
	v_mul_f32_e32 v3, v3, v15
	s_waitcnt vmcnt(1)
	v_mul_f32_e32 v4, v4, v16
	s_waitcnt vmcnt(0)
	v_mul_f32_e32 v5, v5, v17
	ds_write2st64_b32 v1, v2, v3 offset1:4
	ds_write2st64_b32 v1, v4, v5 offset0:8 offset1:12
.LBB0_85:
	s_or_b64 exec, exec, s[0:1]
	s_cmp_lt_i32 s23, 2
	s_mov_b64 s[0:1], -1
	s_waitcnt lgkmcnt(0)
	s_barrier
	s_cbranch_scc0 .LBB0_96
; %bb.86:
	v_add_u32_e32 v2, s36, v0
	v_cmp_gt_i32_e32 vcc, s37, v2
	s_and_saveexec_b64 s[0:1], vcc
	s_cbranch_execz .LBB0_95
; %bb.87:
	s_lshl_b32 s4, s33, 2
	v_cmp_neq_f32_e64 s[2:3], s22, 0
	s_sub_i32 s10, 0, s4
	s_mov_b64 s[4:5], 0
	s_branch .LBB0_89
.LBB0_88:                               ;   in Loop: Header=BB0_89 Depth=1
	v_add_u32_e32 v2, 0x100, v2
	v_cmp_le_i32_e32 vcc, s37, v2
	s_or_b64 s[4:5], vcc, s[4:5]
	global_store_dword v[4:5], v6, off
	s_andn2_b64 exec, exec, s[4:5]
	s_cbranch_execz .LBB0_95
.LBB0_89:                               ; =>This Loop Header: Depth=1
                                        ;     Child Loop BB0_91 Depth 2
	v_ashrrev_i32_e32 v3, 31, v2
	v_lshl_add_u64 v[4:5], v[2:3], 2, s[24:25]
	global_load_dwordx2 v[4:5], v[4:5], off
	v_mov_b32_e32 v6, 0
	s_waitcnt vmcnt(0)
	v_cmp_lt_i32_e32 vcc, v4, v5
	s_and_saveexec_b64 s[6:7], vcc
	s_cbranch_execz .LBB0_93
; %bb.90:                               ;   in Loop: Header=BB0_89 Depth=1
	v_subrev_u32_e32 v5, s33, v5
	v_subrev_u32_e32 v7, s33, v4
	v_lshl_add_u32 v4, v4, 2, s10
	v_mov_b32_e32 v6, 0
	s_mov_b64 s[8:9], 0
.LBB0_91:                               ;   Parent Loop BB0_89 Depth=1
                                        ; =>  This Inner Loop Header: Depth=2
	ds_read_b32 v8, v4
	v_add_u32_e32 v7, 1, v7
	v_cmp_ge_i32_e32 vcc, v7, v5
	v_add_u32_e32 v4, 4, v4
	s_or_b64 s[8:9], vcc, s[8:9]
	s_waitcnt lgkmcnt(0)
	v_add_f32_e32 v6, v6, v8
	s_andn2_b64 exec, exec, s[8:9]
	s_cbranch_execnz .LBB0_91
; %bb.92:                               ;   in Loop: Header=BB0_89 Depth=1
	s_or_b64 exec, exec, s[8:9]
.LBB0_93:                               ;   in Loop: Header=BB0_89 Depth=1
	s_or_b64 exec, exec, s[6:7]
	s_and_b64 vcc, exec, s[2:3]
	v_lshl_add_u64 v[4:5], v[2:3], 2, s[34:35]
	s_cbranch_vccz .LBB0_88
; %bb.94:                               ;   in Loop: Header=BB0_89 Depth=1
	global_load_dword v3, v[4:5], off
	s_waitcnt vmcnt(0)
	v_fmac_f32_e32 v6, s22, v3
	s_branch .LBB0_88
.LBB0_95:
	s_or_b64 exec, exec, s[0:1]
	s_mov_b64 s[0:1], 0
.LBB0_96:
	s_andn2_b64 vcc, exec, s[0:1]
	s_cbranch_vccnz .LBB0_121
; %bb.97:
	s_flbit_i32_b32 s0, s23
	s_xor_b32 s0, s0, 31
	v_lshrrev_b32_e32 v4, s0, v0
	v_add_u32_e32 v2, s36, v4
	s_add_i32 s0, s23, -1
	v_and_b32_e32 v0, s0, v0
	v_cmp_le_i32_e32 vcc, s37, v2
	v_cmp_gt_i32_e64 s[0:1], s37, v2
	v_mov_b32_e32 v3, 0
	s_and_saveexec_b64 s[2:3], s[0:1]
	s_cbranch_execz .LBB0_103
; %bb.98:
	v_lshlrev_b32_e32 v3, 2, v4
	global_load_dwordx2 v[6:7], v3, s[38:39]
	v_subrev_u32_e32 v3, s33, v0
	s_waitcnt vmcnt(0)
	v_subrev_u32_e32 v4, s33, v7
	v_add_u32_e32 v5, v6, v3
	v_cmp_lt_i32_e64 s[0:1], v5, v4
	v_mov_b32_e32 v3, 0
	s_and_saveexec_b64 s[4:5], s[0:1]
	s_cbranch_execz .LBB0_102
; %bb.99:
	v_lshlrev_b32_e32 v6, 2, v5
	s_lshl_b32 s8, s23, 2
	v_mov_b32_e32 v3, 0
	s_mov_b64 s[6:7], 0
.LBB0_100:                              ; =>This Inner Loop Header: Depth=1
	ds_read_b32 v7, v6
	v_add_u32_e32 v5, s23, v5
	v_cmp_ge_i32_e64 s[0:1], v5, v4
	v_add_u32_e32 v6, s8, v6
	s_or_b64 s[6:7], s[0:1], s[6:7]
	s_waitcnt lgkmcnt(0)
	v_add_f32_e32 v3, v3, v7
	s_andn2_b64 exec, exec, s[6:7]
	s_cbranch_execnz .LBB0_100
; %bb.101:
	s_or_b64 exec, exec, s[6:7]
.LBB0_102:
	s_or_b64 exec, exec, s[4:5]
.LBB0_103:
	s_or_b64 exec, exec, s[2:3]
	s_cmpk_lt_u32 s23, 0x81
	s_barrier
	ds_write_b32 v1, v3
	s_waitcnt lgkmcnt(0)
	s_barrier
	s_cbranch_scc1 .LBB0_105
; %bb.104:
	ds_read_b32 v4, v1 offset:512
	s_waitcnt lgkmcnt(0)
	s_barrier
	v_add_f32_e32 v3, v3, v4
	ds_write_b32 v1, v3
.LBB0_105:
	s_cmpk_lt_u32 s23, 0x41
	s_waitcnt lgkmcnt(0)
	s_barrier
	s_cbranch_scc1 .LBB0_107
; %bb.106:
	ds_read_b32 v4, v1 offset:256
	s_waitcnt lgkmcnt(0)
	s_barrier
	v_add_f32_e32 v3, v3, v4
	ds_write_b32 v1, v3
.LBB0_107:
	s_cmp_lt_u32 s23, 33
	s_waitcnt lgkmcnt(0)
	s_barrier
	s_cbranch_scc1 .LBB0_109
; %bb.108:
	ds_read_b32 v4, v1 offset:128
	s_waitcnt lgkmcnt(0)
	s_barrier
	v_add_f32_e32 v3, v3, v4
	ds_write_b32 v1, v3
.LBB0_109:
	s_cmp_lt_u32 s23, 17
	;; [unrolled: 11-line block ×4, first 2 shown]
	s_waitcnt lgkmcnt(0)
	s_barrier
	s_cbranch_scc1 .LBB0_115
; %bb.114:
	ds_read_b32 v4, v1 offset:16
	s_waitcnt lgkmcnt(0)
	s_barrier
	v_add_f32_e32 v3, v3, v4
	ds_write_b32 v1, v3
.LBB0_115:
	s_cmp_eq_u32 s23, 2
	s_waitcnt lgkmcnt(0)
	s_barrier
	s_cbranch_scc1 .LBB0_117
; %bb.116:
	ds_read_b32 v4, v1 offset:8
	s_waitcnt lgkmcnt(0)
	s_barrier
	v_add_f32_e32 v3, v3, v4
	ds_write_b32 v1, v3
.LBB0_117:
	s_waitcnt lgkmcnt(0)
	s_barrier
	ds_read_b32 v4, v1 offset:4
	v_cmp_eq_u32_e64 s[0:1], 0, v0
	s_xor_b64 s[2:3], vcc, -1
	s_and_b64 s[0:1], s[0:1], s[2:3]
	s_waitcnt lgkmcnt(0)
	v_add_f32_e32 v4, v3, v4
	s_barrier
	ds_write_b32 v1, v4
	s_and_saveexec_b64 s[2:3], s[0:1]
	s_cbranch_execz .LBB0_121
; %bb.118:
	v_ashrrev_i32_e32 v3, 31, v2
	v_cmp_eq_f32_e64 s[0:1], s22, 0
	s_and_b64 vcc, exec, s[0:1]
	v_lshl_add_u64 v[0:1], v[2:3], 2, s[34:35]
	s_cbranch_vccnz .LBB0_120
; %bb.119:
	global_load_dword v2, v[0:1], off
	s_waitcnt vmcnt(0)
	v_fmac_f32_e32 v4, s22, v2
.LBB0_120:
	global_store_dword v[0:1], v4, off
.LBB0_121:
	s_endpgm
	.section	.rodata,"a",@progbits
	.p2align	6, 0x0
	.amdhsa_kernel _ZN9rocsparseL22csrmvn_adaptive_kernelIiiffffEEvbT_PKS1_PjPKT0_NS_24const_host_device_scalarIT4_EES3_S7_PKT1_PKT2_SA_PT3_21rocsparse_index_base_b
		.amdhsa_group_segment_fixed_size 4096
		.amdhsa_private_segment_fixed_size 0
		.amdhsa_kernarg_size 96
		.amdhsa_user_sgpr_count 2
		.amdhsa_user_sgpr_dispatch_ptr 0
		.amdhsa_user_sgpr_queue_ptr 0
		.amdhsa_user_sgpr_kernarg_segment_ptr 1
		.amdhsa_user_sgpr_dispatch_id 0
		.amdhsa_user_sgpr_kernarg_preload_length 0
		.amdhsa_user_sgpr_kernarg_preload_offset 0
		.amdhsa_user_sgpr_private_segment_size 0
		.amdhsa_uses_dynamic_stack 0
		.amdhsa_enable_private_segment 0
		.amdhsa_system_sgpr_workgroup_id_x 1
		.amdhsa_system_sgpr_workgroup_id_y 0
		.amdhsa_system_sgpr_workgroup_id_z 0
		.amdhsa_system_sgpr_workgroup_info 0
		.amdhsa_system_vgpr_workitem_id 0
		.amdhsa_next_free_vgpr 18
		.amdhsa_next_free_sgpr 58
		.amdhsa_accum_offset 20
		.amdhsa_reserve_vcc 1
		.amdhsa_float_round_mode_32 0
		.amdhsa_float_round_mode_16_64 0
		.amdhsa_float_denorm_mode_32 3
		.amdhsa_float_denorm_mode_16_64 3
		.amdhsa_dx10_clamp 1
		.amdhsa_ieee_mode 1
		.amdhsa_fp16_overflow 0
		.amdhsa_tg_split 0
		.amdhsa_exception_fp_ieee_invalid_op 0
		.amdhsa_exception_fp_denorm_src 0
		.amdhsa_exception_fp_ieee_div_zero 0
		.amdhsa_exception_fp_ieee_overflow 0
		.amdhsa_exception_fp_ieee_underflow 0
		.amdhsa_exception_fp_ieee_inexact 0
		.amdhsa_exception_int_div_zero 0
	.end_amdhsa_kernel
	.section	.text._ZN9rocsparseL22csrmvn_adaptive_kernelIiiffffEEvbT_PKS1_PjPKT0_NS_24const_host_device_scalarIT4_EES3_S7_PKT1_PKT2_SA_PT3_21rocsparse_index_base_b,"axG",@progbits,_ZN9rocsparseL22csrmvn_adaptive_kernelIiiffffEEvbT_PKS1_PjPKT0_NS_24const_host_device_scalarIT4_EES3_S7_PKT1_PKT2_SA_PT3_21rocsparse_index_base_b,comdat
.Lfunc_end0:
	.size	_ZN9rocsparseL22csrmvn_adaptive_kernelIiiffffEEvbT_PKS1_PjPKT0_NS_24const_host_device_scalarIT4_EES3_S7_PKT1_PKT2_SA_PT3_21rocsparse_index_base_b, .Lfunc_end0-_ZN9rocsparseL22csrmvn_adaptive_kernelIiiffffEEvbT_PKS1_PjPKT0_NS_24const_host_device_scalarIT4_EES3_S7_PKT1_PKT2_SA_PT3_21rocsparse_index_base_b
                                        ; -- End function
	.set _ZN9rocsparseL22csrmvn_adaptive_kernelIiiffffEEvbT_PKS1_PjPKT0_NS_24const_host_device_scalarIT4_EES3_S7_PKT1_PKT2_SA_PT3_21rocsparse_index_base_b.num_vgpr, 18
	.set _ZN9rocsparseL22csrmvn_adaptive_kernelIiiffffEEvbT_PKS1_PjPKT0_NS_24const_host_device_scalarIT4_EES3_S7_PKT1_PKT2_SA_PT3_21rocsparse_index_base_b.num_agpr, 0
	.set _ZN9rocsparseL22csrmvn_adaptive_kernelIiiffffEEvbT_PKS1_PjPKT0_NS_24const_host_device_scalarIT4_EES3_S7_PKT1_PKT2_SA_PT3_21rocsparse_index_base_b.numbered_sgpr, 58
	.set _ZN9rocsparseL22csrmvn_adaptive_kernelIiiffffEEvbT_PKS1_PjPKT0_NS_24const_host_device_scalarIT4_EES3_S7_PKT1_PKT2_SA_PT3_21rocsparse_index_base_b.num_named_barrier, 0
	.set _ZN9rocsparseL22csrmvn_adaptive_kernelIiiffffEEvbT_PKS1_PjPKT0_NS_24const_host_device_scalarIT4_EES3_S7_PKT1_PKT2_SA_PT3_21rocsparse_index_base_b.private_seg_size, 0
	.set _ZN9rocsparseL22csrmvn_adaptive_kernelIiiffffEEvbT_PKS1_PjPKT0_NS_24const_host_device_scalarIT4_EES3_S7_PKT1_PKT2_SA_PT3_21rocsparse_index_base_b.uses_vcc, 1
	.set _ZN9rocsparseL22csrmvn_adaptive_kernelIiiffffEEvbT_PKS1_PjPKT0_NS_24const_host_device_scalarIT4_EES3_S7_PKT1_PKT2_SA_PT3_21rocsparse_index_base_b.uses_flat_scratch, 0
	.set _ZN9rocsparseL22csrmvn_adaptive_kernelIiiffffEEvbT_PKS1_PjPKT0_NS_24const_host_device_scalarIT4_EES3_S7_PKT1_PKT2_SA_PT3_21rocsparse_index_base_b.has_dyn_sized_stack, 0
	.set _ZN9rocsparseL22csrmvn_adaptive_kernelIiiffffEEvbT_PKS1_PjPKT0_NS_24const_host_device_scalarIT4_EES3_S7_PKT1_PKT2_SA_PT3_21rocsparse_index_base_b.has_recursion, 0
	.set _ZN9rocsparseL22csrmvn_adaptive_kernelIiiffffEEvbT_PKS1_PjPKT0_NS_24const_host_device_scalarIT4_EES3_S7_PKT1_PKT2_SA_PT3_21rocsparse_index_base_b.has_indirect_call, 0
	.section	.AMDGPU.csdata,"",@progbits
; Kernel info:
; codeLenInByte = 3892
; TotalNumSgprs: 64
; NumVgprs: 18
; NumAgprs: 0
; TotalNumVgprs: 18
; ScratchSize: 0
; MemoryBound: 0
; FloatMode: 240
; IeeeMode: 1
; LDSByteSize: 4096 bytes/workgroup (compile time only)
; SGPRBlocks: 7
; VGPRBlocks: 2
; NumSGPRsForWavesPerEU: 64
; NumVGPRsForWavesPerEU: 18
; AccumOffset: 20
; Occupancy: 8
; WaveLimiterHint : 1
; COMPUTE_PGM_RSRC2:SCRATCH_EN: 0
; COMPUTE_PGM_RSRC2:USER_SGPR: 2
; COMPUTE_PGM_RSRC2:TRAP_HANDLER: 0
; COMPUTE_PGM_RSRC2:TGID_X_EN: 1
; COMPUTE_PGM_RSRC2:TGID_Y_EN: 0
; COMPUTE_PGM_RSRC2:TGID_Z_EN: 0
; COMPUTE_PGM_RSRC2:TIDIG_COMP_CNT: 0
; COMPUTE_PGM_RSRC3_GFX90A:ACCUM_OFFSET: 4
; COMPUTE_PGM_RSRC3_GFX90A:TG_SPLIT: 0
	.section	.text._ZN9rocsparseL22partial_scale_y_kernelIiffEEvT_S1_S1_NS_24const_host_device_scalarIT1_EEPT0_b,"axG",@progbits,_ZN9rocsparseL22partial_scale_y_kernelIiffEEvT_S1_S1_NS_24const_host_device_scalarIT1_EEPT0_b,comdat
	.globl	_ZN9rocsparseL22partial_scale_y_kernelIiffEEvT_S1_S1_NS_24const_host_device_scalarIT1_EEPT0_b ; -- Begin function _ZN9rocsparseL22partial_scale_y_kernelIiffEEvT_S1_S1_NS_24const_host_device_scalarIT1_EEPT0_b
	.p2align	8
	.type	_ZN9rocsparseL22partial_scale_y_kernelIiffEEvT_S1_S1_NS_24const_host_device_scalarIT1_EEPT0_b,@function
_ZN9rocsparseL22partial_scale_y_kernelIiffEEvT_S1_S1_NS_24const_host_device_scalarIT1_EEPT0_b: ; @_ZN9rocsparseL22partial_scale_y_kernelIiffEEvT_S1_S1_NS_24const_host_device_scalarIT1_EEPT0_b
; %bb.0:
	s_load_dword s3, s[0:1], 0x20
	s_load_dwordx2 s[8:9], s[0:1], 0x10
	s_waitcnt lgkmcnt(0)
	s_bitcmp1_b32 s3, 0
	s_cselect_b64 s[4:5], -1, 0
	s_and_b64 vcc, exec, s[4:5]
	s_cbranch_vccnz .LBB1_2
; %bb.1:
	s_load_dword s8, s[8:9], 0x0
.LBB1_2:
	s_waitcnt lgkmcnt(0)
	v_cmp_eq_f32_e64 s[4:5], s8, 1.0
	s_and_b64 vcc, exec, s[4:5]
	s_cbranch_vccnz .LBB1_12
; %bb.3:
	s_load_dwordx4 s[4:7], s[0:1], 0x0
	v_lshl_or_b32 v0, s2, 8, v0
	s_waitcnt lgkmcnt(0)
	s_add_i32 s2, s5, s4
	s_sub_i32 s2, s2, s6
	v_cmp_gt_i32_e32 vcc, s2, v0
	s_and_saveexec_b64 s[2:3], vcc
	s_cbranch_execz .LBB1_12
; %bb.4:
	s_load_dwordx2 s[0:1], s[0:1], 0x18
	v_cmp_le_i32_e32 vcc, s5, v0
	v_cmp_neq_f32_e64 s[2:3], s8, 0
	s_and_saveexec_b64 s[10:11], vcc
	s_xor_b64 s[10:11], exec, s[10:11]
	s_cbranch_execz .LBB1_8
; %bb.5:
	v_subrev_u32_e32 v0, s5, v0
	v_add_u32_e32 v0, s6, v0
	v_ashrrev_i32_e32 v1, 31, v0
	s_waitcnt lgkmcnt(0)
	v_lshl_add_u64 v[2:3], v[0:1], 2, s[0:1]
	s_and_b64 vcc, exec, s[2:3]
	s_cbranch_vccz .LBB1_13
; %bb.6:
	global_load_dword v0, v[2:3], off
	s_waitcnt vmcnt(0)
	v_mul_f32_e32 v0, s8, v0
	global_store_dword v[2:3], v0, off
                                        ; implicit-def: $vgpr0
	s_cbranch_execnz .LBB1_8
.LBB1_7:
	v_mov_b32_e32 v0, 0
	global_store_dword v[2:3], v0, off
                                        ; implicit-def: $vgpr0
.LBB1_8:
	s_andn2_saveexec_b64 s[4:5], s[10:11]
	s_cbranch_execz .LBB1_12
; %bb.9:
	v_ashrrev_i32_e32 v1, 31, v0
	s_waitcnt lgkmcnt(0)
	v_lshl_add_u64 v[0:1], v[0:1], 2, s[0:1]
	s_and_b64 vcc, exec, s[2:3]
	s_cbranch_vccz .LBB1_14
; %bb.10:
	global_load_dword v2, v[0:1], off
	s_waitcnt vmcnt(0)
	v_mul_f32_e32 v2, s8, v2
	global_store_dword v[0:1], v2, off
	s_cbranch_execnz .LBB1_12
.LBB1_11:
	v_mov_b32_e32 v2, 0
	global_store_dword v[0:1], v2, off
.LBB1_12:
	s_endpgm
.LBB1_13:
                                        ; implicit-def: $vgpr0
	s_branch .LBB1_7
.LBB1_14:
	s_branch .LBB1_11
	.section	.rodata,"a",@progbits
	.p2align	6, 0x0
	.amdhsa_kernel _ZN9rocsparseL22partial_scale_y_kernelIiffEEvT_S1_S1_NS_24const_host_device_scalarIT1_EEPT0_b
		.amdhsa_group_segment_fixed_size 0
		.amdhsa_private_segment_fixed_size 0
		.amdhsa_kernarg_size 36
		.amdhsa_user_sgpr_count 2
		.amdhsa_user_sgpr_dispatch_ptr 0
		.amdhsa_user_sgpr_queue_ptr 0
		.amdhsa_user_sgpr_kernarg_segment_ptr 1
		.amdhsa_user_sgpr_dispatch_id 0
		.amdhsa_user_sgpr_kernarg_preload_length 0
		.amdhsa_user_sgpr_kernarg_preload_offset 0
		.amdhsa_user_sgpr_private_segment_size 0
		.amdhsa_uses_dynamic_stack 0
		.amdhsa_enable_private_segment 0
		.amdhsa_system_sgpr_workgroup_id_x 1
		.amdhsa_system_sgpr_workgroup_id_y 0
		.amdhsa_system_sgpr_workgroup_id_z 0
		.amdhsa_system_sgpr_workgroup_info 0
		.amdhsa_system_vgpr_workitem_id 0
		.amdhsa_next_free_vgpr 4
		.amdhsa_next_free_sgpr 12
		.amdhsa_accum_offset 4
		.amdhsa_reserve_vcc 1
		.amdhsa_float_round_mode_32 0
		.amdhsa_float_round_mode_16_64 0
		.amdhsa_float_denorm_mode_32 3
		.amdhsa_float_denorm_mode_16_64 3
		.amdhsa_dx10_clamp 1
		.amdhsa_ieee_mode 1
		.amdhsa_fp16_overflow 0
		.amdhsa_tg_split 0
		.amdhsa_exception_fp_ieee_invalid_op 0
		.amdhsa_exception_fp_denorm_src 0
		.amdhsa_exception_fp_ieee_div_zero 0
		.amdhsa_exception_fp_ieee_overflow 0
		.amdhsa_exception_fp_ieee_underflow 0
		.amdhsa_exception_fp_ieee_inexact 0
		.amdhsa_exception_int_div_zero 0
	.end_amdhsa_kernel
	.section	.text._ZN9rocsparseL22partial_scale_y_kernelIiffEEvT_S1_S1_NS_24const_host_device_scalarIT1_EEPT0_b,"axG",@progbits,_ZN9rocsparseL22partial_scale_y_kernelIiffEEvT_S1_S1_NS_24const_host_device_scalarIT1_EEPT0_b,comdat
.Lfunc_end1:
	.size	_ZN9rocsparseL22partial_scale_y_kernelIiffEEvT_S1_S1_NS_24const_host_device_scalarIT1_EEPT0_b, .Lfunc_end1-_ZN9rocsparseL22partial_scale_y_kernelIiffEEvT_S1_S1_NS_24const_host_device_scalarIT1_EEPT0_b
                                        ; -- End function
	.set _ZN9rocsparseL22partial_scale_y_kernelIiffEEvT_S1_S1_NS_24const_host_device_scalarIT1_EEPT0_b.num_vgpr, 4
	.set _ZN9rocsparseL22partial_scale_y_kernelIiffEEvT_S1_S1_NS_24const_host_device_scalarIT1_EEPT0_b.num_agpr, 0
	.set _ZN9rocsparseL22partial_scale_y_kernelIiffEEvT_S1_S1_NS_24const_host_device_scalarIT1_EEPT0_b.numbered_sgpr, 12
	.set _ZN9rocsparseL22partial_scale_y_kernelIiffEEvT_S1_S1_NS_24const_host_device_scalarIT1_EEPT0_b.num_named_barrier, 0
	.set _ZN9rocsparseL22partial_scale_y_kernelIiffEEvT_S1_S1_NS_24const_host_device_scalarIT1_EEPT0_b.private_seg_size, 0
	.set _ZN9rocsparseL22partial_scale_y_kernelIiffEEvT_S1_S1_NS_24const_host_device_scalarIT1_EEPT0_b.uses_vcc, 1
	.set _ZN9rocsparseL22partial_scale_y_kernelIiffEEvT_S1_S1_NS_24const_host_device_scalarIT1_EEPT0_b.uses_flat_scratch, 0
	.set _ZN9rocsparseL22partial_scale_y_kernelIiffEEvT_S1_S1_NS_24const_host_device_scalarIT1_EEPT0_b.has_dyn_sized_stack, 0
	.set _ZN9rocsparseL22partial_scale_y_kernelIiffEEvT_S1_S1_NS_24const_host_device_scalarIT1_EEPT0_b.has_recursion, 0
	.set _ZN9rocsparseL22partial_scale_y_kernelIiffEEvT_S1_S1_NS_24const_host_device_scalarIT1_EEPT0_b.has_indirect_call, 0
	.section	.AMDGPU.csdata,"",@progbits
; Kernel info:
; codeLenInByte = 292
; TotalNumSgprs: 18
; NumVgprs: 4
; NumAgprs: 0
; TotalNumVgprs: 4
; ScratchSize: 0
; MemoryBound: 0
; FloatMode: 240
; IeeeMode: 1
; LDSByteSize: 0 bytes/workgroup (compile time only)
; SGPRBlocks: 2
; VGPRBlocks: 0
; NumSGPRsForWavesPerEU: 18
; NumVGPRsForWavesPerEU: 4
; AccumOffset: 4
; Occupancy: 8
; WaveLimiterHint : 0
; COMPUTE_PGM_RSRC2:SCRATCH_EN: 0
; COMPUTE_PGM_RSRC2:USER_SGPR: 2
; COMPUTE_PGM_RSRC2:TRAP_HANDLER: 0
; COMPUTE_PGM_RSRC2:TGID_X_EN: 1
; COMPUTE_PGM_RSRC2:TGID_Y_EN: 0
; COMPUTE_PGM_RSRC2:TGID_Z_EN: 0
; COMPUTE_PGM_RSRC2:TIDIG_COMP_CNT: 0
; COMPUTE_PGM_RSRC3_GFX90A:ACCUM_OFFSET: 0
; COMPUTE_PGM_RSRC3_GFX90A:TG_SPLIT: 0
	.section	.text._ZN9rocsparseL27csrmvn_symm_adaptive_kernelIiiffffEEvbT_S1_PKS1_NS_24const_host_device_scalarIT4_EES3_PKT0_PKT1_PKT2_S6_PT3_21rocsparse_index_base_b,"axG",@progbits,_ZN9rocsparseL27csrmvn_symm_adaptive_kernelIiiffffEEvbT_S1_PKS1_NS_24const_host_device_scalarIT4_EES3_PKT0_PKT1_PKT2_S6_PT3_21rocsparse_index_base_b,comdat
	.globl	_ZN9rocsparseL27csrmvn_symm_adaptive_kernelIiiffffEEvbT_S1_PKS1_NS_24const_host_device_scalarIT4_EES3_PKT0_PKT1_PKT2_S6_PT3_21rocsparse_index_base_b ; -- Begin function _ZN9rocsparseL27csrmvn_symm_adaptive_kernelIiiffffEEvbT_S1_PKS1_NS_24const_host_device_scalarIT4_EES3_PKT0_PKT1_PKT2_S6_PT3_21rocsparse_index_base_b
	.p2align	8
	.type	_ZN9rocsparseL27csrmvn_symm_adaptive_kernelIiiffffEEvbT_S1_PKS1_NS_24const_host_device_scalarIT4_EES3_PKT0_PKT1_PKT2_S6_PT3_21rocsparse_index_base_b,@function
_ZN9rocsparseL27csrmvn_symm_adaptive_kernelIiiffffEEvbT_S1_PKS1_NS_24const_host_device_scalarIT4_EES3_PKT0_PKT1_PKT2_S6_PT3_21rocsparse_index_base_b: ; @_ZN9rocsparseL27csrmvn_symm_adaptive_kernelIiiffffEEvbT_S1_PKS1_NS_24const_host_device_scalarIT4_EES3_PKT0_PKT1_PKT2_S6_PT3_21rocsparse_index_base_b
; %bb.0:
	s_load_dwordx2 s[22:23], s[0:1], 0x50
	s_load_dwordx2 s[24:25], s[0:1], 0x18
	;; [unrolled: 1-line block ×3, first 2 shown]
	s_waitcnt lgkmcnt(0)
	s_bitcmp1_b32 s23, 0
	s_cselect_b64 s[8:9], -1, 0
	s_xor_b64 s[6:7], s[8:9], -1
	s_and_b64 vcc, exec, s[8:9]
	s_cbranch_vccnz .LBB2_2
; %bb.1:
	s_load_dword s24, s[24:25], 0x0
.LBB2_2:
	s_andn2_b64 vcc, exec, s[6:7]
	s_cbranch_vccnz .LBB2_4
; %bb.3:
	s_load_dword s4, s[4:5], 0x0
.LBB2_4:
	s_waitcnt lgkmcnt(0)
	v_cmp_neq_f32_e64 s[6:7], s24, 0
	v_cmp_neq_f32_e64 s[4:5], s4, 1.0
	s_or_b64 s[4:5], s[6:7], s[4:5]
	s_andn2_b64 vcc, exec, s[4:5]
	s_cbranch_vccnz .LBB2_148
; %bb.5:
	s_load_dwordx2 s[4:5], s[0:1], 0x10
	s_ashr_i32 s3, s2, 31
	s_lshl_b64 s[2:3], s[2:3], 2
	v_lshlrev_b32_e32 v10, 2, v0
	v_mov_b32_e32 v1, 0
	s_waitcnt lgkmcnt(0)
	s_add_u32 s2, s4, s2
	s_addc_u32 s3, s5, s3
	ds_write2st64_b32 v10, v1, v1 offset1:4
	ds_write2st64_b32 v10, v1, v1 offset0:8 offset1:12
	s_waitcnt lgkmcnt(0)
	s_barrier
	s_load_dwordx2 s[20:21], s[2:3], 0x0
	s_load_dwordx8 s[12:19], s[0:1], 0x20
	s_load_dwordx2 s[10:11], s[0:1], 0x48
	s_mov_b64 s[2:3], -1
	v_subrev_u32_e32 v1, s22, v0
	s_waitcnt lgkmcnt(0)
	s_sub_i32 s23, s21, s20
	s_cmp_gt_i32 s23, 2
	s_cbranch_scc1 .LBB2_34
; %bb.6:
	s_cmp_le_i32 s21, s20
	s_cbranch_scc1 .LBB2_24
; %bb.7:
	v_cmp_gt_u32_e32 vcc, 64, v0
	v_cmp_gt_u32_e64 s[2:3], 16, v0
	v_cmp_gt_u32_e64 s[4:5], 4, v0
	v_cmp_eq_u32_e64 s[6:7], 0, v0
	s_mov_b64 s[26:27], 0x400
	v_mov_b32_e32 v8, 0
	s_mov_b32 s28, s20
	s_branch .LBB2_9
.LBB2_8:                                ;   in Loop: Header=BB2_9 Depth=1
	s_or_b64 exec, exec, s[34:35]
	s_add_i32 s28, s28, 1
	s_cmp_ge_i32 s28, s21
	s_cbranch_scc1 .LBB2_24
.LBB2_9:                                ; =>This Loop Header: Depth=1
                                        ;     Child Loop BB2_11 Depth 2
	s_ashr_i32 s29, s28, 31
	s_lshl_b64 s[30:31], s[28:29], 2
	s_add_u32 s8, s12, s30
	s_addc_u32 s9, s13, s31
	s_load_dwordx2 s[34:35], s[8:9], 0x0
	v_mov_b32_e32 v3, 0
	s_waitcnt lgkmcnt(0)
	v_add_u32_e32 v2, s34, v1
	s_sub_i32 s25, s35, s22
	v_cmp_gt_i32_e64 s[8:9], s25, v2
	s_and_saveexec_b64 s[34:35], s[8:9]
	s_cbranch_execz .LBB2_13
; %bb.10:                               ;   in Loop: Header=BB2_9 Depth=1
	v_ashrrev_i32_e32 v3, 31, v2
	v_lshlrev_b64 v[6:7], 2, v[2:3]
	v_lshl_add_u64 v[4:5], s[14:15], 0, v[6:7]
	v_lshl_add_u64 v[6:7], s[16:17], 0, v[6:7]
	v_mov_b32_e32 v3, 0
	s_mov_b64 s[36:37], 0
.LBB2_11:                               ;   Parent Loop BB2_9 Depth=1
                                        ; =>  This Inner Loop Header: Depth=2
	global_load_dword v9, v[4:5], off
	global_load_dword v11, v[6:7], off
	v_add_u32_e32 v2, 0x100, v2
	v_cmp_le_i32_e64 s[8:9], s25, v2
	v_lshl_add_u64 v[4:5], v[4:5], 0, s[26:27]
	v_lshl_add_u64 v[6:7], v[6:7], 0, s[26:27]
	s_or_b64 s[36:37], s[8:9], s[36:37]
	s_waitcnt vmcnt(1)
	v_subrev_u32_e32 v12, s22, v9
	v_ashrrev_i32_e32 v13, 31, v12
	v_lshl_add_u64 v[12:13], v[12:13], 2, s[18:19]
	global_load_dword v9, v[12:13], off
	s_waitcnt vmcnt(0)
	v_fmac_f32_e32 v3, v11, v9
	s_andn2_b64 exec, exec, s[36:37]
	s_cbranch_execnz .LBB2_11
; %bb.12:                               ;   in Loop: Header=BB2_9 Depth=1
	s_or_b64 exec, exec, s[36:37]
.LBB2_13:                               ;   in Loop: Header=BB2_9 Depth=1
	s_or_b64 exec, exec, s[34:35]
	ds_write_b32 v10, v3
	s_waitcnt lgkmcnt(0)
	s_barrier
	ds_read2st64_b32 v[2:3], v10 offset1:4
	ds_read2st64_b32 v[4:5], v10 offset0:8 offset1:12
	s_waitcnt lgkmcnt(0)
	v_add_f32_e32 v3, v3, v4
	v_add_f32_e32 v3, v3, v5
	v_add_f32_e32 v2, v2, v3
	ds_write_b32 v10, v2
	s_waitcnt lgkmcnt(0)
	s_barrier
	s_and_saveexec_b64 s[8:9], vcc
	s_cbranch_execz .LBB2_15
; %bb.14:                               ;   in Loop: Header=BB2_9 Depth=1
	ds_read2st64_b32 v[2:3], v10 offset1:1
	ds_read2st64_b32 v[4:5], v10 offset0:2 offset1:3
	s_waitcnt lgkmcnt(0)
	v_add_f32_e32 v3, v3, v4
	v_add_f32_e32 v3, v3, v5
	;; [unrolled: 1-line block ×3, first 2 shown]
	ds_write_b32 v10, v2
.LBB2_15:                               ;   in Loop: Header=BB2_9 Depth=1
	s_or_b64 exec, exec, s[8:9]
	s_waitcnt lgkmcnt(0)
	s_barrier
	s_and_saveexec_b64 s[8:9], s[2:3]
	s_cbranch_execz .LBB2_17
; %bb.16:                               ;   in Loop: Header=BB2_9 Depth=1
	ds_read2_b32 v[2:3], v10 offset1:16
	ds_read2_b32 v[4:5], v10 offset0:32 offset1:48
	s_waitcnt lgkmcnt(0)
	v_add_f32_e32 v3, v3, v4
	v_add_f32_e32 v3, v3, v5
	;; [unrolled: 1-line block ×3, first 2 shown]
	ds_write_b32 v10, v2
.LBB2_17:                               ;   in Loop: Header=BB2_9 Depth=1
	s_or_b64 exec, exec, s[8:9]
	s_waitcnt lgkmcnt(0)
	s_barrier
	s_and_saveexec_b64 s[8:9], s[4:5]
	s_cbranch_execz .LBB2_19
; %bb.18:                               ;   in Loop: Header=BB2_9 Depth=1
	ds_read2_b32 v[2:3], v10 offset1:4
	ds_read2_b32 v[4:5], v10 offset0:8 offset1:12
	s_waitcnt lgkmcnt(0)
	v_add_f32_e32 v3, v3, v4
	v_add_f32_e32 v3, v3, v5
	;; [unrolled: 1-line block ×3, first 2 shown]
	ds_write_b32 v10, v2
.LBB2_19:                               ;   in Loop: Header=BB2_9 Depth=1
	s_or_b64 exec, exec, s[8:9]
	s_waitcnt lgkmcnt(0)
	s_barrier
	s_and_saveexec_b64 s[8:9], s[6:7]
	s_cbranch_execz .LBB2_21
; %bb.20:                               ;   in Loop: Header=BB2_9 Depth=1
	ds_read2_b32 v[2:3], v8 offset0:1 offset1:2
	ds_read_b32 v4, v8 offset:12
	ds_read_b32 v5, v10
	s_waitcnt lgkmcnt(2)
	v_add_f32_e32 v2, v2, v3
	s_waitcnt lgkmcnt(1)
	v_add_f32_e32 v2, v2, v4
	;; [unrolled: 2-line block ×3, first 2 shown]
	ds_write_b32 v10, v2
.LBB2_21:                               ;   in Loop: Header=BB2_9 Depth=1
	s_or_b64 exec, exec, s[8:9]
	s_waitcnt lgkmcnt(0)
	s_barrier
	s_and_saveexec_b64 s[34:35], s[6:7]
	s_cbranch_execz .LBB2_8
; %bb.22:                               ;   in Loop: Header=BB2_9 Depth=1
	s_mov_b64 s[36:37], exec
	v_mbcnt_lo_u32_b32 v2, s36, 0
	v_mbcnt_hi_u32_b32 v2, s37, v2
	v_cmp_eq_u32_e64 s[8:9], 0, v2
	s_and_b64 s[8:9], exec, s[8:9]
	s_mov_b64 exec, s[8:9]
	s_cbranch_execz .LBB2_8
; %bb.23:                               ;   in Loop: Header=BB2_9 Depth=1
	ds_read_b32 v2, v8
	s_add_u32 s8, s10, s30
	s_addc_u32 s9, s11, s31
	s_bcnt1_i32_b64 s25, s[36:37]
	v_cvt_f32_ubyte0_e32 v3, s25
	s_waitcnt lgkmcnt(0)
	v_mul_f32_e32 v2, s24, v2
	v_mul_f32_e32 v2, v2, v3
	global_atomic_add_f32 v8, v2, s[8:9]
	s_branch .LBB2_8
.LBB2_24:
	s_ashr_i32 s3, s20, 31
	s_mov_b32 s2, s20
	s_lshl_b64 s[2:3], s[2:3], 2
	s_add_u32 s2, s12, s2
	s_addc_u32 s3, s13, s3
	s_ashr_i32 s5, s21, 31
	s_mov_b32 s4, s21
	s_lshl_b64 s[4:5], s[4:5], 2
	s_add_u32 s4, s12, s4
	s_addc_u32 s5, s13, s5
	s_load_dword s6, s[4:5], 0x0
	s_load_dword s7, s[2:3], 0x0
	s_waitcnt lgkmcnt(0)
	s_sub_i32 s25, s6, s22
	v_add_u32_e32 v2, s7, v1
	v_cmp_gt_i32_e32 vcc, s25, v2
	s_and_saveexec_b64 s[6:7], vcc
	s_cbranch_execz .LBB2_33
; %bb.25:
	s_add_i32 s28, s21, -1
	s_cmp_lt_i32 s20, s28
	s_cselect_b64 s[2:3], -1, 0
	s_add_i32 s4, s21, -2
	s_cmp_lg_u32 s20, s4
	s_cselect_b64 s[4:5], -1, 0
	s_and_b64 s[2:3], s[2:3], s[4:5]
	v_cndmask_b32_e64 v3, 0, 1, s[2:3]
	s_mov_b64 s[8:9], 0
	v_cmp_ne_u32_e64 s[2:3], 1, v3
	s_branch .LBB2_27
.LBB2_26:                               ;   in Loop: Header=BB2_27 Depth=1
	s_or_b64 exec, exec, s[4:5]
	v_add_u32_e32 v2, 0x100, v2
	v_cmp_le_i32_e32 vcc, s25, v2
	s_or_b64 s[8:9], vcc, s[8:9]
	s_andn2_b64 exec, exec, s[8:9]
	s_cbranch_execz .LBB2_33
.LBB2_27:                               ; =>This Loop Header: Depth=1
                                        ;     Child Loop BB2_29 Depth 2
	s_and_b64 vcc, exec, s[2:3]
	v_mov_b32_e32 v6, s20
	v_mov_b32_e32 v4, s28
	s_cbranch_vccnz .LBB2_31
; %bb.28:                               ;   in Loop: Header=BB2_27 Depth=1
	s_mov_b64 s[26:27], 0
	v_mov_b32_e32 v6, s20
	v_mov_b32_e32 v4, s28
.LBB2_29:                               ;   Parent Loop BB2_27 Depth=1
                                        ; =>  This Inner Loop Header: Depth=2
	v_add_u32_e32 v3, v4, v6
	v_lshrrev_b32_e32 v5, 31, v3
	v_add_u32_e32 v3, v3, v5
	v_ashrrev_i32_e32 v8, 1, v3
	v_ashrrev_i32_e32 v9, 31, v8
	v_lshl_add_u64 v[12:13], v[8:9], 2, s[12:13]
	global_load_dword v3, v[12:13], off
	s_waitcnt vmcnt(0)
	v_subrev_u32_e32 v3, s22, v3
	v_cmp_lt_i32_e32 vcc, v2, v3
	s_nop 1
	v_cndmask_b32_e32 v4, v4, v8, vcc
	v_cndmask_b32_e32 v6, v8, v6, vcc
	v_add_u32_e32 v3, -1, v4
	v_cmp_ge_i32_e32 vcc, v6, v4
	v_cmp_eq_u32_e64 s[4:5], v6, v3
	s_or_b64 s[4:5], vcc, s[4:5]
	s_and_b64 s[4:5], exec, s[4:5]
	s_or_b64 s[26:27], s[4:5], s[26:27]
	s_andn2_b64 exec, exec, s[26:27]
	s_cbranch_execnz .LBB2_29
; %bb.30:                               ;   in Loop: Header=BB2_27 Depth=1
	s_or_b64 exec, exec, s[26:27]
.LBB2_31:                               ;   in Loop: Header=BB2_27 Depth=1
	v_ashrrev_i32_e32 v5, 31, v4
	v_lshl_add_u64 v[8:9], v[4:5], 2, s[12:13]
	global_load_dword v5, v[8:9], off
	v_ashrrev_i32_e32 v3, 31, v2
	v_lshl_add_u64 v[8:9], v[2:3], 2, s[14:15]
	global_load_dword v7, v[8:9], off
	s_waitcnt vmcnt(1)
	v_subrev_u32_e32 v5, s22, v5
	v_cmp_lt_i32_e32 vcc, v2, v5
	s_nop 1
	v_cndmask_b32_e32 v6, v4, v6, vcc
	s_waitcnt vmcnt(0)
	v_subrev_u32_e32 v4, s22, v7
	v_cmp_ne_u32_e32 vcc, v4, v6
	s_and_saveexec_b64 s[4:5], vcc
	s_cbranch_execz .LBB2_26
; %bb.32:                               ;   in Loop: Header=BB2_27 Depth=1
	v_lshl_add_u64 v[8:9], v[2:3], 2, s[16:17]
	v_ashrrev_i32_e32 v7, 31, v6
	global_load_dword v3, v[8:9], off
	v_lshl_add_u64 v[6:7], v[6:7], 2, s[18:19]
	global_load_dword v6, v[6:7], off
	v_ashrrev_i32_e32 v5, 31, v4
	v_lshl_add_u64 v[4:5], v[4:5], 2, s[10:11]
	s_waitcnt vmcnt(1)
	v_mul_f32_e32 v3, s24, v3
	s_waitcnt vmcnt(0)
	v_mul_f32_e32 v3, v3, v6
	global_atomic_add_f32 v[4:5], v3, off
	s_branch .LBB2_26
.LBB2_33:
	s_or_b64 exec, exec, s[6:7]
	s_mov_b64 s[2:3], 0
.LBB2_34:
	s_and_b64 vcc, exec, s[2:3]
	s_cbranch_vccz .LBB2_148
; %bb.35:
	v_cvt_f32_u32_e32 v2, s23
	s_ashr_i32 s3, s20, 31
	s_mov_b32 s2, s20
	s_sub_i32 s8, 0, s23
	v_rcp_iflag_f32_e32 v2, v2
	s_lshl_b64 s[2:3], s[2:3], 2
	s_add_u32 s4, s12, s2
	s_addc_u32 s5, s13, s3
	v_mul_f32_e32 v2, 0x4f7ffffe, v2
	v_cvt_u32_f32_e32 v2, v2
	s_load_dword s33, s[4:5], 0x0
	s_load_dwordx2 s[6:7], s[0:1], 0x4
	s_load_dword s36, s[0:1], 0x64
	v_readfirstlane_b32 s37, v2
	s_waitcnt lgkmcnt(0)
	v_add_u32_e32 v2, s33, v1
	s_mul_i32 s8, s8, s37
	v_add_u32_e32 v11, 0x300, v2
	s_mul_hi_u32 s38, s37, s8
	v_cmp_le_i32_e32 vcc, s6, v11
	s_and_saveexec_b64 s[0:1], vcc
	s_xor_b64 s[2:3], exec, s[0:1]
	s_cbranch_execz .LBB2_47
; %bb.36:
	s_ashr_i32 s1, s21, 31
	s_mov_b32 s0, s21
	s_lshl_b64 s[0:1], s[0:1], 2
	s_add_u32 s0, s12, s0
	s_addc_u32 s1, s13, s1
	s_load_dword s25, s[0:1], 0x0
	s_waitcnt lgkmcnt(0)
	s_sub_i32 s6, s25, s33
	v_cmp_gt_i32_e64 s[0:1], s6, v0
	s_and_saveexec_b64 s[8:9], s[0:1]
	s_cbranch_execz .LBB2_46
; %bb.37:
	v_xad_u32 v1, v0, -1, s25
	v_subrev_u32_e32 v3, s33, v1
	s_movk_i32 s0, 0x1300
	v_cmp_gt_u32_e64 s[26:27], s0, v3
	s_movk_i32 s0, 0x12ff
	v_cmp_lt_u32_e64 s[0:1], s0, v3
	v_mov_b32_e32 v1, 0
	s_and_saveexec_b64 s[28:29], s[0:1]
	s_cbranch_execz .LBB2_43
; %bb.38:
	v_and_b32_e32 v1, 0xffffff00, v3
	v_add_u32_e32 v1, v2, v1
	v_cmp_ge_i32_e64 s[0:1], v1, v2
	s_mov_b64 s[34:35], -1
	v_mov_b32_e32 v1, 0
	s_and_saveexec_b64 s[30:31], s[0:1]
	s_cbranch_execz .LBB2_42
; %bb.39:
	v_lshrrev_b32_e32 v1, 8, v3
	v_add_u32_e32 v3, 1, v1
	v_and_b32_e32 v4, 0x1fffffe, v3
	v_mov_b32_e32 v1, v2
	s_mov_b32 s25, s24
	s_movk_i32 s39, 0x100
	s_mov_b32 s40, 0
	s_mov_b64 s[34:35], 0
	v_mov_b32_e32 v5, v4
	v_mov_b32_e32 v6, v10
.LBB2_40:                               ; =>This Inner Loop Header: Depth=1
	v_add_u32_e32 v8, s40, v2
	v_add_u32_e32 v12, s39, v1
	v_ashrrev_i32_e32 v9, 31, v8
	v_ashrrev_i32_e32 v13, 31, v12
	v_lshl_add_u64 v[8:9], v[8:9], 2, s[16:17]
	v_lshl_add_u64 v[12:13], v[12:13], 2, s[16:17]
	global_load_dword v14, v[8:9], off
	global_load_dword v15, v[12:13], off
	v_add_u32_e32 v5, -2, v5
	s_addk_i32 s40, 0x200
	s_addk_i32 s39, 0x200
	v_cmp_eq_u32_e64 s[0:1], 0, v5
	s_or_b64 s[34:35], s[0:1], s[34:35]
	s_waitcnt vmcnt(0)
	v_pk_mul_f32 v[8:9], s[24:25], v[14:15]
	ds_write2st64_b32 v6, v8, v9 offset1:4
	v_add_u32_e32 v6, 0x800, v6
	s_andn2_b64 exec, exec, s[34:35]
	s_cbranch_execnz .LBB2_40
; %bb.41:
	s_or_b64 exec, exec, s[34:35]
	v_cmp_ne_u32_e64 s[0:1], v3, v4
	v_lshlrev_b32_e32 v1, 8, v4
	s_orn2_b64 s[34:35], s[0:1], exec
.LBB2_42:
	s_or_b64 exec, exec, s[30:31]
	s_andn2_b64 s[0:1], s[26:27], exec
	s_and_b64 s[26:27], s[34:35], exec
	s_or_b64 s[26:27], s[0:1], s[26:27]
.LBB2_43:
	s_or_b64 exec, exec, s[28:29]
	s_and_b64 exec, exec, s[26:27]
	s_cbranch_execz .LBB2_46
; %bb.44:
	v_add_u32_e32 v3, v0, v1
	v_lshlrev_b32_e32 v1, 2, v1
	v_lshl_add_u32 v1, v0, 2, v1
	s_sub_i32 s25, s33, s22
	s_mov_b64 s[26:27], 0
.LBB2_45:                               ; =>This Inner Loop Header: Depth=1
	v_add_u32_e32 v4, s25, v3
	v_ashrrev_i32_e32 v5, 31, v4
	v_lshl_add_u64 v[4:5], v[4:5], 2, s[16:17]
	global_load_dword v4, v[4:5], off
	v_add_u32_e32 v3, 0x100, v3
	v_cmp_le_i32_e64 s[0:1], s6, v3
	s_or_b64 s[26:27], s[0:1], s[26:27]
	s_waitcnt vmcnt(0)
	v_mul_f32_e32 v4, s24, v4
	ds_write_b32 v1, v4
	v_add_u32_e32 v1, 0x400, v1
	s_andn2_b64 exec, exec, s[26:27]
	s_cbranch_execnz .LBB2_45
.LBB2_46:
	s_or_b64 exec, exec, s[8:9]
.LBB2_47:
	s_or_saveexec_b64 s[0:1], s[2:3]
	s_and_b32 s28, s36, 0xffff
	s_add_i32 s37, s37, s38
	v_ashrrev_i32_e32 v3, 31, v2
	s_xor_b64 exec, exec, s[0:1]
	s_cbranch_execz .LBB2_49
; %bb.48:
	v_lshl_add_u64 v[4:5], v[2:3], 2, s[16:17]
	global_load_dword v1, v[4:5], off
	global_load_dword v6, v[4:5], off offset:1024
	global_load_dword v7, v[4:5], off offset:2048
	;; [unrolled: 1-line block ×3, first 2 shown]
	s_waitcnt vmcnt(3)
	v_mul_f32_e32 v1, s24, v1
	s_waitcnt vmcnt(2)
	v_mul_f32_e32 v4, s24, v6
	;; [unrolled: 2-line block ×4, first 2 shown]
	ds_write2st64_b32 v10, v1, v4 offset1:4
	ds_write2st64_b32 v10, v5, v6 offset0:8 offset1:12
.LBB2_49:
	s_or_b64 exec, exec, s[0:1]
	s_mul_hi_u32 s6, s28, s37
	v_cmp_gt_i32_e64 s[0:1], s7, v0
	s_and_saveexec_b64 s[2:3], s[0:1]
	s_cbranch_execz .LBB2_52
; %bb.50:
	v_mov_b32_e32 v1, 0x1000
	v_lshl_add_u32 v1, v0, 2, v1
	s_mov_b64 s[8:9], 0
	v_mov_b32_e32 v4, 0
	v_mov_b32_e32 v5, v0
.LBB2_51:                               ; =>This Inner Loop Header: Depth=1
	v_add_u32_e32 v5, 0x100, v5
	v_cmp_le_i32_e64 s[0:1], s7, v5
	ds_write_b32 v1, v4
	s_or_b64 s[8:9], s[0:1], s[8:9]
	v_add_u32_e32 v1, 0x400, v1
	s_andn2_b64 exec, exec, s[8:9]
	s_cbranch_execnz .LBB2_51
.LBB2_52:
	s_or_b64 exec, exec, s[2:3]
	s_sub_i32 s0, s21, s7
	s_cmp_ge_i32 s21, s7
	s_cselect_b32 s29, s0, 0
	s_waitcnt lgkmcnt(0)
	s_barrier
	s_and_saveexec_b64 s[0:1], vcc
	s_xor_b64 s[8:9], exec, s[0:1]
	s_cbranch_execz .LBB2_69
; %bb.53:
	s_ashr_i32 s1, s21, 31
	s_mov_b32 s0, s21
	s_lshl_b64 s[0:1], s[0:1], 2
	s_add_u32 s0, s12, s0
	s_addc_u32 s1, s13, s1
	s_load_dword s0, s[0:1], 0x0
	s_waitcnt lgkmcnt(0)
	s_sub_i32 s30, s0, s33
	v_cmp_gt_i32_e32 vcc, s30, v0
	s_and_saveexec_b64 s[16:17], vcc
	s_cbranch_execz .LBB2_68
; %bb.54:
	s_add_i32 s31, s21, -1
	s_add_i32 s1, s21, -2
	s_cmp_lg_u32 s20, s1
	s_cselect_b64 s[2:3], -1, 0
	v_cndmask_b32_e64 v1, 0, 1, s[2:3]
	s_sub_i32 s34, s0, s22
	s_mov_b32 s35, 0
	s_mov_b64 s[24:25], 0
	v_cmp_ne_u32_e64 s[0:1], 1, v1
	v_mov_b32_e32 v1, 0x1000
	s_branch .LBB2_57
.LBB2_55:                               ;   in Loop: Header=BB2_57 Depth=1
	s_or_b64 exec, exec, s[2:3]
.LBB2_56:                               ;   in Loop: Header=BB2_57 Depth=1
	s_or_b64 exec, exec, s[26:27]
	v_ashrrev_i32_e32 v5, 31, v4
	v_lshl_add_u64 v[4:5], v[4:5], 2, s[18:19]
	global_load_dword v4, v[4:5], off
	s_addk_i32 s35, 0x100
	v_add_u32_e32 v5, s35, v0
	v_cmp_le_i32_e32 vcc, s30, v5
	s_or_b64 s[24:25], vcc, s[24:25]
	s_waitcnt vmcnt(0) lgkmcnt(0)
	v_mul_f32_e32 v4, v4, v7
	ds_write_b32 v3, v4
	s_andn2_b64 exec, exec, s[24:25]
	s_cbranch_execz .LBB2_68
.LBB2_57:                               ; =>This Loop Header: Depth=1
                                        ;     Child Loop BB2_59 Depth 2
	v_add_u32_e32 v6, s35, v2
	s_and_b64 vcc, exec, s[0:1]
	v_mov_b32_e32 v3, s20
	v_mov_b32_e32 v8, s31
	s_cbranch_vccnz .LBB2_61
; %bb.58:                               ;   in Loop: Header=BB2_57 Depth=1
	s_mov_b64 s[26:27], 0
	v_mov_b32_e32 v3, s20
	v_mov_b32_e32 v8, s31
.LBB2_59:                               ;   Parent Loop BB2_57 Depth=1
                                        ; =>  This Inner Loop Header: Depth=2
	v_add_u32_e32 v4, v8, v3
	v_lshrrev_b32_e32 v5, 31, v4
	v_add_u32_e32 v4, v4, v5
	v_ashrrev_i32_e32 v4, 1, v4
	v_ashrrev_i32_e32 v5, 31, v4
	v_lshl_add_u64 v[12:13], v[4:5], 2, s[12:13]
	global_load_dword v5, v[12:13], off
	s_waitcnt vmcnt(0)
	v_subrev_u32_e32 v5, s22, v5
	v_cmp_lt_i32_e32 vcc, v6, v5
	s_nop 1
	v_cndmask_b32_e32 v8, v8, v4, vcc
	v_cndmask_b32_e32 v3, v4, v3, vcc
	v_add_u32_e32 v4, -1, v8
	v_cmp_ge_i32_e32 vcc, v3, v8
	v_cmp_eq_u32_e64 s[2:3], v3, v4
	s_or_b64 s[2:3], vcc, s[2:3]
	s_and_b64 s[2:3], exec, s[2:3]
	s_or_b64 s[26:27], s[2:3], s[26:27]
	s_andn2_b64 exec, exec, s[26:27]
	s_cbranch_execnz .LBB2_59
; %bb.60:                               ;   in Loop: Header=BB2_57 Depth=1
	s_or_b64 exec, exec, s[26:27]
.LBB2_61:                               ;   in Loop: Header=BB2_57 Depth=1
	v_ashrrev_i32_e32 v9, 31, v8
	v_lshl_add_u64 v[4:5], v[8:9], 2, s[12:13]
	global_load_dword v9, v[4:5], off
	v_ashrrev_i32_e32 v7, 31, v6
	v_lshl_add_u64 v[4:5], v[6:7], 2, s[14:15]
	global_load_dword v4, v[4:5], off
	v_cmp_le_i32_e32 vcc, s34, v6
                                        ; implicit-def: $vgpr7
	s_waitcnt vmcnt(1)
	v_subrev_u32_e32 v5, s22, v9
	v_cmp_lt_i32_e64 s[2:3], v6, v5
	s_waitcnt vmcnt(0)
	v_subrev_u32_e32 v4, s22, v4
	v_cndmask_b32_e64 v6, v8, v3, s[2:3]
	v_cmp_eq_u32_e64 s[2:3], v4, v6
	s_or_b64 s[2:3], s[2:3], vcc
	v_lshl_add_u32 v3, s35, 2, v10
	s_and_saveexec_b64 s[26:27], s[2:3]
	s_xor_b64 s[2:3], exec, s[26:27]
; %bb.62:                               ;   in Loop: Header=BB2_57 Depth=1
	ds_read_b32 v7, v3
                                        ; implicit-def: $vgpr6
; %bb.63:                               ;   in Loop: Header=BB2_57 Depth=1
	s_andn2_saveexec_b64 s[26:27], s[2:3]
	s_cbranch_execz .LBB2_56
; %bb.64:                               ;   in Loop: Header=BB2_57 Depth=1
	s_waitcnt lgkmcnt(0)
	v_ashrrev_i32_e32 v7, 31, v6
	v_lshl_add_u64 v[6:7], v[6:7], 2, s[18:19]
	global_load_dword v5, v[6:7], off
	ds_read_b32 v7, v3
	v_cmp_gt_i32_e32 vcc, s29, v4
	v_cmp_le_i32_e64 s[2:3], s21, v4
	s_or_b64 s[2:3], vcc, s[2:3]
	s_waitcnt vmcnt(0) lgkmcnt(0)
	v_mul_f32_e32 v6, v7, v5
	s_and_saveexec_b64 s[36:37], s[2:3]
	s_xor_b64 s[2:3], exec, s[36:37]
	s_cbranch_execz .LBB2_66
; %bb.65:                               ;   in Loop: Header=BB2_57 Depth=1
	v_ashrrev_i32_e32 v5, 31, v4
	v_lshl_add_u64 v[8:9], v[4:5], 2, s[10:11]
	global_atomic_add_f32 v[8:9], v6, off
                                        ; implicit-def: $vgpr6
.LBB2_66:                               ;   in Loop: Header=BB2_57 Depth=1
	s_andn2_saveexec_b64 s[2:3], s[2:3]
	s_cbranch_execz .LBB2_55
; %bb.67:                               ;   in Loop: Header=BB2_57 Depth=1
	v_subrev_u32_e32 v5, s29, v4
	v_lshl_add_u32 v5, v5, 2, v1
	ds_add_f32 v5, v6
	s_branch .LBB2_55
.LBB2_68:
	s_or_b64 exec, exec, s[16:17]
                                        ; implicit-def: $vgpr11
                                        ; implicit-def: $vgpr2
.LBB2_69:
	s_andn2_saveexec_b64 s[8:9], s[8:9]
	s_cbranch_execz .LBB2_123
; %bb.70:
	s_add_i32 s26, s21, -1
	s_add_i32 s0, s21, -2
	s_cmp_lg_u32 s20, s0
	s_cselect_b64 s[2:3], -1, 0
	s_cmp_eq_u32 s20, s0
	v_mov_b32_e32 v1, s20
	v_mov_b32_e32 v6, s26
	s_cbranch_scc1 .LBB2_74
; %bb.71:
	s_mov_b64 s[16:17], 0
	v_mov_b32_e32 v1, s20
	v_mov_b32_e32 v6, s26
.LBB2_72:                               ; =>This Inner Loop Header: Depth=1
	v_add_u32_e32 v4, v6, v1
	v_lshrrev_b32_e32 v5, 31, v4
	v_add_u32_e32 v4, v4, v5
	v_ashrrev_i32_e32 v4, 1, v4
	v_ashrrev_i32_e32 v5, 31, v4
	v_lshl_add_u64 v[8:9], v[4:5], 2, s[12:13]
	global_load_dword v5, v[8:9], off
	s_waitcnt vmcnt(0)
	v_subrev_u32_e32 v5, s22, v5
	v_cmp_lt_i32_e32 vcc, v2, v5
	s_nop 1
	v_cndmask_b32_e32 v6, v6, v4, vcc
	v_cndmask_b32_e32 v1, v4, v1, vcc
	v_add_u32_e32 v4, -1, v6
	v_cmp_ge_i32_e32 vcc, v1, v6
	v_cmp_eq_u32_e64 s[0:1], v1, v4
	s_or_b64 s[0:1], vcc, s[0:1]
	s_and_b64 s[0:1], exec, s[0:1]
	s_or_b64 s[16:17], s[0:1], s[16:17]
	s_andn2_b64 exec, exec, s[16:17]
	s_cbranch_execnz .LBB2_72
; %bb.73:
	s_or_b64 exec, exec, s[16:17]
.LBB2_74:
	v_ashrrev_i32_e32 v7, 31, v6
	v_lshl_add_u64 v[4:5], v[6:7], 2, s[12:13]
	global_load_dword v7, v[4:5], off
	v_lshl_add_u64 v[4:5], v[2:3], 2, s[14:15]
	global_load_dword v3, v[4:5], off
	s_ashr_i32 s1, s21, 31
	s_mov_b32 s0, s21
	s_lshl_b64 s[0:1], s[0:1], 2
	s_add_u32 s14, s12, s0
	s_addc_u32 s15, s13, s1
	s_waitcnt vmcnt(1)
	v_subrev_u32_e32 v7, s22, v7
	v_cmp_lt_i32_e32 vcc, v2, v7
	s_nop 1
	v_cndmask_b32_e32 v8, v6, v1, vcc
	s_waitcnt vmcnt(0)
	v_subrev_u32_e32 v6, s22, v3
	v_cmp_ne_u32_e32 vcc, v6, v8
                                        ; implicit-def: $vgpr3
	s_and_saveexec_b64 s[0:1], vcc
	s_xor_b64 s[16:17], exec, s[0:1]
	s_cbranch_execz .LBB2_81
; %bb.75:
	s_load_dword s0, s[14:15], 0x0
	ds_read_b32 v3, v10
	s_waitcnt lgkmcnt(0)
	s_sub_i32 s0, s0, s22
	v_cmp_gt_i32_e32 vcc, s0, v2
	s_and_saveexec_b64 s[24:25], vcc
	s_cbranch_execz .LBB2_80
; %bb.76:
	v_ashrrev_i32_e32 v9, 31, v8
	v_lshl_add_u64 v[8:9], v[8:9], 2, s[18:19]
	global_load_dword v1, v[8:9], off
	v_cmp_gt_i32_e32 vcc, s29, v6
	v_cmp_le_i32_e64 s[0:1], s21, v6
	s_or_b64 s[0:1], vcc, s[0:1]
	s_waitcnt vmcnt(0)
	v_mul_f32_e32 v1, v3, v1
	s_and_saveexec_b64 s[30:31], s[0:1]
	s_xor_b64 s[0:1], exec, s[30:31]
	s_cbranch_execz .LBB2_78
; %bb.77:
	v_ashrrev_i32_e32 v7, 31, v6
	v_lshl_add_u64 v[8:9], v[6:7], 2, s[10:11]
	global_atomic_add_f32 v[8:9], v1, off
                                        ; implicit-def: $vgpr1
.LBB2_78:
	s_andn2_saveexec_b64 s[0:1], s[0:1]
; %bb.79:
	v_subrev_u32_e32 v7, s29, v6
	v_mov_b32_e32 v8, 0x1000
	v_lshl_add_u32 v7, v7, 2, v8
	ds_add_f32 v7, v1
.LBB2_80:
	s_or_b64 exec, exec, s[24:25]
.LBB2_81:
	s_andn2_saveexec_b64 s[0:1], s[16:17]
; %bb.82:
	ds_read_b32 v3, v10
; %bb.83:
	s_or_b64 exec, exec, s[0:1]
	v_ashrrev_i32_e32 v7, 31, v6
	v_lshl_add_u64 v[6:7], v[6:7], 2, s[18:19]
	global_load_dword v6, v[6:7], off
	v_cndmask_b32_e64 v7, 0, 1, s[2:3]
	v_add_u32_e32 v1, 0x100, v2
	v_mov_b32_e32 v8, s20
	v_cmp_ne_u32_e64 s[0:1], 1, v7
	s_andn2_b64 vcc, exec, s[2:3]
	s_waitcnt vmcnt(0) lgkmcnt(0)
	v_mul_f32_e32 v3, v6, v3
	v_mov_b32_e32 v6, s26
	ds_write_b32 v10, v3
	s_cbranch_vccnz .LBB2_87
; %bb.84:
	s_mov_b64 s[16:17], 0
	v_mov_b32_e32 v8, s20
	v_mov_b32_e32 v6, s26
.LBB2_85:                               ; =>This Inner Loop Header: Depth=1
	v_add_u32_e32 v3, v6, v8
	v_lshrrev_b32_e32 v7, 31, v3
	v_add_u32_e32 v3, v3, v7
	v_ashrrev_i32_e32 v12, 1, v3
	v_ashrrev_i32_e32 v13, 31, v12
	v_lshl_add_u64 v[14:15], v[12:13], 2, s[12:13]
	global_load_dword v3, v[14:15], off
	s_waitcnt vmcnt(0)
	v_subrev_u32_e32 v3, s22, v3
	v_cmp_lt_i32_e32 vcc, v1, v3
	s_nop 1
	v_cndmask_b32_e32 v6, v6, v12, vcc
	v_cndmask_b32_e32 v8, v12, v8, vcc
	v_add_u32_e32 v3, -1, v6
	v_cmp_ge_i32_e32 vcc, v8, v6
	v_cmp_eq_u32_e64 s[2:3], v8, v3
	s_or_b64 s[2:3], vcc, s[2:3]
	s_and_b64 s[2:3], exec, s[2:3]
	s_or_b64 s[16:17], s[2:3], s[16:17]
	s_andn2_b64 exec, exec, s[16:17]
	s_cbranch_execnz .LBB2_85
; %bb.86:
	s_or_b64 exec, exec, s[16:17]
.LBB2_87:
	v_ashrrev_i32_e32 v7, 31, v6
	v_lshl_add_u64 v[12:13], v[6:7], 2, s[12:13]
	global_load_dword v3, v[12:13], off
	global_load_dword v7, v[4:5], off offset:1024
	s_waitcnt vmcnt(1)
	v_subrev_u32_e32 v3, s22, v3
	v_cmp_lt_i32_e32 vcc, v1, v3
                                        ; implicit-def: $vgpr3
	s_nop 1
	v_cndmask_b32_e32 v8, v6, v8, vcc
	s_waitcnt vmcnt(0)
	v_subrev_u32_e32 v6, s22, v7
	v_cmp_ne_u32_e32 vcc, v6, v8
	s_and_saveexec_b64 s[2:3], vcc
	s_xor_b64 s[16:17], exec, s[2:3]
	s_cbranch_execz .LBB2_94
; %bb.88:
	s_load_dword s2, s[14:15], 0x0
	ds_read_b32 v3, v10 offset:1024
	s_waitcnt lgkmcnt(0)
	s_sub_i32 s2, s2, s22
	v_cmp_gt_i32_e32 vcc, s2, v1
	s_and_saveexec_b64 s[24:25], vcc
	s_cbranch_execz .LBB2_93
; %bb.89:
	v_ashrrev_i32_e32 v9, 31, v8
	v_lshl_add_u64 v[8:9], v[8:9], 2, s[18:19]
	global_load_dword v1, v[8:9], off
	v_cmp_gt_i32_e32 vcc, s29, v6
	v_cmp_le_i32_e64 s[2:3], s21, v6
	s_or_b64 s[2:3], vcc, s[2:3]
	s_waitcnt vmcnt(0)
	v_mul_f32_e32 v1, v3, v1
	s_and_saveexec_b64 s[30:31], s[2:3]
	s_xor_b64 s[2:3], exec, s[30:31]
	s_cbranch_execz .LBB2_91
; %bb.90:
	v_ashrrev_i32_e32 v7, 31, v6
	v_lshl_add_u64 v[8:9], v[6:7], 2, s[10:11]
	global_atomic_add_f32 v[8:9], v1, off
                                        ; implicit-def: $vgpr1
.LBB2_91:
	s_andn2_saveexec_b64 s[2:3], s[2:3]
; %bb.92:
	v_subrev_u32_e32 v7, s29, v6
	v_mov_b32_e32 v8, 0x1000
	v_lshl_add_u32 v7, v7, 2, v8
	ds_add_f32 v7, v1
.LBB2_93:
	s_or_b64 exec, exec, s[24:25]
.LBB2_94:
	s_andn2_saveexec_b64 s[2:3], s[16:17]
; %bb.95:
	ds_read_b32 v3, v10 offset:1024
; %bb.96:
	s_or_b64 exec, exec, s[2:3]
	v_ashrrev_i32_e32 v7, 31, v6
	v_lshl_add_u64 v[6:7], v[6:7], 2, s[18:19]
	global_load_dword v7, v[6:7], off
	v_add_u32_e32 v1, 0x200, v2
	s_and_b64 vcc, exec, s[0:1]
	v_mov_b32_e32 v6, s20
	s_waitcnt vmcnt(0) lgkmcnt(0)
	v_mul_f32_e32 v2, v7, v3
	ds_write_b32 v10, v2 offset:1024
	v_mov_b32_e32 v2, s26
	s_cbranch_vccnz .LBB2_100
; %bb.97:
	s_mov_b64 s[16:17], 0
	v_mov_b32_e32 v6, s20
	v_mov_b32_e32 v2, s26
.LBB2_98:                               ; =>This Inner Loop Header: Depth=1
	v_add_u32_e32 v3, v2, v6
	v_lshrrev_b32_e32 v7, 31, v3
	v_add_u32_e32 v3, v3, v7
	v_ashrrev_i32_e32 v8, 1, v3
	v_ashrrev_i32_e32 v9, 31, v8
	v_lshl_add_u64 v[12:13], v[8:9], 2, s[12:13]
	global_load_dword v3, v[12:13], off
	s_waitcnt vmcnt(0)
	v_subrev_u32_e32 v3, s22, v3
	v_cmp_lt_i32_e32 vcc, v1, v3
	s_nop 1
	v_cndmask_b32_e32 v2, v2, v8, vcc
	v_cndmask_b32_e32 v6, v8, v6, vcc
	v_add_u32_e32 v3, -1, v2
	v_cmp_ge_i32_e32 vcc, v6, v2
	v_cmp_eq_u32_e64 s[2:3], v6, v3
	s_or_b64 s[2:3], vcc, s[2:3]
	s_and_b64 s[2:3], exec, s[2:3]
	s_or_b64 s[16:17], s[2:3], s[16:17]
	s_andn2_b64 exec, exec, s[16:17]
	s_cbranch_execnz .LBB2_98
; %bb.99:
	s_or_b64 exec, exec, s[16:17]
.LBB2_100:
	v_ashrrev_i32_e32 v3, 31, v2
	v_lshl_add_u64 v[8:9], v[2:3], 2, s[12:13]
	global_load_dword v3, v[8:9], off
	global_load_dword v7, v[4:5], off offset:2048
                                        ; implicit-def: $vgpr8
	s_waitcnt vmcnt(1)
	v_subrev_u32_e32 v3, s22, v3
	v_cmp_lt_i32_e32 vcc, v1, v3
	s_nop 1
	v_cndmask_b32_e32 v6, v2, v6, vcc
	s_waitcnt vmcnt(0)
	v_subrev_u32_e32 v2, s22, v7
	v_cmp_ne_u32_e32 vcc, v2, v6
	s_and_saveexec_b64 s[2:3], vcc
	s_xor_b64 s[16:17], exec, s[2:3]
	s_cbranch_execz .LBB2_107
; %bb.101:
	s_load_dword s2, s[14:15], 0x0
	ds_read_b32 v8, v10 offset:2048
	s_waitcnt lgkmcnt(0)
	s_sub_i32 s2, s2, s22
	v_cmp_gt_i32_e32 vcc, s2, v1
	s_and_saveexec_b64 s[24:25], vcc
	s_cbranch_execz .LBB2_106
; %bb.102:
	v_ashrrev_i32_e32 v7, 31, v6
	v_lshl_add_u64 v[6:7], v[6:7], 2, s[18:19]
	global_load_dword v1, v[6:7], off
	v_cmp_gt_i32_e32 vcc, s29, v2
	v_cmp_le_i32_e64 s[2:3], s21, v2
	s_or_b64 s[2:3], vcc, s[2:3]
	s_waitcnt vmcnt(0)
	v_mul_f32_e32 v1, v8, v1
	s_and_saveexec_b64 s[30:31], s[2:3]
	s_xor_b64 s[2:3], exec, s[30:31]
	s_cbranch_execz .LBB2_104
; %bb.103:
	v_ashrrev_i32_e32 v3, 31, v2
	v_lshl_add_u64 v[6:7], v[2:3], 2, s[10:11]
	global_atomic_add_f32 v[6:7], v1, off
                                        ; implicit-def: $vgpr1
.LBB2_104:
	s_andn2_saveexec_b64 s[2:3], s[2:3]
; %bb.105:
	v_subrev_u32_e32 v3, s29, v2
	v_mov_b32_e32 v6, 0x1000
	v_lshl_add_u32 v3, v3, 2, v6
	ds_add_f32 v3, v1
.LBB2_106:
	s_or_b64 exec, exec, s[24:25]
.LBB2_107:
	s_andn2_saveexec_b64 s[2:3], s[16:17]
; %bb.108:
	ds_read_b32 v8, v10 offset:2048
; %bb.109:
	s_or_b64 exec, exec, s[2:3]
	v_ashrrev_i32_e32 v3, 31, v2
	v_lshl_add_u64 v[2:3], v[2:3], 2, s[18:19]
	global_load_dword v2, v[2:3], off
	s_and_b64 vcc, exec, s[0:1]
	v_mov_b32_e32 v1, s20
	s_waitcnt vmcnt(0) lgkmcnt(0)
	v_mul_f32_e32 v2, v2, v8
	ds_write_b32 v10, v2 offset:2048
	v_mov_b32_e32 v2, s26
	s_cbranch_vccnz .LBB2_113
; %bb.110:
	s_mov_b64 s[2:3], 0
	v_mov_b32_e32 v1, s20
	v_mov_b32_e32 v2, s26
.LBB2_111:                              ; =>This Inner Loop Header: Depth=1
	v_add_u32_e32 v3, v2, v1
	v_lshrrev_b32_e32 v6, 31, v3
	v_add_u32_e32 v3, v3, v6
	v_ashrrev_i32_e32 v6, 1, v3
	v_ashrrev_i32_e32 v7, 31, v6
	v_lshl_add_u64 v[8:9], v[6:7], 2, s[12:13]
	global_load_dword v3, v[8:9], off
	s_waitcnt vmcnt(0)
	v_subrev_u32_e32 v3, s22, v3
	v_cmp_lt_i32_e32 vcc, v11, v3
	s_nop 1
	v_cndmask_b32_e32 v2, v2, v6, vcc
	v_cndmask_b32_e32 v1, v6, v1, vcc
	v_add_u32_e32 v3, -1, v2
	v_cmp_ge_i32_e32 vcc, v1, v2
	v_cmp_eq_u32_e64 s[0:1], v1, v3
	s_or_b64 s[0:1], vcc, s[0:1]
	s_and_b64 s[0:1], exec, s[0:1]
	s_or_b64 s[2:3], s[0:1], s[2:3]
	s_andn2_b64 exec, exec, s[2:3]
	s_cbranch_execnz .LBB2_111
; %bb.112:
	s_or_b64 exec, exec, s[2:3]
.LBB2_113:
	v_ashrrev_i32_e32 v3, 31, v2
	v_lshl_add_u64 v[6:7], v[2:3], 2, s[12:13]
	global_load_dword v3, v[6:7], off
	global_load_dword v8, v[4:5], off offset:3072
	s_waitcnt vmcnt(1)
	v_subrev_u32_e32 v3, s22, v3
	v_cmp_lt_i32_e32 vcc, v11, v3
	s_nop 1
	v_cndmask_b32_e32 v4, v2, v1, vcc
	s_waitcnt vmcnt(0)
	v_subrev_u32_e32 v2, s22, v8
	v_cmp_ne_u32_e32 vcc, v2, v4
                                        ; implicit-def: $vgpr1
	s_and_saveexec_b64 s[0:1], vcc
	s_xor_b64 s[2:3], exec, s[0:1]
	s_cbranch_execz .LBB2_120
; %bb.114:
	s_load_dword s0, s[14:15], 0x0
	ds_read_b32 v1, v10 offset:3072
	s_waitcnt lgkmcnt(0)
	s_sub_i32 s0, s0, s22
	v_cmp_gt_i32_e32 vcc, s0, v11
	s_and_saveexec_b64 s[14:15], vcc
	s_cbranch_execz .LBB2_119
; %bb.115:
	v_ashrrev_i32_e32 v5, 31, v4
	v_lshl_add_u64 v[4:5], v[4:5], 2, s[18:19]
	global_load_dword v3, v[4:5], off
	v_cmp_gt_i32_e32 vcc, s29, v2
	v_cmp_le_i32_e64 s[0:1], s21, v2
	s_or_b64 s[0:1], vcc, s[0:1]
	s_waitcnt vmcnt(0)
	v_mul_f32_e32 v4, v1, v3
	s_and_saveexec_b64 s[16:17], s[0:1]
	s_xor_b64 s[0:1], exec, s[16:17]
	s_cbranch_execz .LBB2_117
; %bb.116:
	v_ashrrev_i32_e32 v3, 31, v2
	v_lshl_add_u64 v[6:7], v[2:3], 2, s[10:11]
	global_atomic_add_f32 v[6:7], v4, off
                                        ; implicit-def: $vgpr4
.LBB2_117:
	s_andn2_saveexec_b64 s[0:1], s[0:1]
; %bb.118:
	v_subrev_u32_e32 v3, s29, v2
	v_mov_b32_e32 v5, 0x1000
	v_lshl_add_u32 v3, v3, 2, v5
	ds_add_f32 v3, v4
.LBB2_119:
	s_or_b64 exec, exec, s[14:15]
.LBB2_120:
	s_andn2_saveexec_b64 s[0:1], s[2:3]
; %bb.121:
	ds_read_b32 v1, v10 offset:3072
; %bb.122:
	s_or_b64 exec, exec, s[0:1]
	v_ashrrev_i32_e32 v3, 31, v2
	v_lshl_add_u64 v[2:3], v[2:3], 2, s[18:19]
	global_load_dword v2, v[2:3], off
	s_waitcnt vmcnt(0) lgkmcnt(0)
	v_mul_f32_e32 v1, v2, v1
	ds_write_b32 v10, v1 offset:3072
.LBB2_123:
	s_or_b64 exec, exec, s[8:9]
	s_min_i32 s7, s21, s7
	s_sub_i32 s14, s7, s23
	v_cmp_gt_i32_e32 vcc, s14, v0
	s_waitcnt lgkmcnt(0)
	s_barrier
	s_and_saveexec_b64 s[0:1], vcc
	s_cbranch_execz .LBB2_126
; %bb.124:
	v_mov_b32_e32 v1, 0x1000
	v_lshl_add_u32 v1, v0, 2, v1
	s_mov_b64 s[2:3], 0
	v_mov_b32_e32 v2, v0
.LBB2_125:                              ; =>This Inner Loop Header: Depth=1
	ds_read_b32 v3, v1
	v_add_u32_e32 v4, s29, v2
	v_ashrrev_i32_e32 v5, 31, v4
	v_lshl_add_u64 v[4:5], v[4:5], 2, s[10:11]
	v_add_u32_e32 v2, 0x100, v2
	s_waitcnt lgkmcnt(0)
	global_atomic_add_f32 v[4:5], v3, off
	v_cmp_le_i32_e32 vcc, s14, v2
	s_or_b64 s[2:3], vcc, s[2:3]
	v_add_u32_e32 v1, 0x400, v1
	s_andn2_b64 exec, exec, s[2:3]
	s_cbranch_execnz .LBB2_125
.LBB2_126:
	s_or_b64 exec, exec, s[0:1]
	s_mul_i32 s0, s6, s23
	s_sub_i32 s0, s28, s0
	s_add_i32 s1, s6, 1
	s_sub_i32 s2, s0, s23
	s_cmp_ge_u32 s0, s23
	s_cselect_b32 s1, s1, s6
	s_cselect_b32 s0, s2, s0
	s_add_i32 s2, s1, 1
	s_cmp_ge_u32 s0, s23
	s_cselect_b32 s0, s2, s1
	s_add_i32 s0, s0, -1
	s_ashr_i32 s1, s0, 1
	s_or_b32 s0, s1, s0
	s_ashr_i32 s1, s0, 2
	s_or_b32 s0, s1, s0
	;; [unrolled: 2-line block ×5, first 2 shown]
	s_add_i32 s0, s0, 1
	s_ashr_i32 s15, s0, 1
	v_add_u32_e32 v2, s20, v0
	s_cmp_gt_i32 s15, 1
	s_mov_b64 s[0:1], -1
	s_barrier
	s_cbranch_scc1 .LBB2_135
; %bb.127:
	v_cmp_gt_i32_e32 vcc, s21, v2
	s_and_saveexec_b64 s[0:1], vcc
	s_cbranch_execz .LBB2_134
; %bb.128:
	s_sub_i32 s2, s7, s21
	s_lshl_b32 s2, s2, 2
	s_add_i32 s16, s2, 0x1000
	s_lshl_b32 s2, s33, 2
	s_sub_i32 s17, 0, s2
	s_mov_b64 s[2:3], 0
	v_mov_b32_e32 v4, v2
	s_branch .LBB2_130
.LBB2_129:                              ;   in Loop: Header=BB2_130 Depth=1
	s_or_b64 exec, exec, s[6:7]
	v_lshl_add_u32 v3, v4, 2, s16
	ds_read_b32 v3, v3
	v_lshl_add_u64 v[6:7], v[4:5], 2, s[10:11]
	v_add_u32_e32 v4, s28, v4
	v_cmp_le_i32_e32 vcc, s21, v4
	s_or_b64 s[2:3], vcc, s[2:3]
	s_waitcnt lgkmcnt(0)
	v_add_f32_e32 v1, v1, v3
	global_atomic_add_f32 v[6:7], v1, off
	s_andn2_b64 exec, exec, s[2:3]
	s_cbranch_execz .LBB2_134
.LBB2_130:                              ; =>This Loop Header: Depth=1
                                        ;     Child Loop BB2_132 Depth 2
	v_ashrrev_i32_e32 v5, 31, v4
	v_lshl_add_u64 v[6:7], v[4:5], 2, s[12:13]
	global_load_dwordx2 v[6:7], v[6:7], off
	v_mov_b32_e32 v1, 0
	s_waitcnt vmcnt(0)
	v_cmp_lt_i32_e32 vcc, v6, v7
	s_and_saveexec_b64 s[6:7], vcc
	s_cbranch_execz .LBB2_129
; %bb.131:                              ;   in Loop: Header=BB2_130 Depth=1
	v_subrev_u32_e32 v3, s33, v7
	v_subrev_u32_e32 v7, s33, v6
	v_lshl_add_u32 v6, v6, 2, s17
	v_mov_b32_e32 v1, 0
	s_mov_b64 s[8:9], 0
.LBB2_132:                              ;   Parent Loop BB2_130 Depth=1
                                        ; =>  This Inner Loop Header: Depth=2
	ds_read_b32 v8, v6
	v_add_u32_e32 v7, 1, v7
	v_cmp_ge_i32_e32 vcc, v7, v3
	v_add_u32_e32 v6, 4, v6
	s_or_b64 s[8:9], vcc, s[8:9]
	s_waitcnt lgkmcnt(0)
	v_add_f32_e32 v1, v1, v8
	s_andn2_b64 exec, exec, s[8:9]
	s_cbranch_execnz .LBB2_132
; %bb.133:                              ;   in Loop: Header=BB2_130 Depth=1
	s_or_b64 exec, exec, s[8:9]
	s_branch .LBB2_129
.LBB2_134:
	s_or_b64 exec, exec, s[0:1]
	s_mov_b64 s[0:1], 0
.LBB2_135:
	s_andn2_b64 vcc, exec, s[0:1]
	s_cbranch_vccnz .LBB2_148
; %bb.136:
	v_cvt_f32_u32_e32 v1, s15
	s_sub_i32 s0, 0, s15
	v_rcp_iflag_f32_e32 v1, v1
	s_nop 0
	v_mul_f32_e32 v1, 0x4f7ffffe, v1
	v_cvt_u32_f32_e32 v1, v1
	v_mul_lo_u32 v3, s0, v1
	v_mul_hi_u32 v3, v1, v3
	v_add_u32_e32 v1, v1, v3
	v_mul_hi_u32 v1, v0, v1
	v_mul_lo_u32 v3, v1, s15
	v_sub_u32_e32 v3, v0, v3
	v_add_u32_e32 v4, 1, v1
	v_cmp_le_u32_e32 vcc, s15, v3
	s_nop 1
	v_cndmask_b32_e32 v1, v1, v4, vcc
	v_subrev_u32_e32 v4, s15, v3
	v_cndmask_b32_e32 v3, v3, v4, vcc
	v_add_u32_e32 v4, 1, v1
	v_cmp_le_u32_e32 vcc, s15, v3
	s_nop 1
	v_cndmask_b32_e32 v1, v1, v4, vcc
	v_lshlrev_b32_e32 v3, 2, v1
	global_load_dwordx2 v[4:5], v3, s[4:5]
	v_cmp_gt_i32_e32 vcc, s23, v1
	v_mov_b32_e32 v3, 0
	s_and_saveexec_b64 s[0:1], vcc
	s_cbranch_execz .LBB2_144
; %bb.137:
	s_abs_i32 s4, s15
	v_cvt_f32_u32_e32 v3, s4
	s_waitcnt vmcnt(0)
	v_subrev_u32_e32 v4, s33, v4
	v_subrev_u32_e32 v1, s33, v5
	v_sub_u32_e32 v5, v1, v4
	v_rcp_iflag_f32_e32 v3, v3
	s_sub_i32 s2, 0, s4
	v_sub_u32_e32 v6, 0, v5
	v_ashrrev_i32_e32 v8, 31, v5
	v_mul_f32_e32 v3, 0x4f7ffffe, v3
	v_cvt_u32_f32_e32 v3, v3
	v_max_i32_e32 v5, v5, v6
	s_ashr_i32 s5, s15, 31
	v_mul_lo_u32 v6, s2, v3
	v_mul_hi_u32 v6, v3, v6
	v_add_u32_e32 v3, v3, v6
	v_mad_u64_u32 v[6:7], s[2:3], v5, v3, 0
	v_mul_lo_u32 v6, v7, s4
	v_sub_u32_e32 v5, v5, v6
	v_add_u32_e32 v6, 1, v7
	v_cmp_le_u32_e32 vcc, s4, v5
	v_xor_b32_e32 v3, s5, v8
	s_add_i32 s2, s15, -1
	v_cndmask_b32_e32 v6, v7, v6, vcc
	v_subrev_u32_e32 v7, s4, v5
	v_cndmask_b32_e32 v5, v5, v7, vcc
	v_add_u32_e32 v7, 1, v6
	v_cmp_le_u32_e32 vcc, s4, v5
	s_nop 1
	v_cndmask_b32_e32 v5, v6, v7, vcc
	v_xor_b32_e32 v5, v5, v3
	v_sub_u32_e32 v5, v5, v3
	v_and_b32_e32 v7, s2, v0
	v_cmp_lt_i32_e32 vcc, 0, v5
	v_mov_b32_e32 v3, 0
	v_lshlrev_b32_e32 v6, 2, v7
	s_and_saveexec_b64 s[2:3], vcc
	s_cbranch_execz .LBB2_141
; %bb.138:
	v_lshl_add_u32 v8, v4, 2, v6
	s_lshl_b32 s6, s15, 2
	v_mov_b32_e32 v3, 0
	s_mov_b64 s[4:5], 0
	v_mov_b32_e32 v9, v5
.LBB2_139:                              ; =>This Inner Loop Header: Depth=1
	ds_read_b32 v11, v8
	v_add_u32_e32 v9, -1, v9
	v_cmp_eq_u32_e32 vcc, 0, v9
	v_add_u32_e32 v8, s6, v8
	s_or_b64 s[4:5], vcc, s[4:5]
	s_waitcnt lgkmcnt(0)
	v_add_f32_e32 v3, v3, v11
	s_andn2_b64 exec, exec, s[4:5]
	s_cbranch_execnz .LBB2_139
; %bb.140:
	s_or_b64 exec, exec, s[4:5]
.LBB2_141:
	s_or_b64 exec, exec, s[2:3]
	v_mad_u64_u32 v[4:5], s[2:3], v5, s15, v[4:5]
	v_sub_u32_e32 v1, v1, v4
	v_cmp_lt_i32_e32 vcc, v7, v1
	s_and_saveexec_b64 s[2:3], vcc
	s_cbranch_execz .LBB2_143
; %bb.142:
	v_lshl_add_u32 v1, v4, 2, v6
	ds_read_b32 v1, v1
	s_waitcnt lgkmcnt(0)
	v_add_f32_e32 v3, v3, v1
.LBB2_143:
	s_or_b64 exec, exec, s[2:3]
.LBB2_144:
	s_or_b64 exec, exec, s[0:1]
	v_cmp_gt_i32_e32 vcc, s23, v0
	s_barrier
	ds_write_b32 v10, v3
	s_waitcnt lgkmcnt(0)
	s_barrier
	s_and_saveexec_b64 s[0:1], vcc
	s_cbranch_execz .LBB2_148
; %bb.145:
	v_mul_lo_u32 v1, s15, v0
	v_lshlrev_b32_e32 v3, 2, v1
	v_mov_b32_e32 v1, 0
.LBB2_146:                              ; =>This Inner Loop Header: Depth=1
	s_waitcnt vmcnt(0)
	ds_read_b32 v4, v3
	s_add_i32 s15, s15, -1
	v_add_u32_e32 v3, 4, v3
	s_cmp_eq_u32 s15, 0
	s_waitcnt lgkmcnt(0)
	v_add_f32_e32 v1, v1, v4
	s_cbranch_scc0 .LBB2_146
; %bb.147:
	s_lshl_b32 s0, s14, 2
	s_addk_i32 s0, 0x1000
	v_lshl_add_u32 v0, v0, 2, s0
	ds_read_b32 v0, v0
	v_ashrrev_i32_e32 v3, 31, v2
	s_waitcnt lgkmcnt(0)
	v_add_f32_e32 v4, v1, v0
	v_lshl_add_u64 v[0:1], v[2:3], 2, s[10:11]
	global_atomic_add_f32 v[0:1], v4, off
.LBB2_148:
	s_endpgm
	.section	.rodata,"a",@progbits
	.p2align	6, 0x0
	.amdhsa_kernel _ZN9rocsparseL27csrmvn_symm_adaptive_kernelIiiffffEEvbT_S1_PKS1_NS_24const_host_device_scalarIT4_EES3_PKT0_PKT1_PKT2_S6_PT3_21rocsparse_index_base_b
		.amdhsa_group_segment_fixed_size 4096
		.amdhsa_private_segment_fixed_size 0
		.amdhsa_kernarg_size 344
		.amdhsa_user_sgpr_count 2
		.amdhsa_user_sgpr_dispatch_ptr 0
		.amdhsa_user_sgpr_queue_ptr 0
		.amdhsa_user_sgpr_kernarg_segment_ptr 1
		.amdhsa_user_sgpr_dispatch_id 0
		.amdhsa_user_sgpr_kernarg_preload_length 0
		.amdhsa_user_sgpr_kernarg_preload_offset 0
		.amdhsa_user_sgpr_private_segment_size 0
		.amdhsa_uses_dynamic_stack 0
		.amdhsa_enable_private_segment 0
		.amdhsa_system_sgpr_workgroup_id_x 1
		.amdhsa_system_sgpr_workgroup_id_y 0
		.amdhsa_system_sgpr_workgroup_id_z 0
		.amdhsa_system_sgpr_workgroup_info 0
		.amdhsa_system_vgpr_workitem_id 0
		.amdhsa_next_free_vgpr 16
		.amdhsa_next_free_sgpr 41
		.amdhsa_accum_offset 16
		.amdhsa_reserve_vcc 1
		.amdhsa_float_round_mode_32 0
		.amdhsa_float_round_mode_16_64 0
		.amdhsa_float_denorm_mode_32 3
		.amdhsa_float_denorm_mode_16_64 3
		.amdhsa_dx10_clamp 1
		.amdhsa_ieee_mode 1
		.amdhsa_fp16_overflow 0
		.amdhsa_tg_split 0
		.amdhsa_exception_fp_ieee_invalid_op 0
		.amdhsa_exception_fp_denorm_src 0
		.amdhsa_exception_fp_ieee_div_zero 0
		.amdhsa_exception_fp_ieee_overflow 0
		.amdhsa_exception_fp_ieee_underflow 0
		.amdhsa_exception_fp_ieee_inexact 0
		.amdhsa_exception_int_div_zero 0
	.end_amdhsa_kernel
	.section	.text._ZN9rocsparseL27csrmvn_symm_adaptive_kernelIiiffffEEvbT_S1_PKS1_NS_24const_host_device_scalarIT4_EES3_PKT0_PKT1_PKT2_S6_PT3_21rocsparse_index_base_b,"axG",@progbits,_ZN9rocsparseL27csrmvn_symm_adaptive_kernelIiiffffEEvbT_S1_PKS1_NS_24const_host_device_scalarIT4_EES3_PKT0_PKT1_PKT2_S6_PT3_21rocsparse_index_base_b,comdat
.Lfunc_end2:
	.size	_ZN9rocsparseL27csrmvn_symm_adaptive_kernelIiiffffEEvbT_S1_PKS1_NS_24const_host_device_scalarIT4_EES3_PKT0_PKT1_PKT2_S6_PT3_21rocsparse_index_base_b, .Lfunc_end2-_ZN9rocsparseL27csrmvn_symm_adaptive_kernelIiiffffEEvbT_S1_PKS1_NS_24const_host_device_scalarIT4_EES3_PKT0_PKT1_PKT2_S6_PT3_21rocsparse_index_base_b
                                        ; -- End function
	.set _ZN9rocsparseL27csrmvn_symm_adaptive_kernelIiiffffEEvbT_S1_PKS1_NS_24const_host_device_scalarIT4_EES3_PKT0_PKT1_PKT2_S6_PT3_21rocsparse_index_base_b.num_vgpr, 16
	.set _ZN9rocsparseL27csrmvn_symm_adaptive_kernelIiiffffEEvbT_S1_PKS1_NS_24const_host_device_scalarIT4_EES3_PKT0_PKT1_PKT2_S6_PT3_21rocsparse_index_base_b.num_agpr, 0
	.set _ZN9rocsparseL27csrmvn_symm_adaptive_kernelIiiffffEEvbT_S1_PKS1_NS_24const_host_device_scalarIT4_EES3_PKT0_PKT1_PKT2_S6_PT3_21rocsparse_index_base_b.numbered_sgpr, 41
	.set _ZN9rocsparseL27csrmvn_symm_adaptive_kernelIiiffffEEvbT_S1_PKS1_NS_24const_host_device_scalarIT4_EES3_PKT0_PKT1_PKT2_S6_PT3_21rocsparse_index_base_b.num_named_barrier, 0
	.set _ZN9rocsparseL27csrmvn_symm_adaptive_kernelIiiffffEEvbT_S1_PKS1_NS_24const_host_device_scalarIT4_EES3_PKT0_PKT1_PKT2_S6_PT3_21rocsparse_index_base_b.private_seg_size, 0
	.set _ZN9rocsparseL27csrmvn_symm_adaptive_kernelIiiffffEEvbT_S1_PKS1_NS_24const_host_device_scalarIT4_EES3_PKT0_PKT1_PKT2_S6_PT3_21rocsparse_index_base_b.uses_vcc, 1
	.set _ZN9rocsparseL27csrmvn_symm_adaptive_kernelIiiffffEEvbT_S1_PKS1_NS_24const_host_device_scalarIT4_EES3_PKT0_PKT1_PKT2_S6_PT3_21rocsparse_index_base_b.uses_flat_scratch, 0
	.set _ZN9rocsparseL27csrmvn_symm_adaptive_kernelIiiffffEEvbT_S1_PKS1_NS_24const_host_device_scalarIT4_EES3_PKT0_PKT1_PKT2_S6_PT3_21rocsparse_index_base_b.has_dyn_sized_stack, 0
	.set _ZN9rocsparseL27csrmvn_symm_adaptive_kernelIiiffffEEvbT_S1_PKS1_NS_24const_host_device_scalarIT4_EES3_PKT0_PKT1_PKT2_S6_PT3_21rocsparse_index_base_b.has_recursion, 0
	.set _ZN9rocsparseL27csrmvn_symm_adaptive_kernelIiiffffEEvbT_S1_PKS1_NS_24const_host_device_scalarIT4_EES3_PKT0_PKT1_PKT2_S6_PT3_21rocsparse_index_base_b.has_indirect_call, 0
	.section	.AMDGPU.csdata,"",@progbits
; Kernel info:
; codeLenInByte = 5448
; TotalNumSgprs: 47
; NumVgprs: 16
; NumAgprs: 0
; TotalNumVgprs: 16
; ScratchSize: 0
; MemoryBound: 0
; FloatMode: 240
; IeeeMode: 1
; LDSByteSize: 4096 bytes/workgroup (compile time only)
; SGPRBlocks: 5
; VGPRBlocks: 1
; NumSGPRsForWavesPerEU: 47
; NumVGPRsForWavesPerEU: 16
; AccumOffset: 16
; Occupancy: 8
; WaveLimiterHint : 1
; COMPUTE_PGM_RSRC2:SCRATCH_EN: 0
; COMPUTE_PGM_RSRC2:USER_SGPR: 2
; COMPUTE_PGM_RSRC2:TRAP_HANDLER: 0
; COMPUTE_PGM_RSRC2:TGID_X_EN: 1
; COMPUTE_PGM_RSRC2:TGID_Y_EN: 0
; COMPUTE_PGM_RSRC2:TGID_Z_EN: 0
; COMPUTE_PGM_RSRC2:TIDIG_COMP_CNT: 0
; COMPUTE_PGM_RSRC3_GFX90A:ACCUM_OFFSET: 3
; COMPUTE_PGM_RSRC3_GFX90A:TG_SPLIT: 0
	.section	.text._ZL33csrmvn_symm_large_adaptive_kernelIiiffffEvbT_PKS0_N9rocsparse24const_host_device_scalarIT4_EES2_PKT0_PKT1_PKT2_S6_PT3_21rocsparse_index_base_b,"axG",@progbits,_ZL33csrmvn_symm_large_adaptive_kernelIiiffffEvbT_PKS0_N9rocsparse24const_host_device_scalarIT4_EES2_PKT0_PKT1_PKT2_S6_PT3_21rocsparse_index_base_b,comdat
	.globl	_ZL33csrmvn_symm_large_adaptive_kernelIiiffffEvbT_PKS0_N9rocsparse24const_host_device_scalarIT4_EES2_PKT0_PKT1_PKT2_S6_PT3_21rocsparse_index_base_b ; -- Begin function _ZL33csrmvn_symm_large_adaptive_kernelIiiffffEvbT_PKS0_N9rocsparse24const_host_device_scalarIT4_EES2_PKT0_PKT1_PKT2_S6_PT3_21rocsparse_index_base_b
	.p2align	8
	.type	_ZL33csrmvn_symm_large_adaptive_kernelIiiffffEvbT_PKS0_N9rocsparse24const_host_device_scalarIT4_EES2_PKT0_PKT1_PKT2_S6_PT3_21rocsparse_index_base_b,@function
_ZL33csrmvn_symm_large_adaptive_kernelIiiffffEvbT_PKS0_N9rocsparse24const_host_device_scalarIT4_EES2_PKT0_PKT1_PKT2_S6_PT3_21rocsparse_index_base_b: ; @_ZL33csrmvn_symm_large_adaptive_kernelIiiffffEvbT_PKS0_N9rocsparse24const_host_device_scalarIT4_EES2_PKT0_PKT1_PKT2_S6_PT3_21rocsparse_index_base_b
; %bb.0:
	s_load_dwordx2 s[16:17], s[0:1], 0x48
	s_load_dwordx2 s[18:19], s[0:1], 0x10
	;; [unrolled: 1-line block ×3, first 2 shown]
	s_waitcnt lgkmcnt(0)
	s_bitcmp1_b32 s17, 0
	s_cselect_b64 s[8:9], -1, 0
	s_xor_b64 s[6:7], s[8:9], -1
	s_and_b64 vcc, exec, s[8:9]
	s_cbranch_vccnz .LBB3_2
; %bb.1:
	s_load_dword s18, s[18:19], 0x0
.LBB3_2:
	s_andn2_b64 vcc, exec, s[6:7]
	s_cbranch_vccnz .LBB3_4
; %bb.3:
	s_load_dword s4, s[4:5], 0x0
.LBB3_4:
	s_waitcnt lgkmcnt(0)
	v_cmp_neq_f32_e64 s[6:7], s18, 0
	v_cmp_neq_f32_e64 s[4:5], s4, 1.0
	s_or_b64 s[4:5], s[6:7], s[4:5]
	s_andn2_b64 vcc, exec, s[4:5]
	s_cbranch_vccnz .LBB3_32
; %bb.5:
	s_load_dwordx2 s[4:5], s[0:1], 0x8
	s_ashr_i32 s3, s2, 31
	s_lshl_b64 s[2:3], s[2:3], 2
	v_lshlrev_b32_e32 v7, 2, v0
	v_mov_b32_e32 v8, 0
	s_waitcnt lgkmcnt(0)
	s_add_u32 s2, s4, s2
	s_addc_u32 s3, s5, s3
	ds_write2st64_b32 v7, v8, v8 offset1:4
	ds_write2st64_b32 v7, v8, v8 offset0:8 offset1:12
	s_waitcnt lgkmcnt(0)
	s_barrier
	s_load_dwordx2 s[20:21], s[2:3], 0x0
	s_load_dwordx8 s[8:15], s[0:1], 0x18
	s_load_dwordx2 s[22:23], s[0:1], 0x40
	v_subrev_u32_e32 v6, s16, v0
	s_waitcnt lgkmcnt(0)
	s_cmp_ge_i32 s20, s21
	s_cbranch_scc1 .LBB3_23
; %bb.6:
	v_cmp_gt_u32_e32 vcc, 64, v0
	v_cmp_gt_u32_e64 s[0:1], 16, v0
	v_cmp_gt_u32_e64 s[2:3], 4, v0
	v_cmp_eq_u32_e64 s[4:5], 0, v0
	s_mov_b64 s[24:25], 0x400
	s_mov_b32 s26, s20
	s_branch .LBB3_8
.LBB3_7:                                ;   in Loop: Header=BB3_8 Depth=1
	s_or_b64 exec, exec, s[30:31]
	s_add_i32 s26, s26, 1
	s_cmp_ge_i32 s26, s21
	s_cbranch_scc1 .LBB3_23
.LBB3_8:                                ; =>This Loop Header: Depth=1
                                        ;     Child Loop BB3_10 Depth 2
	s_ashr_i32 s27, s26, 31
	s_lshl_b64 s[28:29], s[26:27], 2
	s_add_u32 s6, s8, s28
	s_addc_u32 s7, s9, s29
	s_load_dwordx2 s[30:31], s[6:7], 0x0
	v_mov_b32_e32 v1, 0
	s_waitcnt lgkmcnt(0)
	v_add_u32_e32 v0, s30, v6
	s_sub_i32 s17, s31, s16
	v_cmp_gt_i32_e64 s[6:7], s17, v0
	s_and_saveexec_b64 s[30:31], s[6:7]
	s_cbranch_execz .LBB3_12
; %bb.9:                                ;   in Loop: Header=BB3_8 Depth=1
	v_ashrrev_i32_e32 v1, 31, v0
	v_lshlrev_b64 v[4:5], 2, v[0:1]
	v_lshl_add_u64 v[2:3], s[10:11], 0, v[4:5]
	v_lshl_add_u64 v[4:5], s[12:13], 0, v[4:5]
	v_mov_b32_e32 v1, 0
	s_mov_b64 s[34:35], 0
.LBB3_10:                               ;   Parent Loop BB3_8 Depth=1
                                        ; =>  This Inner Loop Header: Depth=2
	global_load_dword v9, v[2:3], off
	global_load_dword v12, v[4:5], off
	v_add_u32_e32 v0, 0x100, v0
	v_cmp_le_i32_e64 s[6:7], s17, v0
	v_lshl_add_u64 v[2:3], v[2:3], 0, s[24:25]
	v_lshl_add_u64 v[4:5], v[4:5], 0, s[24:25]
	s_or_b64 s[34:35], s[6:7], s[34:35]
	s_waitcnt vmcnt(1)
	v_subrev_u32_e32 v10, s16, v9
	v_ashrrev_i32_e32 v11, 31, v10
	v_lshl_add_u64 v[10:11], v[10:11], 2, s[14:15]
	global_load_dword v9, v[10:11], off
	s_waitcnt vmcnt(0)
	v_fmac_f32_e32 v1, v12, v9
	s_andn2_b64 exec, exec, s[34:35]
	s_cbranch_execnz .LBB3_10
; %bb.11:                               ;   in Loop: Header=BB3_8 Depth=1
	s_or_b64 exec, exec, s[34:35]
.LBB3_12:                               ;   in Loop: Header=BB3_8 Depth=1
	s_or_b64 exec, exec, s[30:31]
	ds_write_b32 v7, v1
	s_waitcnt lgkmcnt(0)
	s_barrier
	ds_read2st64_b32 v[0:1], v7 offset1:4
	ds_read2st64_b32 v[2:3], v7 offset0:8 offset1:12
	s_waitcnt lgkmcnt(0)
	v_add_f32_e32 v1, v1, v2
	v_add_f32_e32 v1, v1, v3
	;; [unrolled: 1-line block ×3, first 2 shown]
	ds_write_b32 v7, v0
	s_waitcnt lgkmcnt(0)
	s_barrier
	s_and_saveexec_b64 s[6:7], vcc
	s_cbranch_execz .LBB3_14
; %bb.13:                               ;   in Loop: Header=BB3_8 Depth=1
	ds_read2st64_b32 v[0:1], v7 offset1:1
	ds_read2st64_b32 v[2:3], v7 offset0:2 offset1:3
	s_waitcnt lgkmcnt(0)
	v_add_f32_e32 v1, v1, v2
	v_add_f32_e32 v1, v1, v3
	;; [unrolled: 1-line block ×3, first 2 shown]
	ds_write_b32 v7, v0
.LBB3_14:                               ;   in Loop: Header=BB3_8 Depth=1
	s_or_b64 exec, exec, s[6:7]
	s_waitcnt lgkmcnt(0)
	s_barrier
	s_and_saveexec_b64 s[6:7], s[0:1]
	s_cbranch_execz .LBB3_16
; %bb.15:                               ;   in Loop: Header=BB3_8 Depth=1
	ds_read2_b32 v[0:1], v7 offset1:16
	ds_read2_b32 v[2:3], v7 offset0:32 offset1:48
	s_waitcnt lgkmcnt(0)
	v_add_f32_e32 v1, v1, v2
	v_add_f32_e32 v1, v1, v3
	;; [unrolled: 1-line block ×3, first 2 shown]
	ds_write_b32 v7, v0
.LBB3_16:                               ;   in Loop: Header=BB3_8 Depth=1
	s_or_b64 exec, exec, s[6:7]
	s_waitcnt lgkmcnt(0)
	s_barrier
	s_and_saveexec_b64 s[6:7], s[2:3]
	s_cbranch_execz .LBB3_18
; %bb.17:                               ;   in Loop: Header=BB3_8 Depth=1
	ds_read2_b32 v[0:1], v7 offset1:4
	ds_read2_b32 v[2:3], v7 offset0:8 offset1:12
	s_waitcnt lgkmcnt(0)
	v_add_f32_e32 v1, v1, v2
	v_add_f32_e32 v1, v1, v3
	;; [unrolled: 1-line block ×3, first 2 shown]
	ds_write_b32 v7, v0
.LBB3_18:                               ;   in Loop: Header=BB3_8 Depth=1
	s_or_b64 exec, exec, s[6:7]
	s_waitcnt lgkmcnt(0)
	s_barrier
	s_and_saveexec_b64 s[6:7], s[4:5]
	s_cbranch_execz .LBB3_20
; %bb.19:                               ;   in Loop: Header=BB3_8 Depth=1
	ds_read2_b32 v[0:1], v8 offset0:1 offset1:2
	ds_read_b32 v2, v8 offset:12
	ds_read_b32 v3, v7
	s_waitcnt lgkmcnt(2)
	v_add_f32_e32 v0, v0, v1
	s_waitcnt lgkmcnt(1)
	v_add_f32_e32 v0, v0, v2
	;; [unrolled: 2-line block ×3, first 2 shown]
	ds_write_b32 v7, v0
.LBB3_20:                               ;   in Loop: Header=BB3_8 Depth=1
	s_or_b64 exec, exec, s[6:7]
	s_waitcnt lgkmcnt(0)
	s_barrier
	s_and_saveexec_b64 s[30:31], s[4:5]
	s_cbranch_execz .LBB3_7
; %bb.21:                               ;   in Loop: Header=BB3_8 Depth=1
	s_mov_b64 s[34:35], exec
	v_mbcnt_lo_u32_b32 v0, s34, 0
	v_mbcnt_hi_u32_b32 v0, s35, v0
	v_cmp_eq_u32_e64 s[6:7], 0, v0
	s_and_b64 s[6:7], exec, s[6:7]
	s_mov_b64 exec, s[6:7]
	s_cbranch_execz .LBB3_7
; %bb.22:                               ;   in Loop: Header=BB3_8 Depth=1
	ds_read_b32 v0, v8
	s_add_u32 s6, s22, s28
	s_addc_u32 s7, s23, s29
	s_bcnt1_i32_b64 s17, s[34:35]
	v_cvt_f32_ubyte0_e32 v1, s17
	s_waitcnt lgkmcnt(0)
	v_mul_f32_e32 v0, s18, v0
	v_mul_f32_e32 v0, v0, v1
	global_atomic_add_f32 v8, v0, s[6:7]
	s_branch .LBB3_7
.LBB3_23:
	s_ashr_i32 s1, s20, 31
	s_mov_b32 s0, s20
	s_lshl_b64 s[0:1], s[0:1], 2
	s_add_u32 s0, s8, s0
	s_addc_u32 s1, s9, s1
	s_ashr_i32 s3, s21, 31
	s_mov_b32 s2, s21
	s_lshl_b64 s[2:3], s[2:3], 2
	s_add_u32 s2, s8, s2
	s_addc_u32 s3, s9, s3
	s_load_dword s4, s[2:3], 0x0
	s_load_dword s5, s[0:1], 0x0
	s_waitcnt lgkmcnt(0)
	s_sub_i32 s17, s4, s16
	v_add_u32_e32 v0, s5, v6
	v_cmp_gt_i32_e32 vcc, s17, v0
	s_and_saveexec_b64 s[0:1], vcc
	s_cbranch_execz .LBB3_32
; %bb.24:
	s_add_i32 s19, s21, -1
	s_cmp_lt_i32 s20, s19
	s_cselect_b64 s[0:1], -1, 0
	s_add_i32 s2, s21, -2
	s_cmp_lg_u32 s20, s2
	s_cselect_b64 s[2:3], -1, 0
	s_and_b64 s[0:1], s[0:1], s[2:3]
	v_cndmask_b32_e64 v1, 0, 1, s[0:1]
	s_mov_b64 s[4:5], 0
	v_cmp_ne_u32_e64 s[0:1], 1, v1
	s_branch .LBB3_26
.LBB3_25:                               ;   in Loop: Header=BB3_26 Depth=1
	s_or_b64 exec, exec, s[2:3]
	v_add_u32_e32 v0, 0x100, v0
	v_cmp_le_i32_e32 vcc, s17, v0
	s_or_b64 s[4:5], vcc, s[4:5]
	s_andn2_b64 exec, exec, s[4:5]
	s_cbranch_execz .LBB3_32
.LBB3_26:                               ; =>This Loop Header: Depth=1
                                        ;     Child Loop BB3_28 Depth 2
	s_and_b64 vcc, exec, s[0:1]
	v_mov_b32_e32 v4, s20
	v_mov_b32_e32 v2, s19
	s_cbranch_vccnz .LBB3_30
; %bb.27:                               ;   in Loop: Header=BB3_26 Depth=1
	s_mov_b64 s[6:7], 0
	v_mov_b32_e32 v4, s20
	v_mov_b32_e32 v2, s19
.LBB3_28:                               ;   Parent Loop BB3_26 Depth=1
                                        ; =>  This Inner Loop Header: Depth=2
	v_add_u32_e32 v1, v2, v4
	v_lshrrev_b32_e32 v3, 31, v1
	v_add_u32_e32 v1, v1, v3
	v_ashrrev_i32_e32 v6, 1, v1
	v_ashrrev_i32_e32 v7, 31, v6
	v_lshl_add_u64 v[8:9], v[6:7], 2, s[8:9]
	global_load_dword v1, v[8:9], off
	s_waitcnt vmcnt(0)
	v_subrev_u32_e32 v1, s16, v1
	v_cmp_lt_i32_e32 vcc, v0, v1
	s_nop 1
	v_cndmask_b32_e32 v2, v2, v6, vcc
	v_cndmask_b32_e32 v4, v6, v4, vcc
	v_add_u32_e32 v1, -1, v2
	v_cmp_ge_i32_e32 vcc, v4, v2
	v_cmp_eq_u32_e64 s[2:3], v4, v1
	s_or_b64 s[2:3], vcc, s[2:3]
	s_and_b64 s[2:3], exec, s[2:3]
	s_or_b64 s[6:7], s[2:3], s[6:7]
	s_andn2_b64 exec, exec, s[6:7]
	s_cbranch_execnz .LBB3_28
; %bb.29:                               ;   in Loop: Header=BB3_26 Depth=1
	s_or_b64 exec, exec, s[6:7]
.LBB3_30:                               ;   in Loop: Header=BB3_26 Depth=1
	v_ashrrev_i32_e32 v3, 31, v2
	v_lshl_add_u64 v[6:7], v[2:3], 2, s[8:9]
	global_load_dword v3, v[6:7], off
	v_ashrrev_i32_e32 v1, 31, v0
	v_lshl_add_u64 v[6:7], v[0:1], 2, s[10:11]
	global_load_dword v5, v[6:7], off
	s_waitcnt vmcnt(1)
	v_subrev_u32_e32 v3, s16, v3
	v_cmp_lt_i32_e32 vcc, v0, v3
	s_nop 1
	v_cndmask_b32_e32 v4, v2, v4, vcc
	s_waitcnt vmcnt(0)
	v_subrev_u32_e32 v2, s16, v5
	v_cmp_ne_u32_e32 vcc, v2, v4
	s_and_saveexec_b64 s[2:3], vcc
	s_cbranch_execz .LBB3_25
; %bb.31:                               ;   in Loop: Header=BB3_26 Depth=1
	v_lshl_add_u64 v[6:7], v[0:1], 2, s[12:13]
	v_ashrrev_i32_e32 v5, 31, v4
	global_load_dword v1, v[6:7], off
	v_lshl_add_u64 v[4:5], v[4:5], 2, s[14:15]
	global_load_dword v4, v[4:5], off
	v_ashrrev_i32_e32 v3, 31, v2
	v_lshl_add_u64 v[2:3], v[2:3], 2, s[22:23]
	s_waitcnt vmcnt(1)
	v_mul_f32_e32 v1, s18, v1
	s_waitcnt vmcnt(0)
	v_mul_f32_e32 v1, v1, v4
	global_atomic_add_f32 v[2:3], v1, off
	s_branch .LBB3_25
.LBB3_32:
	s_endpgm
	.section	.rodata,"a",@progbits
	.p2align	6, 0x0
	.amdhsa_kernel _ZL33csrmvn_symm_large_adaptive_kernelIiiffffEvbT_PKS0_N9rocsparse24const_host_device_scalarIT4_EES2_PKT0_PKT1_PKT2_S6_PT3_21rocsparse_index_base_b
		.amdhsa_group_segment_fixed_size 4096
		.amdhsa_private_segment_fixed_size 0
		.amdhsa_kernarg_size 80
		.amdhsa_user_sgpr_count 2
		.amdhsa_user_sgpr_dispatch_ptr 0
		.amdhsa_user_sgpr_queue_ptr 0
		.amdhsa_user_sgpr_kernarg_segment_ptr 1
		.amdhsa_user_sgpr_dispatch_id 0
		.amdhsa_user_sgpr_kernarg_preload_length 0
		.amdhsa_user_sgpr_kernarg_preload_offset 0
		.amdhsa_user_sgpr_private_segment_size 0
		.amdhsa_uses_dynamic_stack 0
		.amdhsa_enable_private_segment 0
		.amdhsa_system_sgpr_workgroup_id_x 1
		.amdhsa_system_sgpr_workgroup_id_y 0
		.amdhsa_system_sgpr_workgroup_id_z 0
		.amdhsa_system_sgpr_workgroup_info 0
		.amdhsa_system_vgpr_workitem_id 0
		.amdhsa_next_free_vgpr 13
		.amdhsa_next_free_sgpr 36
		.amdhsa_accum_offset 16
		.amdhsa_reserve_vcc 1
		.amdhsa_float_round_mode_32 0
		.amdhsa_float_round_mode_16_64 0
		.amdhsa_float_denorm_mode_32 3
		.amdhsa_float_denorm_mode_16_64 3
		.amdhsa_dx10_clamp 1
		.amdhsa_ieee_mode 1
		.amdhsa_fp16_overflow 0
		.amdhsa_tg_split 0
		.amdhsa_exception_fp_ieee_invalid_op 0
		.amdhsa_exception_fp_denorm_src 0
		.amdhsa_exception_fp_ieee_div_zero 0
		.amdhsa_exception_fp_ieee_overflow 0
		.amdhsa_exception_fp_ieee_underflow 0
		.amdhsa_exception_fp_ieee_inexact 0
		.amdhsa_exception_int_div_zero 0
	.end_amdhsa_kernel
	.section	.text._ZL33csrmvn_symm_large_adaptive_kernelIiiffffEvbT_PKS0_N9rocsparse24const_host_device_scalarIT4_EES2_PKT0_PKT1_PKT2_S6_PT3_21rocsparse_index_base_b,"axG",@progbits,_ZL33csrmvn_symm_large_adaptive_kernelIiiffffEvbT_PKS0_N9rocsparse24const_host_device_scalarIT4_EES2_PKT0_PKT1_PKT2_S6_PT3_21rocsparse_index_base_b,comdat
.Lfunc_end3:
	.size	_ZL33csrmvn_symm_large_adaptive_kernelIiiffffEvbT_PKS0_N9rocsparse24const_host_device_scalarIT4_EES2_PKT0_PKT1_PKT2_S6_PT3_21rocsparse_index_base_b, .Lfunc_end3-_ZL33csrmvn_symm_large_adaptive_kernelIiiffffEvbT_PKS0_N9rocsparse24const_host_device_scalarIT4_EES2_PKT0_PKT1_PKT2_S6_PT3_21rocsparse_index_base_b
                                        ; -- End function
	.set _ZL33csrmvn_symm_large_adaptive_kernelIiiffffEvbT_PKS0_N9rocsparse24const_host_device_scalarIT4_EES2_PKT0_PKT1_PKT2_S6_PT3_21rocsparse_index_base_b.num_vgpr, 13
	.set _ZL33csrmvn_symm_large_adaptive_kernelIiiffffEvbT_PKS0_N9rocsparse24const_host_device_scalarIT4_EES2_PKT0_PKT1_PKT2_S6_PT3_21rocsparse_index_base_b.num_agpr, 0
	.set _ZL33csrmvn_symm_large_adaptive_kernelIiiffffEvbT_PKS0_N9rocsparse24const_host_device_scalarIT4_EES2_PKT0_PKT1_PKT2_S6_PT3_21rocsparse_index_base_b.numbered_sgpr, 36
	.set _ZL33csrmvn_symm_large_adaptive_kernelIiiffffEvbT_PKS0_N9rocsparse24const_host_device_scalarIT4_EES2_PKT0_PKT1_PKT2_S6_PT3_21rocsparse_index_base_b.num_named_barrier, 0
	.set _ZL33csrmvn_symm_large_adaptive_kernelIiiffffEvbT_PKS0_N9rocsparse24const_host_device_scalarIT4_EES2_PKT0_PKT1_PKT2_S6_PT3_21rocsparse_index_base_b.private_seg_size, 0
	.set _ZL33csrmvn_symm_large_adaptive_kernelIiiffffEvbT_PKS0_N9rocsparse24const_host_device_scalarIT4_EES2_PKT0_PKT1_PKT2_S6_PT3_21rocsparse_index_base_b.uses_vcc, 1
	.set _ZL33csrmvn_symm_large_adaptive_kernelIiiffffEvbT_PKS0_N9rocsparse24const_host_device_scalarIT4_EES2_PKT0_PKT1_PKT2_S6_PT3_21rocsparse_index_base_b.uses_flat_scratch, 0
	.set _ZL33csrmvn_symm_large_adaptive_kernelIiiffffEvbT_PKS0_N9rocsparse24const_host_device_scalarIT4_EES2_PKT0_PKT1_PKT2_S6_PT3_21rocsparse_index_base_b.has_dyn_sized_stack, 0
	.set _ZL33csrmvn_symm_large_adaptive_kernelIiiffffEvbT_PKS0_N9rocsparse24const_host_device_scalarIT4_EES2_PKT0_PKT1_PKT2_S6_PT3_21rocsparse_index_base_b.has_recursion, 0
	.set _ZL33csrmvn_symm_large_adaptive_kernelIiiffffEvbT_PKS0_N9rocsparse24const_host_device_scalarIT4_EES2_PKT0_PKT1_PKT2_S6_PT3_21rocsparse_index_base_b.has_indirect_call, 0
	.section	.AMDGPU.csdata,"",@progbits
; Kernel info:
; codeLenInByte = 1324
; TotalNumSgprs: 42
; NumVgprs: 13
; NumAgprs: 0
; TotalNumVgprs: 13
; ScratchSize: 0
; MemoryBound: 0
; FloatMode: 240
; IeeeMode: 1
; LDSByteSize: 4096 bytes/workgroup (compile time only)
; SGPRBlocks: 5
; VGPRBlocks: 1
; NumSGPRsForWavesPerEU: 42
; NumVGPRsForWavesPerEU: 13
; AccumOffset: 16
; Occupancy: 8
; WaveLimiterHint : 1
; COMPUTE_PGM_RSRC2:SCRATCH_EN: 0
; COMPUTE_PGM_RSRC2:USER_SGPR: 2
; COMPUTE_PGM_RSRC2:TRAP_HANDLER: 0
; COMPUTE_PGM_RSRC2:TGID_X_EN: 1
; COMPUTE_PGM_RSRC2:TGID_Y_EN: 0
; COMPUTE_PGM_RSRC2:TGID_Z_EN: 0
; COMPUTE_PGM_RSRC2:TIDIG_COMP_CNT: 0
; COMPUTE_PGM_RSRC3_GFX90A:ACCUM_OFFSET: 3
; COMPUTE_PGM_RSRC3_GFX90A:TG_SPLIT: 0
	.section	.text._ZN9rocsparseL22csrmvn_adaptive_kernelIliffffEEvbT_PKS1_PjPKT0_NS_24const_host_device_scalarIT4_EES3_S7_PKT1_PKT2_SA_PT3_21rocsparse_index_base_b,"axG",@progbits,_ZN9rocsparseL22csrmvn_adaptive_kernelIliffffEEvbT_PKS1_PjPKT0_NS_24const_host_device_scalarIT4_EES3_S7_PKT1_PKT2_SA_PT3_21rocsparse_index_base_b,comdat
	.globl	_ZN9rocsparseL22csrmvn_adaptive_kernelIliffffEEvbT_PKS1_PjPKT0_NS_24const_host_device_scalarIT4_EES3_S7_PKT1_PKT2_SA_PT3_21rocsparse_index_base_b ; -- Begin function _ZN9rocsparseL22csrmvn_adaptive_kernelIliffffEEvbT_PKS1_PjPKT0_NS_24const_host_device_scalarIT4_EES3_S7_PKT1_PKT2_SA_PT3_21rocsparse_index_base_b
	.p2align	8
	.type	_ZN9rocsparseL22csrmvn_adaptive_kernelIliffffEEvbT_PKS1_PjPKT0_NS_24const_host_device_scalarIT4_EES3_S7_PKT1_PKT2_SA_PT3_21rocsparse_index_base_b,@function
_ZN9rocsparseL22csrmvn_adaptive_kernelIliffffEEvbT_PKS1_PjPKT0_NS_24const_host_device_scalarIT4_EES3_S7_PKT1_PKT2_SA_PT3_21rocsparse_index_base_b: ; @_ZN9rocsparseL22csrmvn_adaptive_kernelIliffffEEvbT_PKS1_PjPKT0_NS_24const_host_device_scalarIT4_EES3_S7_PKT1_PKT2_SA_PT3_21rocsparse_index_base_b
; %bb.0:
	s_load_dwordx2 s[46:47], s[0:1], 0x60
	s_load_dwordx2 s[44:45], s[0:1], 0x28
	;; [unrolled: 1-line block ×3, first 2 shown]
	s_waitcnt lgkmcnt(0)
	s_bitcmp1_b32 s47, 0
	s_cselect_b64 s[6:7], -1, 0
	s_xor_b64 s[4:5], s[6:7], -1
	s_and_b64 vcc, exec, s[6:7]
	s_cbranch_vccnz .LBB4_2
; %bb.1:
	s_load_dword s44, s[44:45], 0x0
.LBB4_2:
	s_andn2_b64 vcc, exec, s[4:5]
	s_cbranch_vccnz .LBB4_4
; %bb.3:
	s_load_dword s22, s[22:23], 0x0
.LBB4_4:
	s_waitcnt lgkmcnt(0)
	v_cmp_neq_f32_e64 s[4:5], s44, 0
	v_cmp_neq_f32_e64 s[6:7], s22, 1.0
	s_or_b64 s[4:5], s[4:5], s[6:7]
	s_andn2_b64 vcc, exec, s[4:5]
	s_cbranch_vccnz .LBB4_120
; %bb.5:
	s_load_dwordx2 s[4:5], s[0:1], 0x10
	s_load_dwordx2 s[6:7], s[0:1], 0x20
	s_ashr_i32 s3, s2, 31
	s_lshl_b64 s[8:9], s[2:3], 3
	s_waitcnt lgkmcnt(0)
	s_add_u32 s4, s4, s8
	s_addc_u32 s5, s5, s9
	s_load_dwordx4 s[36:39], s[4:5], 0x0
	s_load_dwordx2 s[34:35], s[0:1], 0x58
	s_load_dwordx8 s[24:31], s[0:1], 0x30
	s_lshl_b64 s[48:49], s[2:3], 2
	s_waitcnt lgkmcnt(0)
	s_sub_i32 s3, s38, s36
	s_add_u32 s4, s6, s48
	s_addc_u32 s5, s7, s49
	s_lshl_b64 s[6:7], s[36:37], 3
	s_add_u32 s40, s24, s6
	s_addc_u32 s41, s25, s7
	s_load_dword s23, s[4:5], 0x0
	s_load_dwordx2 s[42:43], s[40:41], 0x0
	s_cmp_lt_i32 s3, 2
	s_mov_b64 s[4:5], -1
	s_cbranch_scc0 .LBB4_71
; %bb.6:
	s_cmp_lg_u32 s3, 1
	s_cselect_b64 s[4:5], -1, 0
	s_waitcnt lgkmcnt(0)
	s_cmp_lg_u32 s23, 0
	s_cselect_b64 s[6:7], -1, 0
	s_or_b64 s[6:7], s[4:5], s[6:7]
	s_mov_b64 s[4:5], -1
	s_and_b64 vcc, exec, s[6:7]
	s_cbranch_vccnz .LBB4_35
; %bb.7:
	v_mov_b64_e32 v[2:3], s[36:37]
	v_cmp_le_i64_e32 vcc, s[38:39], v[2:3]
	s_cbranch_vccnz .LBB4_34
; %bb.8:
	v_subrev_co_u32_e32 v2, vcc, s46, v0
	v_cmp_neq_f32_e64 s[20:21], s22, 0
	s_nop 0
	v_subb_co_u32_e64 v3, s[4:5], 0, 0, vcc
	s_movk_i32 s3, 0x80
	v_cndmask_b32_e64 v4, 0, 1, s[20:21]
	v_mov_b32_e32 v1, 0
	v_lshlrev_b32_e32 v12, 2, v0
	v_cmp_gt_u32_e64 s[4:5], s3, v0
	v_cmp_gt_u32_e64 s[6:7], 64, v0
	;; [unrolled: 1-line block ×7, first 2 shown]
	v_cmp_eq_u32_e64 s[18:19], 0, v0
	s_mov_b64 s[50:51], 0x100
	s_mov_b64 s[52:53], 0x400
	v_cmp_ne_u32_e64 s[20:21], 1, v4
	v_mov_b64_e32 v[4:5], s[38:39]
	s_mov_b64 s[54:55], s[36:37]
	s_branch .LBB4_11
.LBB4_9:                                ;   in Loop: Header=BB4_11 Depth=1
	s_lshl_b64 s[58:59], s[54:55], 2
	s_add_u32 s58, s34, s58
	s_addc_u32 s59, s35, s59
	s_waitcnt lgkmcnt(0)
	global_store_dword v1, v6, s[58:59]
.LBB4_10:                               ;   in Loop: Header=BB4_11 Depth=1
	s_or_b64 exec, exec, s[56:57]
	s_add_u32 s54, s54, 1
	s_addc_u32 s55, s55, 0
	v_cmp_ge_i64_e32 vcc, s[54:55], v[4:5]
	s_cbranch_vccnz .LBB4_34
.LBB4_11:                               ; =>This Loop Header: Depth=1
                                        ;     Child Loop BB4_13 Depth 2
	s_lshl_b64 s[56:57], s[54:55], 3
	s_add_u32 s56, s24, s56
	s_addc_u32 s57, s25, s57
	s_load_dwordx4 s[60:63], s[56:57], 0x0
	v_mov_b32_e32 v13, 0
	s_waitcnt lgkmcnt(0)
	s_sub_u32 s56, s62, s46
	v_lshl_add_u64 v[6:7], s[60:61], 0, v[2:3]
	s_subb_u32 s57, s63, 0
	v_cmp_gt_i64_e32 vcc, s[56:57], v[6:7]
	s_and_saveexec_b64 s[58:59], vcc
	s_cbranch_execz .LBB4_15
; %bb.12:                               ;   in Loop: Header=BB4_11 Depth=1
	v_lshlrev_b64 v[10:11], 2, v[6:7]
	v_lshl_add_u64 v[8:9], s[28:29], 0, v[10:11]
	v_lshl_add_u64 v[10:11], s[26:27], 0, v[10:11]
	v_mov_b32_e32 v13, 0
	s_mov_b64 s[60:61], 0
.LBB4_13:                               ;   Parent Loop BB4_11 Depth=1
                                        ; =>  This Inner Loop Header: Depth=2
	global_load_dword v14, v[10:11], off
	global_load_dword v16, v[8:9], off
	v_lshl_add_u64 v[6:7], v[6:7], 0, s[50:51]
	v_cmp_le_i64_e32 vcc, s[56:57], v[6:7]
	v_lshl_add_u64 v[8:9], v[8:9], 0, s[52:53]
	v_lshl_add_u64 v[10:11], v[10:11], 0, s[52:53]
	s_or_b64 s[60:61], vcc, s[60:61]
	s_waitcnt vmcnt(1)
	v_subrev_u32_e32 v14, s46, v14
	v_ashrrev_i32_e32 v15, 31, v14
	v_lshl_add_u64 v[14:15], v[14:15], 2, s[30:31]
	global_load_dword v14, v[14:15], off
	s_waitcnt vmcnt(1)
	v_mul_f32_e32 v15, s44, v16
	s_waitcnt vmcnt(0)
	v_fmac_f32_e32 v13, v15, v14
	s_andn2_b64 exec, exec, s[60:61]
	s_cbranch_execnz .LBB4_13
; %bb.14:                               ;   in Loop: Header=BB4_11 Depth=1
	s_or_b64 exec, exec, s[60:61]
.LBB4_15:                               ;   in Loop: Header=BB4_11 Depth=1
	s_or_b64 exec, exec, s[58:59]
	ds_write_b32 v12, v13
	s_waitcnt lgkmcnt(0)
	s_barrier
	s_and_saveexec_b64 s[56:57], s[4:5]
	s_cbranch_execz .LBB4_17
; %bb.16:                               ;   in Loop: Header=BB4_11 Depth=1
	ds_read2st64_b32 v[6:7], v12 offset1:2
	s_waitcnt lgkmcnt(0)
	v_add_f32_e32 v6, v6, v7
	ds_write_b32 v12, v6
.LBB4_17:                               ;   in Loop: Header=BB4_11 Depth=1
	s_or_b64 exec, exec, s[56:57]
	s_waitcnt lgkmcnt(0)
	s_barrier
	s_and_saveexec_b64 s[56:57], s[6:7]
	s_cbranch_execz .LBB4_19
; %bb.18:                               ;   in Loop: Header=BB4_11 Depth=1
	ds_read2st64_b32 v[6:7], v12 offset1:1
	s_waitcnt lgkmcnt(0)
	v_add_f32_e32 v6, v6, v7
	ds_write_b32 v12, v6
.LBB4_19:                               ;   in Loop: Header=BB4_11 Depth=1
	s_or_b64 exec, exec, s[56:57]
	s_waitcnt lgkmcnt(0)
	s_barrier
	s_and_saveexec_b64 s[56:57], s[8:9]
	s_cbranch_execz .LBB4_21
; %bb.20:                               ;   in Loop: Header=BB4_11 Depth=1
	ds_read2_b32 v[6:7], v12 offset1:32
	s_waitcnt lgkmcnt(0)
	v_add_f32_e32 v6, v6, v7
	ds_write_b32 v12, v6
.LBB4_21:                               ;   in Loop: Header=BB4_11 Depth=1
	s_or_b64 exec, exec, s[56:57]
	s_waitcnt lgkmcnt(0)
	s_barrier
	s_and_saveexec_b64 s[56:57], s[10:11]
	s_cbranch_execz .LBB4_23
; %bb.22:                               ;   in Loop: Header=BB4_11 Depth=1
	ds_read2_b32 v[6:7], v12 offset1:16
	s_waitcnt lgkmcnt(0)
	v_add_f32_e32 v6, v6, v7
	ds_write_b32 v12, v6
.LBB4_23:                               ;   in Loop: Header=BB4_11 Depth=1
	;; [unrolled: 11-line block ×5, first 2 shown]
	s_or_b64 exec, exec, s[56:57]
	s_waitcnt lgkmcnt(0)
	s_barrier
	s_and_saveexec_b64 s[56:57], s[18:19]
	s_cbranch_execz .LBB4_31
; %bb.30:                               ;   in Loop: Header=BB4_11 Depth=1
	ds_read_b64 v[6:7], v1
	s_waitcnt lgkmcnt(0)
	v_add_f32_e32 v6, v6, v7
	ds_write_b32 v1, v6
.LBB4_31:                               ;   in Loop: Header=BB4_11 Depth=1
	s_or_b64 exec, exec, s[56:57]
	s_waitcnt lgkmcnt(0)
	s_barrier
	s_and_saveexec_b64 s[56:57], s[18:19]
	s_cbranch_execz .LBB4_10
; %bb.32:                               ;   in Loop: Header=BB4_11 Depth=1
	ds_read_b32 v6, v1
	s_and_b64 vcc, exec, s[20:21]
	s_cbranch_vccnz .LBB4_9
; %bb.33:                               ;   in Loop: Header=BB4_11 Depth=1
	s_lshl_b64 s[58:59], s[54:55], 2
	s_add_u32 s58, s34, s58
	s_addc_u32 s59, s35, s59
	global_load_dword v7, v1, s[58:59]
	s_waitcnt vmcnt(0) lgkmcnt(0)
	v_fmac_f32_e32 v6, s22, v7
	s_branch .LBB4_9
.LBB4_34:
	s_mov_b64 s[4:5], 0
.LBB4_35:
	s_andn2_b64 vcc, exec, s[4:5]
	s_cbranch_vccnz .LBB4_70
; %bb.36:
	s_load_dwordx2 s[4:5], s[0:1], 0x18
	s_sub_i32 s6, s2, s23
	v_mov_b32_e32 v1, 0
	v_or_b32_e32 v2, s23, v0
	v_cmp_eq_u32_e32 vcc, 0, v2
	s_waitcnt lgkmcnt(0)
	s_add_u32 s2, s4, s48
	s_addc_u32 s3, s5, s49
	global_load_dword v8, v1, s[2:3]
	v_mov_b32_e32 v9, 0
	s_and_saveexec_b64 s[8:9], vcc
	s_cbranch_execz .LBB4_40
; %bb.37:
	s_lshl_b64 s[12:13], s[36:37], 2
	s_add_u32 s12, s34, s12
	s_addc_u32 s13, s35, s13
	v_mov_b32_e32 v4, 0
	global_load_dword v2, v4, s[12:13]
	s_mov_b64 s[10:11], exec
	v_mbcnt_lo_u32_b32 v5, s10, 0
	v_mbcnt_hi_u32_b32 v5, s11, v5
	v_add_f32_e64 v3, s22, -1.0
	v_cmp_eq_u32_e32 vcc, 0, v5
	s_waitcnt vmcnt(0) expcnt(0) lgkmcnt(0)
	s_and_saveexec_b64 s[12:13], vcc
	s_cbranch_execz .LBB4_39
; %bb.38:
	s_ashr_i32 s7, s6, 31
	s_lshl_b64 s[14:15], s[6:7], 2
	s_add_u32 s14, s4, s14
	s_addc_u32 s15, s5, s15
	s_bcnt1_i32_b64 s7, s[10:11]
	s_and_b32 s7, s7, 1
	v_mov_b32_e32 v5, s7
	global_atomic_xor v4, v5, s[14:15]
.LBB4_39:
	s_or_b64 exec, exec, s[12:13]
	v_mul_f32_e32 v9, v3, v2
.LBB4_40:
	s_or_b64 exec, exec, s[8:9]
	s_load_dwordx2 s[8:9], s[40:41], 0x8
	s_sub_u32 s11, s42, s46
	s_mul_i32 s10, s23, 0xc00
	s_subb_u32 s13, s43, 0
	s_mul_hi_i32 s7, s23, 0xc00
	s_add_u32 s12, s11, s10
	s_addc_u32 s13, s13, s7
	s_waitcnt lgkmcnt(0)
	s_sub_u32 s10, s8, s46
	s_subb_u32 s11, s9, 0
	v_lshl_add_u64 v[2:3], s[12:13], 0, v[0:1]
	v_cmp_gt_i64_e32 vcc, s[10:11], v[2:3]
	s_and_saveexec_b64 s[8:9], vcc
	s_cbranch_execz .LBB4_44
; %bb.41:
	s_add_u32 s12, s12, 0xc00
	s_addc_u32 s13, s13, 0
	v_mov_b64_e32 v[4:5], s[10:11]
	v_cmp_lt_i64_e32 vcc, s[12:13], v[4:5]
	s_and_b64 s[14:15], vcc, exec
	v_lshlrev_b64 v[6:7], 2, v[2:3]
	s_cselect_b32 s11, s13, s11
	s_cselect_b32 s10, s12, s10
	v_lshl_add_u64 v[4:5], s[28:29], 0, v[6:7]
	v_lshl_add_u64 v[6:7], s[26:27], 0, v[6:7]
	s_mov_b64 s[12:13], 0
	s_mov_b64 s[14:15], 0x100
	;; [unrolled: 1-line block ×3, first 2 shown]
.LBB4_42:                               ; =>This Inner Loop Header: Depth=1
	global_load_dword v1, v[6:7], off
	global_load_dword v12, v[4:5], off
	v_lshl_add_u64 v[2:3], v[2:3], 0, s[14:15]
	v_cmp_le_i64_e32 vcc, s[10:11], v[2:3]
	v_lshl_add_u64 v[4:5], v[4:5], 0, s[16:17]
	v_lshl_add_u64 v[6:7], v[6:7], 0, s[16:17]
	s_or_b64 s[12:13], vcc, s[12:13]
	s_waitcnt vmcnt(1)
	v_subrev_u32_e32 v10, s46, v1
	v_ashrrev_i32_e32 v11, 31, v10
	v_lshl_add_u64 v[10:11], v[10:11], 2, s[30:31]
	global_load_dword v1, v[10:11], off
	s_waitcnt vmcnt(1)
	v_mul_f32_e32 v10, s44, v12
	s_waitcnt vmcnt(0)
	v_fmac_f32_e32 v9, v10, v1
	s_andn2_b64 exec, exec, s[12:13]
	s_cbranch_execnz .LBB4_42
; %bb.43:
	s_or_b64 exec, exec, s[12:13]
.LBB4_44:
	s_or_b64 exec, exec, s[8:9]
	s_movk_i32 s7, 0x80
	v_lshlrev_b32_e32 v1, 2, v0
	v_cmp_gt_u32_e32 vcc, s7, v0
	ds_write_b32 v1, v9
	s_waitcnt lgkmcnt(0)
	s_barrier
	s_and_saveexec_b64 s[8:9], vcc
	s_cbranch_execz .LBB4_46
; %bb.45:
	ds_read2st64_b32 v[2:3], v1 offset1:2
	s_waitcnt lgkmcnt(0)
	v_add_f32_e32 v2, v2, v3
	ds_write_b32 v1, v2
.LBB4_46:
	s_or_b64 exec, exec, s[8:9]
	v_cmp_gt_u32_e32 vcc, 64, v0
	s_waitcnt lgkmcnt(0)
	s_barrier
	s_and_saveexec_b64 s[8:9], vcc
	s_cbranch_execz .LBB4_48
; %bb.47:
	ds_read2st64_b32 v[2:3], v1 offset1:1
	s_waitcnt lgkmcnt(0)
	v_add_f32_e32 v2, v2, v3
	ds_write_b32 v1, v2
.LBB4_48:
	s_or_b64 exec, exec, s[8:9]
	v_cmp_gt_u32_e32 vcc, 32, v0
	s_waitcnt lgkmcnt(0)
	s_barrier
	s_and_saveexec_b64 s[8:9], vcc
	s_cbranch_execz .LBB4_50
; %bb.49:
	ds_read2_b32 v[2:3], v1 offset1:32
	s_waitcnt lgkmcnt(0)
	v_add_f32_e32 v2, v2, v3
	ds_write_b32 v1, v2
.LBB4_50:
	s_or_b64 exec, exec, s[8:9]
	v_cmp_gt_u32_e32 vcc, 16, v0
	s_waitcnt lgkmcnt(0)
	s_barrier
	s_and_saveexec_b64 s[8:9], vcc
	s_cbranch_execz .LBB4_52
; %bb.51:
	ds_read2_b32 v[2:3], v1 offset1:16
	s_waitcnt lgkmcnt(0)
	v_add_f32_e32 v2, v2, v3
	ds_write_b32 v1, v2
.LBB4_52:
	;; [unrolled: 12-line block ×5, first 2 shown]
	s_or_b64 exec, exec, s[8:9]
	v_cmp_eq_u32_e32 vcc, 0, v0
	s_waitcnt lgkmcnt(0)
	s_barrier
	s_and_saveexec_b64 s[8:9], vcc
	s_cbranch_execz .LBB4_60
; %bb.59:
	v_mov_b32_e32 v1, 0
	ds_read_b64 v[2:3], v1
	s_waitcnt lgkmcnt(0)
	v_add_f32_e32 v2, v2, v3
	ds_write_b32 v1, v2
.LBB4_60:
	s_or_b64 exec, exec, s[8:9]
	s_waitcnt lgkmcnt(0)
	s_barrier
	s_and_saveexec_b64 s[8:9], vcc
	s_cbranch_execz .LBB4_69
; %bb.61:
	s_cmp_eq_u32 s23, 0
	s_cbranch_scc1 .LBB4_67
; %bb.62:
	s_ashr_i32 s7, s6, 31
	s_lshl_b64 s[6:7], s[6:7], 2
	s_add_u32 s4, s4, s6
	s_addc_u32 s5, s5, s7
	v_mov_b32_e32 v1, 0
	s_branch .LBB4_64
.LBB4_63:                               ;   in Loop: Header=BB4_64 Depth=1
	s_or_b64 exec, exec, s[6:7]
	s_waitcnt vmcnt(0)
	v_readfirstlane_b32 s6, v2
	s_nop 1
	v_cmp_eq_u32_e32 vcc, s6, v8
	s_cbranch_vccz .LBB4_66
.LBB4_64:                               ; =>This Inner Loop Header: Depth=1
	v_mbcnt_lo_u32_b32 v2, exec_lo, 0
	v_mbcnt_hi_u32_b32 v2, exec_hi, v2
	v_cmp_eq_u32_e32 vcc, 0, v2
                                        ; implicit-def: $vgpr2
	s_and_saveexec_b64 s[6:7], vcc
	s_cbranch_execz .LBB4_63
; %bb.65:                               ;   in Loop: Header=BB4_64 Depth=1
	global_load_dword v2, v1, s[4:5] sc1
	s_branch .LBB4_63
.LBB4_66:
	v_mov_b32_e32 v1, 0
	global_load_ushort v2, v1, s[2:3]
	s_waitcnt vmcnt(0)
	v_xor_b32_e32 v2, 1, v2
	global_store_short v1, v2, s[2:3]
.LBB4_67:
	s_mov_b64 s[2:3], exec
	v_mbcnt_lo_u32_b32 v1, s2, 0
	v_mbcnt_hi_u32_b32 v1, s3, v1
	v_cmp_eq_u32_e32 vcc, 0, v1
	s_and_b64 s[4:5], exec, vcc
	s_mov_b64 exec, s[4:5]
	s_cbranch_execz .LBB4_69
; %bb.68:
	v_mov_b32_e32 v1, 0
	ds_read_b32 v2, v1
	s_lshl_b64 s[4:5], s[36:37], 2
	s_add_u32 s4, s34, s4
	s_addc_u32 s5, s35, s5
	s_bcnt1_i32_b64 s2, s[2:3]
	v_cvt_f32_ubyte0_e32 v3, s2
	s_waitcnt lgkmcnt(0)
	v_mul_f32_e32 v2, v2, v3
	global_atomic_add_f32 v1, v2, s[4:5]
.LBB4_69:
	s_or_b64 exec, exec, s[8:9]
.LBB4_70:
	s_mov_b64 s[4:5], 0
.LBB4_71:
	s_andn2_b64 vcc, exec, s[4:5]
	s_cbranch_vccnz .LBB4_120
; %bb.72:
	s_load_dwordx2 s[0:1], s[0:1], 0x8
	v_subrev_co_u32_e32 v2, vcc, s46, v0
	v_mov_b32_e32 v1, 0
	s_nop 0
	v_subb_co_u32_e64 v3, s[2:3], 0, 0, vcc
	s_waitcnt lgkmcnt(0)
	v_lshl_add_u64 v[2:3], s[42:43], 0, v[2:3]
	s_mov_b64 s[2:3], 0x300
	v_lshl_add_u64 v[4:5], v[2:3], 0, s[2:3]
	v_cmp_le_i64_e32 vcc, s[0:1], v[4:5]
	s_and_saveexec_b64 s[0:1], vcc
	s_xor_b64 s[0:1], exec, s[0:1]
	s_cbranch_execz .LBB4_82
; %bb.73:
	s_lshl_b64 s[2:3], s[38:39], 3
	s_add_u32 s2, s24, s2
	s_addc_u32 s3, s25, s3
	s_load_dwordx2 s[2:3], s[2:3], 0x0
	s_waitcnt lgkmcnt(0)
	s_sub_u32 s2, s2, s46
	s_subb_u32 s3, s3, 0
	v_cmp_gt_i64_e32 vcc, s[2:3], v[2:3]
	s_and_saveexec_b64 s[4:5], vcc
	s_cbranch_execz .LBB4_81
; %bb.74:
	v_lshl_add_u64 v[4:5], s[42:43], 0, v[0:1]
	v_subrev_co_u32_e32 v4, vcc, s46, v4
	s_mov_b64 s[6:7], 0x100
	s_nop 0
	v_subbrev_co_u32_e32 v5, vcc, 0, v5, vcc
	v_lshl_add_u64 v[4:5], v[4:5], 0, s[6:7]
	v_mov_b32_e32 v6, s3
	v_cmp_lt_i64_e32 vcc, s[2:3], v[4:5]
	s_not_b64 s[8:9], s[42:43]
	s_add_u32 s8, s8, s46
	v_cndmask_b32_e32 v5, v6, v5, vcc
	v_mov_b32_e32 v6, s2
	v_cndmask_b32_e32 v4, v6, v4, vcc
	s_addc_u32 s9, s9, 0
	v_lshl_add_u64 v[4:5], s[8:9], 0, v[4:5]
	v_sub_co_u32_e32 v4, vcc, v4, v0
	s_mov_b64 s[8:9], 0xff
	s_nop 0
	v_subbrev_co_u32_e32 v5, vcc, 0, v5, vcc
	v_cmp_lt_u64_e32 vcc, s[8:9], v[4:5]
	s_mov_b64 s[10:11], -1
	s_waitcnt vmcnt(0)
	v_mov_b64_e32 v[8:9], 0
	s_and_saveexec_b64 s[8:9], vcc
	s_cbranch_execz .LBB4_78
; %bb.75:
	v_lshrrev_b64 v[4:5], 8, v[4:5]
	v_lshl_add_u64 v[4:5], v[4:5], 0, 1
	v_and_b32_e32 v6, -2, v4
	v_mov_b32_e32 v7, v5
	v_lshlrev_b32_e32 v12, 2, v0
	v_mov_b32_e32 v8, v2
	v_mov_b32_e32 v9, v3
	s_mov_b32 s45, s44
	s_mov_b32 s14, s46
	s_mov_b64 s[10:11], 0
	v_mov_b64_e32 v[10:11], v[6:7]
	s_mov_b64 s[12:13], 0
.LBB4_76:                               ; =>This Inner Loop Header: Depth=1
	v_lshl_add_u64 v[16:17], s[12:13], 0, v[2:3]
	v_lshl_add_u64 v[14:15], s[6:7], 0, v[8:9]
	v_lshlrev_b64 v[16:17], 2, v[16:17]
	v_lshlrev_b64 v[14:15], 2, v[14:15]
	v_lshl_add_u64 v[18:19], s[26:27], 0, v[16:17]
	v_lshl_add_u64 v[20:21], s[26:27], 0, v[14:15]
	global_load_dword v13, v[18:19], off
	global_load_dword v22, v[20:21], off
	v_lshl_add_u64 v[16:17], s[28:29], 0, v[16:17]
	v_lshl_add_u64 v[14:15], s[28:29], 0, v[14:15]
	global_load_dword v18, v[16:17], off
	global_load_dword v19, v[14:15], off
	v_lshl_add_u64 v[10:11], v[10:11], 0, -2
	v_cmp_eq_u64_e32 vcc, 0, v[10:11]
	s_waitcnt vmcnt(3)
	v_subrev_u32_e32 v14, s46, v13
	s_waitcnt vmcnt(2)
	v_subrev_u32_e32 v16, s14, v22
	v_ashrrev_i32_e32 v15, 31, v14
	v_ashrrev_i32_e32 v17, 31, v16
	v_lshl_add_u64 v[14:15], v[14:15], 2, s[30:31]
	v_lshl_add_u64 v[16:17], v[16:17], 2, s[30:31]
	global_load_dword v20, v[14:15], off
	global_load_dword v21, v[16:17], off
	v_lshl_add_u32 v13, s12, 2, v12
	s_add_u32 s12, s12, 0x200
	s_addc_u32 s13, s13, 0
	v_lshl_add_u32 v16, s6, 2, v12
	s_add_u32 s6, s6, 0x200
	s_addc_u32 s7, s7, 0
	s_waitcnt vmcnt(2)
	v_pk_mul_f32 v[14:15], s[44:45], v[18:19]
	s_or_b64 s[10:11], vcc, s[10:11]
	s_waitcnt vmcnt(0)
	v_pk_mul_f32 v[14:15], v[14:15], v[20:21]
	ds_write_b32 v13, v14
	ds_write_b32 v16, v15
	s_andn2_b64 exec, exec, s[10:11]
	s_cbranch_execnz .LBB4_76
; %bb.77:
	s_or_b64 exec, exec, s[10:11]
	v_cmp_ne_u64_e32 vcc, v[4:5], v[6:7]
	v_lshlrev_b64 v[8:9], 8, v[6:7]
	s_orn2_b64 s[10:11], vcc, exec
.LBB4_78:
	s_or_b64 exec, exec, s[8:9]
	s_and_b64 exec, exec, s[10:11]
	s_cbranch_execz .LBB4_81
; %bb.79:
	v_lshl_add_u64 v[2:3], v[8:9], 0, s[42:43]
	v_lshl_add_u64 v[2:3], v[2:3], 0, v[0:1]
	v_subrev_co_u32_e32 v2, vcc, s46, v2
	v_lshlrev_b32_e32 v4, 2, v8
	s_nop 0
	v_subbrev_co_u32_e32 v3, vcc, 0, v3, vcc
	v_lshlrev_b64 v[6:7], 2, v[2:3]
	v_lshl_add_u32 v8, v0, 2, v4
	v_lshl_add_u64 v[4:5], s[28:29], 0, v[6:7]
	v_lshl_add_u64 v[6:7], s[26:27], 0, v[6:7]
	s_mov_b64 s[6:7], 0
	s_mov_b64 s[8:9], 0x100
	;; [unrolled: 1-line block ×3, first 2 shown]
.LBB4_80:                               ; =>This Inner Loop Header: Depth=1
	global_load_dword v9, v[6:7], off
	global_load_dword v12, v[4:5], off
	v_lshl_add_u64 v[2:3], v[2:3], 0, s[8:9]
	v_cmp_le_i64_e32 vcc, s[2:3], v[2:3]
	v_lshl_add_u64 v[4:5], v[4:5], 0, s[10:11]
	v_lshl_add_u64 v[6:7], v[6:7], 0, s[10:11]
	s_or_b64 s[6:7], vcc, s[6:7]
	s_waitcnt vmcnt(1)
	v_subrev_u32_e32 v10, s46, v9
	v_ashrrev_i32_e32 v11, 31, v10
	v_lshl_add_u64 v[10:11], v[10:11], 2, s[30:31]
	global_load_dword v9, v[10:11], off
	s_waitcnt vmcnt(1)
	v_mul_f32_e32 v10, s44, v12
	s_waitcnt vmcnt(0)
	v_mul_f32_e32 v9, v10, v9
	ds_write_b32 v8, v9
	v_add_u32_e32 v8, 0x400, v8
	s_andn2_b64 exec, exec, s[6:7]
	s_cbranch_execnz .LBB4_80
.LBB4_81:
	s_or_b64 exec, exec, s[4:5]
                                        ; implicit-def: $vgpr2_vgpr3
.LBB4_82:
	s_or_saveexec_b64 s[0:1], s[0:1]
	s_waitcnt vmcnt(0)
	v_lshlrev_b32_e32 v8, 2, v0
	s_xor_b64 exec, exec, s[0:1]
	s_cbranch_execz .LBB4_84
; %bb.83:
	v_lshlrev_b64 v[2:3], 2, v[2:3]
	v_lshl_add_u64 v[4:5], s[26:27], 0, v[2:3]
	global_load_dword v6, v[4:5], off
	global_load_dword v7, v[4:5], off offset:1024
	global_load_dword v9, v[4:5], off offset:2048
	;; [unrolled: 1-line block ×3, first 2 shown]
	v_lshl_add_u64 v[2:3], s[28:29], 0, v[2:3]
	global_load_dword v12, v[2:3], off
	global_load_dword v13, v[2:3], off offset:1024
	global_load_dword v14, v[2:3], off offset:2048
	;; [unrolled: 1-line block ×3, first 2 shown]
	s_waitcnt vmcnt(7)
	v_subrev_u32_e32 v2, s46, v6
	s_waitcnt vmcnt(6)
	v_subrev_u32_e32 v4, s46, v7
	;; [unrolled: 2-line block ×4, first 2 shown]
	v_ashrrev_i32_e32 v3, 31, v2
	v_ashrrev_i32_e32 v5, 31, v4
	;; [unrolled: 1-line block ×4, first 2 shown]
	v_lshl_add_u64 v[2:3], v[2:3], 2, s[30:31]
	v_lshl_add_u64 v[4:5], v[4:5], 2, s[30:31]
	;; [unrolled: 1-line block ×4, first 2 shown]
	global_load_dword v9, v[2:3], off
	global_load_dword v16, v[4:5], off
	;; [unrolled: 1-line block ×4, first 2 shown]
	s_waitcnt vmcnt(7)
	v_mul_f32_e32 v2, s44, v12
	s_waitcnt vmcnt(6)
	v_mul_f32_e32 v3, s44, v13
	;; [unrolled: 2-line block ×8, first 2 shown]
	ds_write2st64_b32 v8, v2, v3 offset1:4
	ds_write2st64_b32 v8, v4, v5 offset0:8 offset1:12
.LBB4_84:
	s_or_b64 exec, exec, s[0:1]
	s_cmp_lt_i32 s23, 2
	s_mov_b64 s[0:1], -1
	s_waitcnt lgkmcnt(0)
	s_barrier
	s_cbranch_scc0 .LBB4_95
; %bb.85:
	v_lshl_add_u64 v[6:7], s[36:37], 0, v[0:1]
	v_cmp_gt_i64_e32 vcc, s[38:39], v[6:7]
	s_and_saveexec_b64 s[0:1], vcc
	s_cbranch_execz .LBB4_94
; %bb.86:
	s_lshl_b32 s4, s42, 2
	v_cmp_neq_f32_e64 s[2:3], s22, 0
	s_sub_i32 s12, 0, s4
	s_mov_b64 s[4:5], 0
	s_mov_b64 s[6:7], 0x100
	s_branch .LBB4_88
.LBB4_87:                               ;   in Loop: Header=BB4_88 Depth=1
	v_lshl_add_u64 v[6:7], v[6:7], 0, s[6:7]
	v_cmp_le_i64_e32 vcc, s[38:39], v[6:7]
	s_or_b64 s[4:5], vcc, s[4:5]
	global_store_dword v[2:3], v1, off
	s_andn2_b64 exec, exec, s[4:5]
	s_cbranch_execz .LBB4_94
.LBB4_88:                               ; =>This Loop Header: Depth=1
                                        ;     Child Loop BB4_90 Depth 2
	v_lshl_add_u64 v[2:3], v[6:7], 3, s[24:25]
	global_load_dwordx4 v[2:5], v[2:3], off
	v_mov_b32_e32 v1, 0
	s_waitcnt vmcnt(0)
	v_subrev_u32_e32 v3, s42, v2
	v_subrev_u32_e32 v4, s42, v4
	v_cmp_lt_i32_e32 vcc, v3, v4
	s_and_saveexec_b64 s[8:9], vcc
	s_cbranch_execz .LBB4_92
; %bb.89:                               ;   in Loop: Header=BB4_88 Depth=1
	v_lshl_add_u32 v2, v2, 2, s12
	v_mov_b32_e32 v1, 0
	s_mov_b64 s[10:11], 0
.LBB4_90:                               ;   Parent Loop BB4_88 Depth=1
                                        ; =>  This Inner Loop Header: Depth=2
	ds_read_b32 v5, v2
	v_add_u32_e32 v3, 1, v3
	v_cmp_ge_i32_e32 vcc, v3, v4
	v_add_u32_e32 v2, 4, v2
	s_or_b64 s[10:11], vcc, s[10:11]
	s_waitcnt lgkmcnt(0)
	v_add_f32_e32 v1, v1, v5
	s_andn2_b64 exec, exec, s[10:11]
	s_cbranch_execnz .LBB4_90
; %bb.91:                               ;   in Loop: Header=BB4_88 Depth=1
	s_or_b64 exec, exec, s[10:11]
.LBB4_92:                               ;   in Loop: Header=BB4_88 Depth=1
	s_or_b64 exec, exec, s[8:9]
	s_and_b64 vcc, exec, s[2:3]
	v_lshl_add_u64 v[2:3], v[6:7], 2, s[34:35]
	s_cbranch_vccz .LBB4_87
; %bb.93:                               ;   in Loop: Header=BB4_88 Depth=1
	global_load_dword v4, v[2:3], off
	s_waitcnt vmcnt(0)
	v_fmac_f32_e32 v1, s22, v4
	s_branch .LBB4_87
.LBB4_94:
	s_or_b64 exec, exec, s[0:1]
	s_mov_b64 s[0:1], 0
.LBB4_95:
	s_andn2_b64 vcc, exec, s[0:1]
	s_cbranch_vccnz .LBB4_120
; %bb.96:
	s_flbit_i32_b32 s0, s23
	s_xor_b32 s0, s0, 31
	v_lshrrev_b32_e32 v4, s0, v0
	v_mov_b32_e32 v5, 0
	v_lshl_add_u64 v[2:3], s[36:37], 0, v[4:5]
	s_add_i32 s0, s23, -1
	v_and_b32_e32 v0, s0, v0
	v_cmp_le_i64_e32 vcc, s[38:39], v[2:3]
	v_cmp_gt_i64_e64 s[0:1], s[38:39], v[2:3]
	s_and_saveexec_b64 s[2:3], s[0:1]
	s_cbranch_execz .LBB4_102
; %bb.97:
	v_lshlrev_b32_e32 v1, 3, v4
	global_load_dword v4, v1, s[40:41] offset:8
	global_load_dword v5, v1, s[40:41]
	s_waitcnt vmcnt(1)
	v_subrev_u32_e32 v1, s42, v4
	s_waitcnt vmcnt(0)
	v_subrev_u32_e32 v4, s42, v5
	v_add_u32_e32 v4, v0, v4
	v_cmp_lt_i32_e64 s[0:1], v4, v1
	v_mov_b32_e32 v5, 0
	s_and_saveexec_b64 s[4:5], s[0:1]
	s_cbranch_execz .LBB4_101
; %bb.98:
	v_lshlrev_b32_e32 v6, 2, v4
	s_lshl_b32 s8, s23, 2
	v_mov_b32_e32 v5, 0
	s_mov_b64 s[6:7], 0
.LBB4_99:                               ; =>This Inner Loop Header: Depth=1
	ds_read_b32 v7, v6
	v_add_u32_e32 v4, s23, v4
	v_cmp_ge_i32_e64 s[0:1], v4, v1
	v_add_u32_e32 v6, s8, v6
	s_or_b64 s[6:7], s[0:1], s[6:7]
	s_waitcnt lgkmcnt(0)
	v_add_f32_e32 v5, v5, v7
	s_andn2_b64 exec, exec, s[6:7]
	s_cbranch_execnz .LBB4_99
; %bb.100:
	s_or_b64 exec, exec, s[6:7]
.LBB4_101:
	s_or_b64 exec, exec, s[4:5]
.LBB4_102:
	s_or_b64 exec, exec, s[2:3]
	s_cmpk_lt_u32 s23, 0x81
	s_barrier
	ds_write_b32 v8, v5
	s_waitcnt lgkmcnt(0)
	s_barrier
	s_cbranch_scc1 .LBB4_104
; %bb.103:
	ds_read_b32 v1, v8 offset:512
	s_waitcnt lgkmcnt(0)
	s_barrier
	v_add_f32_e32 v5, v5, v1
	ds_write_b32 v8, v5
.LBB4_104:
	s_cmpk_lt_u32 s23, 0x41
	s_waitcnt lgkmcnt(0)
	s_barrier
	s_cbranch_scc1 .LBB4_106
; %bb.105:
	ds_read_b32 v1, v8 offset:256
	s_waitcnt lgkmcnt(0)
	s_barrier
	v_add_f32_e32 v5, v5, v1
	ds_write_b32 v8, v5
.LBB4_106:
	s_cmp_lt_u32 s23, 33
	s_waitcnt lgkmcnt(0)
	s_barrier
	s_cbranch_scc1 .LBB4_108
; %bb.107:
	ds_read_b32 v1, v8 offset:128
	s_waitcnt lgkmcnt(0)
	s_barrier
	v_add_f32_e32 v5, v5, v1
	ds_write_b32 v8, v5
.LBB4_108:
	s_cmp_lt_u32 s23, 17
	;; [unrolled: 11-line block ×4, first 2 shown]
	s_waitcnt lgkmcnt(0)
	s_barrier
	s_cbranch_scc1 .LBB4_114
; %bb.113:
	ds_read_b32 v1, v8 offset:16
	s_waitcnt lgkmcnt(0)
	s_barrier
	v_add_f32_e32 v5, v5, v1
	ds_write_b32 v8, v5
.LBB4_114:
	s_cmp_eq_u32 s23, 2
	s_waitcnt lgkmcnt(0)
	s_barrier
	s_cbranch_scc1 .LBB4_116
; %bb.115:
	ds_read_b32 v1, v8 offset:8
	s_waitcnt lgkmcnt(0)
	s_barrier
	v_add_f32_e32 v5, v5, v1
	ds_write_b32 v8, v5
.LBB4_116:
	s_waitcnt lgkmcnt(0)
	s_barrier
	ds_read_b32 v1, v8 offset:4
	v_cmp_eq_u32_e64 s[0:1], 0, v0
	s_xor_b64 s[2:3], vcc, -1
	s_and_b64 s[0:1], s[0:1], s[2:3]
	s_waitcnt lgkmcnt(0)
	v_add_f32_e32 v4, v5, v1
	s_barrier
	ds_write_b32 v8, v4
	s_and_saveexec_b64 s[2:3], s[0:1]
	s_cbranch_execz .LBB4_120
; %bb.117:
	v_cmp_eq_f32_e64 s[0:1], s22, 0
	s_and_b64 vcc, exec, s[0:1]
	v_lshl_add_u64 v[0:1], v[2:3], 2, s[34:35]
	s_cbranch_vccnz .LBB4_119
; %bb.118:
	global_load_dword v2, v[0:1], off
	s_waitcnt vmcnt(0)
	v_fmac_f32_e32 v4, s22, v2
.LBB4_119:
	global_store_dword v[0:1], v4, off
.LBB4_120:
	s_endpgm
	.section	.rodata,"a",@progbits
	.p2align	6, 0x0
	.amdhsa_kernel _ZN9rocsparseL22csrmvn_adaptive_kernelIliffffEEvbT_PKS1_PjPKT0_NS_24const_host_device_scalarIT4_EES3_S7_PKT1_PKT2_SA_PT3_21rocsparse_index_base_b
		.amdhsa_group_segment_fixed_size 4096
		.amdhsa_private_segment_fixed_size 0
		.amdhsa_kernarg_size 104
		.amdhsa_user_sgpr_count 2
		.amdhsa_user_sgpr_dispatch_ptr 0
		.amdhsa_user_sgpr_queue_ptr 0
		.amdhsa_user_sgpr_kernarg_segment_ptr 1
		.amdhsa_user_sgpr_dispatch_id 0
		.amdhsa_user_sgpr_kernarg_preload_length 0
		.amdhsa_user_sgpr_kernarg_preload_offset 0
		.amdhsa_user_sgpr_private_segment_size 0
		.amdhsa_uses_dynamic_stack 0
		.amdhsa_enable_private_segment 0
		.amdhsa_system_sgpr_workgroup_id_x 1
		.amdhsa_system_sgpr_workgroup_id_y 0
		.amdhsa_system_sgpr_workgroup_id_z 0
		.amdhsa_system_sgpr_workgroup_info 0
		.amdhsa_system_vgpr_workitem_id 0
		.amdhsa_next_free_vgpr 23
		.amdhsa_next_free_sgpr 64
		.amdhsa_accum_offset 24
		.amdhsa_reserve_vcc 1
		.amdhsa_float_round_mode_32 0
		.amdhsa_float_round_mode_16_64 0
		.amdhsa_float_denorm_mode_32 3
		.amdhsa_float_denorm_mode_16_64 3
		.amdhsa_dx10_clamp 1
		.amdhsa_ieee_mode 1
		.amdhsa_fp16_overflow 0
		.amdhsa_tg_split 0
		.amdhsa_exception_fp_ieee_invalid_op 0
		.amdhsa_exception_fp_denorm_src 0
		.amdhsa_exception_fp_ieee_div_zero 0
		.amdhsa_exception_fp_ieee_overflow 0
		.amdhsa_exception_fp_ieee_underflow 0
		.amdhsa_exception_fp_ieee_inexact 0
		.amdhsa_exception_int_div_zero 0
	.end_amdhsa_kernel
	.section	.text._ZN9rocsparseL22csrmvn_adaptive_kernelIliffffEEvbT_PKS1_PjPKT0_NS_24const_host_device_scalarIT4_EES3_S7_PKT1_PKT2_SA_PT3_21rocsparse_index_base_b,"axG",@progbits,_ZN9rocsparseL22csrmvn_adaptive_kernelIliffffEEvbT_PKS1_PjPKT0_NS_24const_host_device_scalarIT4_EES3_S7_PKT1_PKT2_SA_PT3_21rocsparse_index_base_b,comdat
.Lfunc_end4:
	.size	_ZN9rocsparseL22csrmvn_adaptive_kernelIliffffEEvbT_PKS1_PjPKT0_NS_24const_host_device_scalarIT4_EES3_S7_PKT1_PKT2_SA_PT3_21rocsparse_index_base_b, .Lfunc_end4-_ZN9rocsparseL22csrmvn_adaptive_kernelIliffffEEvbT_PKS1_PjPKT0_NS_24const_host_device_scalarIT4_EES3_S7_PKT1_PKT2_SA_PT3_21rocsparse_index_base_b
                                        ; -- End function
	.set _ZN9rocsparseL22csrmvn_adaptive_kernelIliffffEEvbT_PKS1_PjPKT0_NS_24const_host_device_scalarIT4_EES3_S7_PKT1_PKT2_SA_PT3_21rocsparse_index_base_b.num_vgpr, 23
	.set _ZN9rocsparseL22csrmvn_adaptive_kernelIliffffEEvbT_PKS1_PjPKT0_NS_24const_host_device_scalarIT4_EES3_S7_PKT1_PKT2_SA_PT3_21rocsparse_index_base_b.num_agpr, 0
	.set _ZN9rocsparseL22csrmvn_adaptive_kernelIliffffEEvbT_PKS1_PjPKT0_NS_24const_host_device_scalarIT4_EES3_S7_PKT1_PKT2_SA_PT3_21rocsparse_index_base_b.numbered_sgpr, 64
	.set _ZN9rocsparseL22csrmvn_adaptive_kernelIliffffEEvbT_PKS1_PjPKT0_NS_24const_host_device_scalarIT4_EES3_S7_PKT1_PKT2_SA_PT3_21rocsparse_index_base_b.num_named_barrier, 0
	.set _ZN9rocsparseL22csrmvn_adaptive_kernelIliffffEEvbT_PKS1_PjPKT0_NS_24const_host_device_scalarIT4_EES3_S7_PKT1_PKT2_SA_PT3_21rocsparse_index_base_b.private_seg_size, 0
	.set _ZN9rocsparseL22csrmvn_adaptive_kernelIliffffEEvbT_PKS1_PjPKT0_NS_24const_host_device_scalarIT4_EES3_S7_PKT1_PKT2_SA_PT3_21rocsparse_index_base_b.uses_vcc, 1
	.set _ZN9rocsparseL22csrmvn_adaptive_kernelIliffffEEvbT_PKS1_PjPKT0_NS_24const_host_device_scalarIT4_EES3_S7_PKT1_PKT2_SA_PT3_21rocsparse_index_base_b.uses_flat_scratch, 0
	.set _ZN9rocsparseL22csrmvn_adaptive_kernelIliffffEEvbT_PKS1_PjPKT0_NS_24const_host_device_scalarIT4_EES3_S7_PKT1_PKT2_SA_PT3_21rocsparse_index_base_b.has_dyn_sized_stack, 0
	.set _ZN9rocsparseL22csrmvn_adaptive_kernelIliffffEEvbT_PKS1_PjPKT0_NS_24const_host_device_scalarIT4_EES3_S7_PKT1_PKT2_SA_PT3_21rocsparse_index_base_b.has_recursion, 0
	.set _ZN9rocsparseL22csrmvn_adaptive_kernelIliffffEEvbT_PKS1_PjPKT0_NS_24const_host_device_scalarIT4_EES3_S7_PKT1_PKT2_SA_PT3_21rocsparse_index_base_b.has_indirect_call, 0
	.section	.AMDGPU.csdata,"",@progbits
; Kernel info:
; codeLenInByte = 4132
; TotalNumSgprs: 70
; NumVgprs: 23
; NumAgprs: 0
; TotalNumVgprs: 23
; ScratchSize: 0
; MemoryBound: 0
; FloatMode: 240
; IeeeMode: 1
; LDSByteSize: 4096 bytes/workgroup (compile time only)
; SGPRBlocks: 8
; VGPRBlocks: 2
; NumSGPRsForWavesPerEU: 70
; NumVGPRsForWavesPerEU: 23
; AccumOffset: 24
; Occupancy: 8
; WaveLimiterHint : 1
; COMPUTE_PGM_RSRC2:SCRATCH_EN: 0
; COMPUTE_PGM_RSRC2:USER_SGPR: 2
; COMPUTE_PGM_RSRC2:TRAP_HANDLER: 0
; COMPUTE_PGM_RSRC2:TGID_X_EN: 1
; COMPUTE_PGM_RSRC2:TGID_Y_EN: 0
; COMPUTE_PGM_RSRC2:TGID_Z_EN: 0
; COMPUTE_PGM_RSRC2:TIDIG_COMP_CNT: 0
; COMPUTE_PGM_RSRC3_GFX90A:ACCUM_OFFSET: 5
; COMPUTE_PGM_RSRC3_GFX90A:TG_SPLIT: 0
	.section	.text._ZN9rocsparseL27csrmvn_symm_adaptive_kernelIliffffEEvbT_S1_PKS1_NS_24const_host_device_scalarIT4_EES3_PKT0_PKT1_PKT2_S6_PT3_21rocsparse_index_base_b,"axG",@progbits,_ZN9rocsparseL27csrmvn_symm_adaptive_kernelIliffffEEvbT_S1_PKS1_NS_24const_host_device_scalarIT4_EES3_PKT0_PKT1_PKT2_S6_PT3_21rocsparse_index_base_b,comdat
	.globl	_ZN9rocsparseL27csrmvn_symm_adaptive_kernelIliffffEEvbT_S1_PKS1_NS_24const_host_device_scalarIT4_EES3_PKT0_PKT1_PKT2_S6_PT3_21rocsparse_index_base_b ; -- Begin function _ZN9rocsparseL27csrmvn_symm_adaptive_kernelIliffffEEvbT_S1_PKS1_NS_24const_host_device_scalarIT4_EES3_PKT0_PKT1_PKT2_S6_PT3_21rocsparse_index_base_b
	.p2align	8
	.type	_ZN9rocsparseL27csrmvn_symm_adaptive_kernelIliffffEEvbT_S1_PKS1_NS_24const_host_device_scalarIT4_EES3_PKT0_PKT1_PKT2_S6_PT3_21rocsparse_index_base_b,@function
_ZN9rocsparseL27csrmvn_symm_adaptive_kernelIliffffEEvbT_S1_PKS1_NS_24const_host_device_scalarIT4_EES3_PKT0_PKT1_PKT2_S6_PT3_21rocsparse_index_base_b: ; @_ZN9rocsparseL27csrmvn_symm_adaptive_kernelIliffffEEvbT_S1_PKS1_NS_24const_host_device_scalarIT4_EES3_PKT0_PKT1_PKT2_S6_PT3_21rocsparse_index_base_b
; %bb.0:
	s_load_dwordx2 s[28:29], s[0:1], 0x58
	s_load_dwordx2 s[36:37], s[0:1], 0x20
	;; [unrolled: 1-line block ×3, first 2 shown]
	s_waitcnt lgkmcnt(0)
	s_bitcmp1_b32 s29, 0
	s_cselect_b64 s[8:9], -1, 0
	s_xor_b64 s[6:7], s[8:9], -1
	s_and_b64 vcc, exec, s[8:9]
	s_cbranch_vccnz .LBB5_2
; %bb.1:
	s_load_dword s36, s[36:37], 0x0
.LBB5_2:
	s_andn2_b64 vcc, exec, s[6:7]
	s_cbranch_vccnz .LBB5_4
; %bb.3:
	s_load_dword s4, s[4:5], 0x0
.LBB5_4:
	s_waitcnt lgkmcnt(0)
	v_cmp_neq_f32_e64 s[6:7], s36, 0
	v_cmp_neq_f32_e64 s[4:5], s4, 1.0
	s_or_b64 s[4:5], s[6:7], s[4:5]
	s_andn2_b64 vcc, exec, s[4:5]
	s_cbranch_vccnz .LBB5_149
; %bb.5:
	s_load_dwordx2 s[4:5], s[0:1], 0x18
	s_ashr_i32 s3, s2, 31
	s_lshl_b64 s[2:3], s[2:3], 3
	v_lshlrev_b32_e32 v18, 2, v0
	v_mov_b32_e32 v1, 0
	s_waitcnt lgkmcnt(0)
	s_add_u32 s2, s4, s2
	s_addc_u32 s3, s5, s3
	ds_write2st64_b32 v18, v1, v1 offset1:4
	ds_write2st64_b32 v18, v1, v1 offset0:8 offset1:12
	s_waitcnt lgkmcnt(0)
	s_barrier
	s_load_dwordx4 s[20:23], s[2:3], 0x0
	s_load_dwordx8 s[12:19], s[0:1], 0x28
	s_load_dwordx2 s[24:25], s[0:1], 0x50
	s_mov_b64 s[2:3], -1
	s_waitcnt lgkmcnt(0)
	s_sub_u32 s26, s22, s20
	s_subb_u32 s27, s23, s21
	v_cmp_gt_i64_e64 s[4:5], s[26:27], 2
	s_and_b64 vcc, exec, s[4:5]
	s_cbranch_vccnz .LBB5_36
; %bb.6:
	v_mov_b64_e32 v[2:3], s[20:21]
	v_cmp_le_i64_e32 vcc, s[22:23], v[2:3]
	v_subrev_co_u32_e64 v2, s[2:3], s28, v0
	s_nop 1
	v_subb_co_u32_e64 v3, s[2:3], 0, 0, s[2:3]
	s_cbranch_vccnz .LBB5_26
; %bb.7:
	s_movk_i32 s2, 0x100
	v_cmp_gt_u32_e64 s[2:3], s2, v0
	v_cmp_gt_u32_e64 s[4:5], 64, v0
	;; [unrolled: 1-line block ×4, first 2 shown]
	v_cmp_eq_u32_e64 s[10:11], 0, v0
	s_mov_b64 s[30:31], 0x100
	s_mov_b64 s[34:35], 0x400
	v_mov_b32_e32 v1, 0
	v_mov_b64_e32 v[4:5], s[22:23]
	s_mov_b64 s[38:39], s[20:21]
	s_branch .LBB5_9
.LBB5_8:                                ;   in Loop: Header=BB5_9 Depth=1
	s_or_b64 exec, exec, s[40:41]
	s_add_u32 s38, s38, 1
	s_addc_u32 s39, s39, 0
	v_cmp_ge_i64_e32 vcc, s[38:39], v[4:5]
	s_cbranch_vccnz .LBB5_26
.LBB5_9:                                ; =>This Loop Header: Depth=1
                                        ;     Child Loop BB5_11 Depth 2
	s_lshl_b64 s[40:41], s[38:39], 3
	s_add_u32 s40, s12, s40
	s_addc_u32 s41, s13, s41
	s_load_dwordx4 s[44:47], s[40:41], 0x0
	v_mov_b32_e32 v12, 0
	s_waitcnt lgkmcnt(0)
	s_sub_u32 s40, s46, s28
	v_lshl_add_u64 v[6:7], s[44:45], 0, v[2:3]
	s_subb_u32 s41, s47, 0
	v_cmp_gt_i64_e32 vcc, s[40:41], v[6:7]
	s_and_saveexec_b64 s[42:43], vcc
	s_cbranch_execz .LBB5_13
; %bb.10:                               ;   in Loop: Header=BB5_9 Depth=1
	v_lshlrev_b64 v[10:11], 2, v[6:7]
	v_lshl_add_u64 v[8:9], s[14:15], 0, v[10:11]
	v_lshl_add_u64 v[10:11], s[16:17], 0, v[10:11]
	v_mov_b32_e32 v12, 0
	s_mov_b64 s[44:45], 0
.LBB5_11:                               ;   Parent Loop BB5_9 Depth=1
                                        ; =>  This Inner Loop Header: Depth=2
	global_load_dword v13, v[8:9], off
	global_load_dword v16, v[10:11], off
	v_lshl_add_u64 v[6:7], v[6:7], 0, s[30:31]
	v_cmp_le_i64_e32 vcc, s[40:41], v[6:7]
	v_lshl_add_u64 v[8:9], v[8:9], 0, s[34:35]
	v_lshl_add_u64 v[10:11], v[10:11], 0, s[34:35]
	s_or_b64 s[44:45], vcc, s[44:45]
	s_waitcnt vmcnt(1)
	v_subrev_u32_e32 v14, s28, v13
	v_ashrrev_i32_e32 v15, 31, v14
	v_lshl_add_u64 v[14:15], v[14:15], 2, s[18:19]
	global_load_dword v13, v[14:15], off
	s_waitcnt vmcnt(0)
	v_fmac_f32_e32 v12, v16, v13
	s_andn2_b64 exec, exec, s[44:45]
	s_cbranch_execnz .LBB5_11
; %bb.12:                               ;   in Loop: Header=BB5_9 Depth=1
	s_or_b64 exec, exec, s[44:45]
.LBB5_13:                               ;   in Loop: Header=BB5_9 Depth=1
	s_or_b64 exec, exec, s[42:43]
	ds_write_b32 v18, v12
	s_waitcnt lgkmcnt(0)
	s_barrier
	s_and_saveexec_b64 s[40:41], s[2:3]
	s_cbranch_execz .LBB5_15
; %bb.14:                               ;   in Loop: Header=BB5_9 Depth=1
	ds_read2st64_b32 v[6:7], v18 offset1:4
	ds_read2st64_b32 v[8:9], v18 offset0:8 offset1:12
	s_waitcnt lgkmcnt(0)
	v_add_f32_e32 v7, v7, v8
	v_add_f32_e32 v7, v7, v9
	;; [unrolled: 1-line block ×3, first 2 shown]
	ds_write_b32 v18, v6
.LBB5_15:                               ;   in Loop: Header=BB5_9 Depth=1
	s_or_b64 exec, exec, s[40:41]
	s_waitcnt lgkmcnt(0)
	s_barrier
	s_and_saveexec_b64 s[40:41], s[4:5]
	s_cbranch_execz .LBB5_17
; %bb.16:                               ;   in Loop: Header=BB5_9 Depth=1
	ds_read2st64_b32 v[6:7], v18 offset1:1
	ds_read2st64_b32 v[8:9], v18 offset0:2 offset1:3
	s_waitcnt lgkmcnt(0)
	v_add_f32_e32 v7, v7, v8
	v_add_f32_e32 v7, v7, v9
	;; [unrolled: 1-line block ×3, first 2 shown]
	ds_write_b32 v18, v6
.LBB5_17:                               ;   in Loop: Header=BB5_9 Depth=1
	s_or_b64 exec, exec, s[40:41]
	s_waitcnt lgkmcnt(0)
	s_barrier
	s_and_saveexec_b64 s[40:41], s[6:7]
	s_cbranch_execz .LBB5_19
; %bb.18:                               ;   in Loop: Header=BB5_9 Depth=1
	ds_read2_b32 v[6:7], v18 offset1:16
	ds_read2_b32 v[8:9], v18 offset0:32 offset1:48
	s_waitcnt lgkmcnt(0)
	v_add_f32_e32 v7, v7, v8
	v_add_f32_e32 v7, v7, v9
	;; [unrolled: 1-line block ×3, first 2 shown]
	ds_write_b32 v18, v6
.LBB5_19:                               ;   in Loop: Header=BB5_9 Depth=1
	s_or_b64 exec, exec, s[40:41]
	s_waitcnt lgkmcnt(0)
	s_barrier
	s_and_saveexec_b64 s[40:41], s[8:9]
	s_cbranch_execz .LBB5_21
; %bb.20:                               ;   in Loop: Header=BB5_9 Depth=1
	ds_read2_b32 v[6:7], v18 offset1:4
	ds_read2_b32 v[8:9], v18 offset0:8 offset1:12
	s_waitcnt lgkmcnt(0)
	v_add_f32_e32 v7, v7, v8
	v_add_f32_e32 v7, v7, v9
	;; [unrolled: 1-line block ×3, first 2 shown]
	ds_write_b32 v18, v6
.LBB5_21:                               ;   in Loop: Header=BB5_9 Depth=1
	s_or_b64 exec, exec, s[40:41]
	s_waitcnt lgkmcnt(0)
	s_barrier
	s_and_saveexec_b64 s[40:41], s[10:11]
	s_cbranch_execz .LBB5_23
; %bb.22:                               ;   in Loop: Header=BB5_9 Depth=1
	ds_read2_b32 v[6:7], v1 offset0:1 offset1:2
	ds_read_b32 v8, v1 offset:12
	ds_read_b32 v9, v18
	s_waitcnt lgkmcnt(2)
	v_add_f32_e32 v6, v6, v7
	s_waitcnt lgkmcnt(1)
	v_add_f32_e32 v6, v6, v8
	;; [unrolled: 2-line block ×3, first 2 shown]
	ds_write_b32 v18, v6
.LBB5_23:                               ;   in Loop: Header=BB5_9 Depth=1
	s_or_b64 exec, exec, s[40:41]
	s_waitcnt lgkmcnt(0)
	s_barrier
	s_and_saveexec_b64 s[40:41], s[10:11]
	s_cbranch_execz .LBB5_8
; %bb.24:                               ;   in Loop: Header=BB5_9 Depth=1
	s_mov_b64 s[42:43], exec
	v_mbcnt_lo_u32_b32 v6, s42, 0
	v_mbcnt_hi_u32_b32 v6, s43, v6
	v_cmp_eq_u32_e32 vcc, 0, v6
	s_and_b64 s[44:45], exec, vcc
	s_mov_b64 exec, s[44:45]
	s_cbranch_execz .LBB5_8
; %bb.25:                               ;   in Loop: Header=BB5_9 Depth=1
	ds_read_b32 v6, v1
	s_lshl_b64 s[44:45], s[38:39], 2
	s_add_u32 s44, s24, s44
	s_addc_u32 s45, s25, s45
	s_bcnt1_i32_b64 s29, s[42:43]
	s_waitcnt lgkmcnt(0)
	v_mul_f32_e32 v6, s36, v6
	v_cvt_f32_ubyte0_e32 v7, s29
	v_mul_f32_e32 v6, v6, v7
	global_atomic_add_f32 v1, v6, s[44:45]
	s_branch .LBB5_8
.LBB5_26:
	s_lshl_b64 s[2:3], s[20:21], 3
	s_add_u32 s2, s12, s2
	s_addc_u32 s3, s13, s3
	s_lshl_b64 s[4:5], s[22:23], 3
	s_add_u32 s4, s12, s4
	s_addc_u32 s5, s13, s5
	s_load_dwordx2 s[6:7], s[4:5], 0x0
	s_load_dwordx2 s[8:9], s[2:3], 0x0
	s_waitcnt lgkmcnt(0)
	s_sub_u32 s6, s6, s28
	s_subb_u32 s7, s7, 0
	v_lshl_add_u64 v[2:3], s[8:9], 0, v[2:3]
	v_cmp_gt_i64_e32 vcc, s[6:7], v[2:3]
	s_and_saveexec_b64 s[8:9], vcc
	s_cbranch_execz .LBB5_35
; %bb.27:
	s_add_u32 s10, s22, -1
	s_addc_u32 s11, s23, -1
	s_add_u32 s2, s22, -2
	s_addc_u32 s3, s23, -1
	v_mov_b64_e32 v[4:5], s[10:11]
	s_cmp_lg_u64 s[20:21], s[2:3]
	v_cmp_lt_i64_e32 vcc, s[20:21], v[4:5]
	s_cselect_b64 s[2:3], -1, 0
	s_and_b64 s[2:3], vcc, s[2:3]
	v_cndmask_b32_e64 v1, 0, 1, s[2:3]
	s_mov_b64 s[30:31], 0
	v_cmp_ne_u32_e64 s[2:3], 1, v1
	v_mov_b32_e32 v5, 0
	s_mov_b64 s[34:35], 0x100
	s_branch .LBB5_29
.LBB5_28:                               ;   in Loop: Header=BB5_29 Depth=1
	s_or_b64 exec, exec, s[4:5]
	v_lshl_add_u64 v[2:3], v[2:3], 0, s[34:35]
	v_cmp_le_i64_e32 vcc, s[6:7], v[2:3]
	s_or_b64 s[30:31], vcc, s[30:31]
	s_andn2_b64 exec, exec, s[30:31]
	s_cbranch_execz .LBB5_35
.LBB5_29:                               ; =>This Loop Header: Depth=1
                                        ;     Child Loop BB5_31 Depth 2
	s_and_b64 vcc, exec, s[2:3]
	v_mov_b64_e32 v[6:7], s[20:21]
	v_mov_b64_e32 v[8:9], s[10:11]
	s_cbranch_vccnz .LBB5_33
; %bb.30:                               ;   in Loop: Header=BB5_29 Depth=1
	s_mov_b64 s[38:39], 0
	v_mov_b64_e32 v[6:7], s[20:21]
	v_mov_b64_e32 v[8:9], s[10:11]
.LBB5_31:                               ;   Parent Loop BB5_29 Depth=1
                                        ; =>  This Inner Loop Header: Depth=2
	v_lshl_add_u64 v[10:11], v[8:9], 0, v[6:7]
	v_lshrrev_b32_e32 v4, 31, v11
	v_lshl_add_u64 v[10:11], v[10:11], 0, v[4:5]
	v_ashrrev_i64 v[10:11], 1, v[10:11]
	v_lshl_add_u64 v[12:13], v[10:11], 3, s[12:13]
	global_load_dwordx2 v[12:13], v[12:13], off
	s_waitcnt vmcnt(0)
	v_subrev_co_u32_e32 v12, vcc, s28, v12
	s_nop 1
	v_subbrev_co_u32_e32 v13, vcc, 0, v13, vcc
	v_cmp_lt_i64_e32 vcc, v[2:3], v[12:13]
	s_nop 1
	v_cndmask_b32_e32 v9, v9, v11, vcc
	v_cndmask_b32_e32 v8, v8, v10, vcc
	;; [unrolled: 1-line block ×4, first 2 shown]
	v_lshl_add_u64 v[10:11], v[8:9], 0, -1
	v_cmp_ge_i64_e32 vcc, v[6:7], v[8:9]
	v_cmp_eq_u64_e64 s[4:5], v[6:7], v[10:11]
	s_or_b64 s[4:5], vcc, s[4:5]
	s_and_b64 s[4:5], exec, s[4:5]
	s_or_b64 s[38:39], s[4:5], s[38:39]
	s_andn2_b64 exec, exec, s[38:39]
	s_cbranch_execnz .LBB5_31
; %bb.32:                               ;   in Loop: Header=BB5_29 Depth=1
	s_or_b64 exec, exec, s[38:39]
.LBB5_33:                               ;   in Loop: Header=BB5_29 Depth=1
	v_lshl_add_u64 v[10:11], v[8:9], 3, s[12:13]
	global_load_dwordx2 v[10:11], v[10:11], off
	v_lshl_add_u64 v[12:13], v[2:3], 2, s[14:15]
	global_load_dword v1, v[12:13], off
	s_waitcnt vmcnt(1)
	v_subrev_co_u32_e32 v12, vcc, s28, v10
	s_nop 1
	v_subbrev_co_u32_e32 v13, vcc, 0, v11, vcc
	s_waitcnt vmcnt(0)
	v_subrev_u32_e32 v10, s28, v1
	v_cmp_lt_i64_e32 vcc, v[2:3], v[12:13]
	v_ashrrev_i32_e32 v11, 31, v10
	s_nop 0
	v_cndmask_b32_e32 v7, v9, v7, vcc
	v_cndmask_b32_e32 v6, v8, v6, vcc
	v_cmp_ne_u64_e32 vcc, v[6:7], v[10:11]
	s_and_saveexec_b64 s[4:5], vcc
	s_cbranch_execz .LBB5_28
; %bb.34:                               ;   in Loop: Header=BB5_29 Depth=1
	v_lshl_add_u64 v[8:9], v[2:3], 2, s[16:17]
	global_load_dword v1, v[8:9], off
	v_lshl_add_u64 v[6:7], v[6:7], 2, s[18:19]
	global_load_dword v4, v[6:7], off
	v_lshl_add_u64 v[6:7], v[10:11], 2, s[24:25]
	s_waitcnt vmcnt(1)
	v_mul_f32_e32 v1, s36, v1
	s_waitcnt vmcnt(0)
	v_mul_f32_e32 v1, v1, v4
	global_atomic_add_f32 v[6:7], v1, off
	s_branch .LBB5_28
.LBB5_35:
	s_or_b64 exec, exec, s[8:9]
	s_mov_b64 s[2:3], 0
.LBB5_36:
	s_and_b64 vcc, exec, s[2:3]
	s_cbranch_vccz .LBB5_149
; %bb.37:
	s_load_dword s2, s[0:1], 0x6c
	s_mov_b32 s31, 0
	v_mov_b64_e32 v[2:3], s[26:27]
	s_mov_b64 s[34:35], 0
	s_waitcnt lgkmcnt(0)
	s_and_b32 s30, s2, 0xffff
	v_cmp_lt_u64_e32 vcc, s[30:31], v[2:3]
	s_cbranch_vccnz .LBB5_39
; %bb.38:
	v_cvt_f32_u32_e32 v1, s26
	s_sub_i32 s2, 0, s26
	v_rcp_iflag_f32_e32 v1, v1
	s_nop 0
	v_mul_f32_e32 v1, 0x4f7ffffe, v1
	v_cvt_u32_f32_e32 v1, v1
	s_nop 0
	v_readfirstlane_b32 s3, v1
	s_mul_i32 s2, s2, s3
	s_mul_hi_u32 s2, s3, s2
	s_add_i32 s3, s3, s2
	s_mul_hi_u32 s2, s30, s3
	s_mul_i32 s4, s2, s26
	s_sub_i32 s4, s30, s4
	s_add_i32 s3, s2, 1
	s_sub_i32 s5, s4, s26
	s_cmp_ge_u32 s4, s26
	s_cselect_b32 s2, s3, s2
	s_cselect_b32 s4, s5, s4
	s_add_i32 s3, s2, 1
	s_cmp_ge_u32 s4, s26
	s_cselect_b32 s34, s3, s2
.LBB5_39:
	s_load_dwordx4 s[4:7], s[0:1], 0x8
	s_lshl_b64 s[0:1], s[20:21], 3
	s_add_u32 s10, s12, s0
	s_addc_u32 s11, s13, s1
	s_load_dwordx2 s[8:9], s[10:11], 0x0
	v_subrev_co_u32_e32 v2, vcc, s28, v0
	v_mov_b32_e32 v1, 0
	s_nop 0
	v_subb_co_u32_e64 v3, s[0:1], 0, 0, vcc
	s_waitcnt lgkmcnt(0)
	v_lshl_add_u64 v[10:11], s[8:9], 0, v[2:3]
	s_mov_b64 s[0:1], 0x300
	v_lshl_add_u64 v[8:9], v[10:11], 0, s[0:1]
	v_cmp_le_i64_e32 vcc, s[4:5], v[8:9]
	s_and_saveexec_b64 s[0:1], vcc
	s_xor_b64 s[2:3], exec, s[0:1]
	s_cbranch_execnz .LBB5_42
; %bb.40:
	s_andn2_saveexec_b64 s[0:1], s[2:3]
	s_cbranch_execnz .LBB5_53
.LBB5_41:
	s_or_b64 exec, exec, s[0:1]
	v_cmp_gt_i64_e64 s[0:1], s[6:7], v[0:1]
	s_and_saveexec_b64 s[2:3], s[0:1]
	s_cbranch_execnz .LBB5_54
	s_branch .LBB5_61
.LBB5_42:
	s_lshl_b64 s[0:1], s[22:23], 3
	s_add_u32 s0, s12, s0
	s_addc_u32 s1, s13, s1
	s_load_dwordx2 s[40:41], s[0:1], 0x0
	s_waitcnt lgkmcnt(0)
	s_sub_u32 s4, s40, s8
	s_subb_u32 s5, s41, s9
	v_cmp_gt_i64_e64 s[0:1], s[4:5], v[0:1]
	s_and_saveexec_b64 s[38:39], s[0:1]
	s_cbranch_execz .LBB5_52
; %bb.43:
	s_not_b64 s[0:1], s[8:9]
	s_add_u32 s0, s40, s0
	s_addc_u32 s1, s41, s1
	v_mov_b32_e32 v2, s1
	v_sub_co_u32_e64 v4, s[0:1], s0, v0
	s_mov_b64 s[42:43], 0
	s_nop 0
	v_subbrev_co_u32_e64 v5, s[0:1], 0, v2, s[0:1]
	s_mov_b64 s[0:1], 0xff
	s_nop 0
	v_cmp_lt_u64_e64 s[0:1], s[0:1], v[4:5]
	v_lshlrev_b64 v[2:3], 2, v[10:11]
                                        ; implicit-def: $vgpr12_vgpr13
	s_and_saveexec_b64 s[40:41], s[0:1]
	s_xor_b64 s[40:41], exec, s[40:41]
	s_cbranch_execnz .LBB5_46
; %bb.44:
	s_andn2_saveexec_b64 s[0:1], s[40:41]
	s_cbranch_execnz .LBB5_49
.LBB5_45:
	s_or_b64 exec, exec, s[0:1]
	s_and_b64 exec, exec, s[42:43]
	s_cbranch_execnz .LBB5_50
	s_branch .LBB5_52
.LBB5_46:
	v_lshrrev_b64 v[2:3], 8, v[4:5]
	v_lshl_add_u64 v[4:5], v[2:3], 0, 1
	v_lshlrev_b64 v[2:3], 2, v[10:11]
	v_and_b32_e32 v6, -2, v4
	v_mov_b32_e32 v7, v5
	v_lshl_add_u64 v[12:13], s[16:17], 0, v[2:3]
	s_mov_b64 s[0:1], 0x400
	s_mov_b32 s37, s36
	v_lshl_add_u64 v[12:13], v[12:13], 0, s[0:1]
	s_mov_b64 s[44:45], 0x100
	s_mov_b64 s[46:47], 0x800
	v_mov_b64_e32 v[14:15], v[6:7]
	s_mov_b64 s[48:49], 0
.LBB5_47:                               ; =>This Inner Loop Header: Depth=1
	global_load_dword v16, v[12:13], off offset:-1024
	global_load_dword v17, v[12:13], off
	v_lshl_add_u32 v19, s48, 2, v18
	s_add_u32 s48, s48, 0x200
	s_addc_u32 s49, s49, 0
	v_lshl_add_u32 v20, s44, 2, v18
	v_lshl_add_u64 v[14:15], v[14:15], 0, -2
	s_add_u32 s44, s44, 0x200
	v_cmp_eq_u64_e64 s[0:1], 0, v[14:15]
	s_addc_u32 s45, s45, 0
	v_lshl_add_u64 v[12:13], v[12:13], 0, s[46:47]
	s_or_b64 s[42:43], s[0:1], s[42:43]
	s_waitcnt vmcnt(0)
	v_pk_mul_f32 v[16:17], s[36:37], v[16:17]
	ds_write_b32 v19, v16
	ds_write_b32 v20, v17
	s_andn2_b64 exec, exec, s[42:43]
	s_cbranch_execnz .LBB5_47
; %bb.48:
	s_or_b64 exec, exec, s[42:43]
	v_cmp_ne_u64_e64 s[0:1], v[4:5], v[6:7]
	v_lshlrev_b64 v[12:13], 8, v[6:7]
	s_and_b64 s[42:43], s[0:1], exec
	s_andn2_saveexec_b64 s[0:1], s[40:41]
	s_cbranch_execz .LBB5_45
.LBB5_49:
	v_mov_b64_e32 v[12:13], 0
	s_or_b64 s[42:43], s[42:43], exec
	s_or_b64 exec, exec, s[0:1]
	s_and_b64 exec, exec, s[42:43]
	s_cbranch_execz .LBB5_52
.LBB5_50:
	v_lshl_add_u64 v[2:3], v[12:13], 2, v[2:3]
	v_lshlrev_b32_e32 v6, 2, v12
	v_lshl_add_u64 v[2:3], s[16:17], 0, v[2:3]
	v_lshl_add_u64 v[4:5], v[12:13], 0, v[0:1]
	v_lshl_add_u32 v6, v0, 2, v6
	s_mov_b64 s[40:41], 0
	s_mov_b64 s[42:43], 0x400
	;; [unrolled: 1-line block ×3, first 2 shown]
.LBB5_51:                               ; =>This Inner Loop Header: Depth=1
	global_load_dword v7, v[2:3], off
	v_lshl_add_u64 v[4:5], v[4:5], 0, s[44:45]
	v_cmp_le_i64_e64 s[0:1], s[4:5], v[4:5]
	v_lshl_add_u64 v[2:3], v[2:3], 0, s[42:43]
	s_or_b64 s[40:41], s[0:1], s[40:41]
	s_waitcnt vmcnt(0)
	v_mul_f32_e32 v7, s36, v7
	ds_write_b32 v6, v7
	v_add_u32_e32 v6, 0x400, v6
	s_andn2_b64 exec, exec, s[40:41]
	s_cbranch_execnz .LBB5_51
.LBB5_52:
	s_or_b64 exec, exec, s[38:39]
	s_andn2_saveexec_b64 s[0:1], s[2:3]
	s_cbranch_execz .LBB5_41
.LBB5_53:
	v_lshl_add_u64 v[2:3], v[10:11], 2, s[16:17]
	global_load_dword v4, v[2:3], off
	global_load_dword v5, v[2:3], off offset:1024
	global_load_dword v6, v[2:3], off offset:2048
	;; [unrolled: 1-line block ×3, first 2 shown]
	s_waitcnt vmcnt(3)
	v_mul_f32_e32 v2, s36, v4
	s_waitcnt vmcnt(2)
	v_mul_f32_e32 v3, s36, v5
	;; [unrolled: 2-line block ×4, first 2 shown]
	ds_write2st64_b32 v18, v2, v3 offset1:4
	ds_write2st64_b32 v18, v4, v5 offset0:8 offset1:12
	s_or_b64 exec, exec, s[0:1]
	v_cmp_gt_i64_e64 s[0:1], s[6:7], v[0:1]
	s_and_saveexec_b64 s[2:3], s[0:1]
	s_cbranch_execz .LBB5_61
.LBB5_54:
	v_mov_b32_e32 v3, -1
	v_not_b32_e32 v2, v0
	v_lshl_add_u64 v[4:5], s[6:7], 0, v[2:3]
	s_mov_b64 s[0:1], 0xff
	v_cmp_lt_u64_e64 s[0:1], s[0:1], v[4:5]
	s_mov_b64 s[16:17], -1
	v_mov_b64_e32 v[2:3], v[0:1]
	s_and_saveexec_b64 s[4:5], s[0:1]
	s_cbranch_execz .LBB5_58
; %bb.55:
	v_lshrrev_b64 v[2:3], 8, v[4:5]
	v_lshl_add_u64 v[12:13], v[2:3], 0, 1
	v_mov_b32_e32 v3, 0
	v_or_b32_e32 v4, 0x100, v0
	v_mov_b32_e32 v5, v3
	v_and_b32_e32 v14, -2, v12
	v_mov_b32_e32 v15, v13
	v_mov_b32_e32 v2, v0
	v_mov_b64_e32 v[6:7], v[4:5]
	s_mov_b64 s[16:17], 0
	v_mov_b32_e32 v19, 0x1000
	s_mov_b64 s[36:37], 0x200
	v_mov_b64_e32 v[16:17], v[14:15]
	v_mov_b64_e32 v[4:5], v[2:3]
.LBB5_56:                               ; =>This Inner Loop Header: Depth=1
	v_lshl_add_u64 v[16:17], v[16:17], 0, -2
	v_cmp_eq_u64_e64 s[0:1], 0, v[16:17]
	v_lshl_add_u32 v2, v4, 2, v19
	v_lshl_add_u32 v20, v6, 2, v19
	v_lshl_add_u64 v[6:7], v[6:7], 0, s[36:37]
	v_lshl_add_u64 v[4:5], v[4:5], 0, s[36:37]
	s_or_b64 s[16:17], s[0:1], s[16:17]
	ds_write_b32 v2, v3
	ds_write_b32 v20, v3
	s_andn2_b64 exec, exec, s[16:17]
	s_cbranch_execnz .LBB5_56
; %bb.57:
	s_or_b64 exec, exec, s[16:17]
	v_lshlrev_b64 v[2:3], 8, v[14:15]
	v_cmp_ne_u64_e64 s[0:1], v[12:13], v[14:15]
	v_or_b32_e32 v2, v2, v0
	s_orn2_b64 s[16:17], s[0:1], exec
.LBB5_58:
	s_or_b64 exec, exec, s[4:5]
	s_and_b64 exec, exec, s[16:17]
	s_cbranch_execz .LBB5_61
; %bb.59:
	v_mov_b32_e32 v4, 0x1000
	v_lshl_add_u32 v4, v2, 2, v4
	s_mov_b64 s[4:5], 0
	v_mov_b32_e32 v5, 0
	s_mov_b64 s[16:17], 0x100
.LBB5_60:                               ; =>This Inner Loop Header: Depth=1
	v_lshl_add_u64 v[2:3], v[2:3], 0, s[16:17]
	v_cmp_le_i64_e64 s[0:1], s[6:7], v[2:3]
	ds_write_b32 v4, v5
	s_or_b64 s[4:5], s[0:1], s[4:5]
	v_add_u32_e32 v4, 0x400, v4
	s_andn2_b64 exec, exec, s[4:5]
	s_cbranch_execnz .LBB5_60
.LBB5_61:
	s_or_b64 exec, exec, s[2:3]
	s_sub_u32 s2, s22, s6
	v_mov_b64_e32 v[2:3], s[6:7]
	s_subb_u32 s3, s23, s7
	v_cmp_ge_i64_e64 s[0:1], s[22:23], v[2:3]
	s_and_b64 s[0:1], s[0:1], exec
	s_cselect_b32 s5, s3, 0
	s_cselect_b32 s4, s2, 0
	s_waitcnt lgkmcnt(0)
	s_barrier
	s_and_saveexec_b64 s[0:1], vcc
	s_xor_b64 s[16:17], exec, s[0:1]
	s_cbranch_execz .LBB5_78
; %bb.62:
	s_lshl_b64 s[0:1], s[22:23], 3
	s_add_u32 s0, s12, s0
	s_addc_u32 s1, s13, s1
	s_load_dwordx2 s[0:1], s[0:1], 0x0
	s_waitcnt lgkmcnt(0)
	s_sub_u32 s36, s0, s8
	s_subb_u32 s37, s1, s9
	v_cmp_gt_i64_e32 vcc, s[36:37], v[0:1]
	s_and_saveexec_b64 s[38:39], vcc
	s_cbranch_execz .LBB5_77
; %bb.63:
	s_add_u32 s40, s22, -1
	s_addc_u32 s41, s23, -1
	s_add_u32 s2, s22, -2
	s_addc_u32 s3, s23, -1
	s_cmp_lg_u64 s[20:21], s[2:3]
	s_cselect_b64 s[2:3], -1, 0
	s_sub_u32 s42, s0, s28
	v_cndmask_b32_e64 v2, 0, 1, s[2:3]
	s_subb_u32 s43, s1, 0
	s_mov_b64 s[44:45], 0
	v_cmp_ne_u32_e64 s[0:1], 1, v2
	v_mov_b32_e32 v3, 0
	v_mov_b32_e32 v16, 0x1000
	s_mov_b64 s[46:47], 0
	s_branch .LBB5_66
.LBB5_64:                               ;   in Loop: Header=BB5_66 Depth=1
	s_or_b64 exec, exec, s[2:3]
.LBB5_65:                               ;   in Loop: Header=BB5_66 Depth=1
	s_or_b64 exec, exec, s[48:49]
	v_lshl_add_u64 v[6:7], v[6:7], 2, s[18:19]
	global_load_dword v6, v[6:7], off
	s_add_u32 s46, s46, 0x100
	s_addc_u32 s47, s47, 0
	v_lshlrev_b32_e32 v7, 2, v4
	v_lshl_add_u64 v[4:5], s[46:47], 0, v[0:1]
	v_cmp_le_i64_e32 vcc, s[36:37], v[4:5]
	s_or_b64 s[44:45], vcc, s[44:45]
	s_waitcnt vmcnt(0) lgkmcnt(0)
	v_mul_f32_e32 v2, v6, v2
	ds_write_b32 v7, v2
	s_andn2_b64 exec, exec, s[44:45]
	s_cbranch_execz .LBB5_77
.LBB5_66:                               ; =>This Loop Header: Depth=1
                                        ;     Child Loop BB5_68 Depth 2
	v_lshl_add_u64 v[8:9], s[46:47], 0, v[10:11]
	s_and_b64 vcc, exec, s[0:1]
	v_mov_b64_e32 v[12:13], s[20:21]
	v_mov_b64_e32 v[14:15], s[40:41]
	s_cbranch_vccnz .LBB5_70
; %bb.67:                               ;   in Loop: Header=BB5_66 Depth=1
	s_mov_b64 s[48:49], 0
	v_mov_b64_e32 v[12:13], s[20:21]
	v_mov_b64_e32 v[14:15], s[40:41]
.LBB5_68:                               ;   Parent Loop BB5_66 Depth=1
                                        ; =>  This Inner Loop Header: Depth=2
	v_lshl_add_u64 v[4:5], v[14:15], 0, v[12:13]
	v_lshrrev_b32_e32 v2, 31, v5
	v_lshl_add_u64 v[4:5], v[4:5], 0, v[2:3]
	v_ashrrev_i64 v[4:5], 1, v[4:5]
	v_lshl_add_u64 v[6:7], v[4:5], 3, s[12:13]
	global_load_dwordx2 v[6:7], v[6:7], off
	s_waitcnt vmcnt(0)
	v_subrev_co_u32_e32 v6, vcc, s28, v6
	s_nop 1
	v_subbrev_co_u32_e32 v7, vcc, 0, v7, vcc
	v_cmp_lt_i64_e32 vcc, v[8:9], v[6:7]
	s_nop 1
	v_cndmask_b32_e32 v15, v15, v5, vcc
	v_cndmask_b32_e32 v14, v14, v4, vcc
	;; [unrolled: 1-line block ×4, first 2 shown]
	v_lshl_add_u64 v[4:5], v[14:15], 0, -1
	v_cmp_ge_i64_e32 vcc, v[12:13], v[14:15]
	v_cmp_eq_u64_e64 s[2:3], v[12:13], v[4:5]
	s_or_b64 s[2:3], vcc, s[2:3]
	s_and_b64 s[2:3], exec, s[2:3]
	s_or_b64 s[48:49], s[2:3], s[48:49]
	s_andn2_b64 exec, exec, s[48:49]
	s_cbranch_execnz .LBB5_68
; %bb.69:                               ;   in Loop: Header=BB5_66 Depth=1
	s_or_b64 exec, exec, s[48:49]
.LBB5_70:                               ;   in Loop: Header=BB5_66 Depth=1
	v_lshl_add_u64 v[4:5], v[14:15], 3, s[12:13]
	global_load_dwordx2 v[6:7], v[4:5], off
	v_lshl_add_u64 v[4:5], v[8:9], 2, s[14:15]
	global_load_dword v2, v[4:5], off
	v_cmp_le_i64_e32 vcc, s[42:43], v[8:9]
	v_lshl_add_u64 v[4:5], s[46:47], 0, v[0:1]
	v_lshlrev_b32_e32 v5, 2, v4
	s_waitcnt vmcnt(1)
	v_subrev_co_u32_e64 v20, s[2:3], s28, v6
	s_nop 1
	v_subbrev_co_u32_e64 v21, s[2:3], 0, v7, s[2:3]
	s_waitcnt vmcnt(0)
	v_subrev_u32_e32 v6, s28, v2
	v_cmp_lt_i64_e64 s[2:3], v[8:9], v[20:21]
	v_ashrrev_i32_e32 v7, 31, v6
                                        ; implicit-def: $vgpr2
	s_nop 0
	v_cndmask_b32_e64 v9, v15, v13, s[2:3]
	v_cndmask_b32_e64 v8, v14, v12, s[2:3]
	v_cmp_eq_u64_e64 s[2:3], v[8:9], v[6:7]
	s_or_b64 s[2:3], s[2:3], vcc
	s_and_saveexec_b64 s[48:49], s[2:3]
	s_xor_b64 s[2:3], exec, s[48:49]
; %bb.71:                               ;   in Loop: Header=BB5_66 Depth=1
	ds_read_b32 v2, v5
                                        ; implicit-def: $vgpr5
                                        ; implicit-def: $vgpr8_vgpr9
; %bb.72:                               ;   in Loop: Header=BB5_66 Depth=1
	s_andn2_saveexec_b64 s[48:49], s[2:3]
	s_cbranch_execz .LBB5_65
; %bb.73:                               ;   in Loop: Header=BB5_66 Depth=1
	v_cmp_gt_i64_e32 vcc, s[4:5], v[6:7]
	v_cmp_le_i64_e64 s[2:3], s[22:23], v[6:7]
	s_or_b64 s[2:3], vcc, s[2:3]
	v_lshl_add_u64 v[8:9], v[8:9], 2, s[18:19]
                                        ; implicit-def: $vgpr2
	s_and_saveexec_b64 s[50:51], s[2:3]
	s_xor_b64 s[2:3], exec, s[50:51]
	s_cbranch_execz .LBB5_75
; %bb.74:                               ;   in Loop: Header=BB5_66 Depth=1
	global_load_dword v12, v[8:9], off
	s_waitcnt lgkmcnt(0)
	ds_read_b32 v2, v5
	v_lshl_add_u64 v[8:9], v[6:7], 2, s[24:25]
	s_waitcnt vmcnt(0) lgkmcnt(0)
	v_mul_f32_e32 v5, v2, v12
	global_atomic_add_f32 v[8:9], v5, off
                                        ; implicit-def: $vgpr5
                                        ; implicit-def: $vgpr8_vgpr9
.LBB5_75:                               ;   in Loop: Header=BB5_66 Depth=1
	s_andn2_saveexec_b64 s[2:3], s[2:3]
	s_cbranch_execz .LBB5_64
; %bb.76:                               ;   in Loop: Header=BB5_66 Depth=1
	global_load_dword v8, v[8:9], off
	s_waitcnt lgkmcnt(0)
	ds_read_b32 v2, v5
	v_subrev_u32_e32 v5, s4, v6
	v_lshl_add_u32 v5, v5, 2, v16
	s_waitcnt vmcnt(0) lgkmcnt(0)
	v_mul_f32_e32 v8, v2, v8
	ds_add_f32 v5, v8
	s_branch .LBB5_64
.LBB5_77:
	s_or_b64 exec, exec, s[38:39]
                                        ; implicit-def: $vgpr8_vgpr9
                                        ; implicit-def: $vgpr10_vgpr11
.LBB5_78:
	s_andn2_saveexec_b64 s[16:17], s[16:17]
	s_cbranch_execz .LBB5_120
; %bb.79:
	s_add_u32 s36, s22, -1
	s_addc_u32 s37, s23, -1
	s_add_u32 s0, s22, -2
	s_addc_u32 s1, s23, -1
	s_cmp_lg_u64 s[20:21], s[0:1]
	s_cselect_b64 s[2:3], -1, 0
	s_cmp_eq_u64 s[20:21], s[0:1]
	v_mov_b64_e32 v[4:5], s[20:21]
	v_mov_b64_e32 v[6:7], s[36:37]
	s_cbranch_scc1 .LBB5_83
; %bb.80:
	s_mov_b64 s[38:39], 0
	v_mov_b64_e32 v[4:5], s[20:21]
	v_mov_b64_e32 v[6:7], s[36:37]
	v_mov_b32_e32 v3, 0
.LBB5_81:                               ; =>This Inner Loop Header: Depth=1
	v_lshl_add_u64 v[12:13], v[6:7], 0, v[4:5]
	v_lshrrev_b32_e32 v2, 31, v13
	v_lshl_add_u64 v[12:13], v[12:13], 0, v[2:3]
	v_ashrrev_i64 v[12:13], 1, v[12:13]
	v_lshl_add_u64 v[14:15], v[12:13], 3, s[12:13]
	global_load_dwordx2 v[14:15], v[14:15], off
	s_waitcnt vmcnt(0)
	v_subrev_co_u32_e32 v14, vcc, s28, v14
	s_nop 1
	v_subbrev_co_u32_e32 v15, vcc, 0, v15, vcc
	v_cmp_lt_i64_e32 vcc, v[10:11], v[14:15]
	s_nop 1
	v_cndmask_b32_e32 v7, v7, v13, vcc
	v_cndmask_b32_e32 v6, v6, v12, vcc
	;; [unrolled: 1-line block ×4, first 2 shown]
	v_lshl_add_u64 v[12:13], v[6:7], 0, -1
	v_cmp_ge_i64_e32 vcc, v[4:5], v[6:7]
	v_cmp_eq_u64_e64 s[0:1], v[4:5], v[12:13]
	s_or_b64 s[0:1], vcc, s[0:1]
	s_and_b64 s[0:1], exec, s[0:1]
	s_or_b64 s[38:39], s[0:1], s[38:39]
	s_andn2_b64 exec, exec, s[38:39]
	s_cbranch_execnz .LBB5_81
; %bb.82:
	s_or_b64 exec, exec, s[38:39]
.LBB5_83:
	v_lshl_add_u64 v[2:3], v[6:7], 3, s[12:13]
	global_load_dwordx2 v[12:13], v[2:3], off
	v_lshl_add_u64 v[2:3], v[10:11], 2, s[14:15]
	global_load_dword v16, v[2:3], off
	s_lshl_b64 s[0:1], s[22:23], 3
	s_add_u32 s14, s12, s0
	s_addc_u32 s15, s13, s1
	s_waitcnt vmcnt(1)
	v_subrev_co_u32_e32 v14, vcc, s28, v12
	s_nop 1
	v_subbrev_co_u32_e32 v15, vcc, 0, v13, vcc
	s_waitcnt vmcnt(0)
	v_subrev_u32_e32 v12, s28, v16
	v_cmp_lt_i64_e32 vcc, v[10:11], v[14:15]
	v_ashrrev_i32_e32 v13, 31, v12
	s_nop 0
	v_cndmask_b32_e32 v5, v7, v5, vcc
	v_cndmask_b32_e32 v4, v6, v4, vcc
	v_cmp_ne_u64_e32 vcc, v[4:5], v[12:13]
	s_and_saveexec_b64 s[38:39], vcc
	s_cbranch_execz .LBB5_89
; %bb.84:
	s_load_dwordx2 s[0:1], s[14:15], 0x0
	s_waitcnt lgkmcnt(0)
	s_sub_u32 s0, s0, s28
	s_subb_u32 s1, s1, 0
	v_cmp_gt_i64_e32 vcc, s[0:1], v[10:11]
	s_and_b64 exec, exec, vcc
	s_cbranch_execz .LBB5_89
; %bb.85:
	v_cmp_gt_i64_e32 vcc, s[4:5], v[12:13]
	v_cmp_le_i64_e64 s[0:1], s[22:23], v[12:13]
	s_or_b64 s[0:1], vcc, s[0:1]
	v_lshl_add_u64 v[4:5], v[4:5], 2, s[18:19]
	s_and_saveexec_b64 s[40:41], s[0:1]
	s_xor_b64 s[0:1], exec, s[40:41]
	s_cbranch_execz .LBB5_87
; %bb.86:
	global_load_dword v6, v[4:5], off
	ds_read_b32 v7, v18
	v_lshl_add_u64 v[4:5], v[12:13], 2, s[24:25]
	s_waitcnt vmcnt(0) lgkmcnt(0)
	v_mul_f32_e32 v6, v7, v6
	global_atomic_add_f32 v[4:5], v6, off
                                        ; implicit-def: $vgpr4_vgpr5
.LBB5_87:
	s_andn2_saveexec_b64 s[0:1], s[0:1]
	s_cbranch_execz .LBB5_89
; %bb.88:
	global_load_dword v4, v[4:5], off
	ds_read_b32 v5, v18
	v_subrev_u32_e32 v6, s4, v12
	v_mov_b32_e32 v7, 0x1000
	v_lshl_add_u32 v6, v6, 2, v7
	s_waitcnt vmcnt(0) lgkmcnt(0)
	v_mul_f32_e32 v4, v5, v4
	ds_add_f32 v6, v4
.LBB5_89:
	s_or_b64 exec, exec, s[38:39]
	v_lshl_add_u64 v[4:5], v[12:13], 2, s[18:19]
	global_load_dword v12, v[4:5], off
	ds_read_b32 v13, v18
	s_mov_b64 s[0:1], 0x100
	v_cndmask_b32_e64 v14, 0, 1, s[2:3]
	v_mov_b64_e32 v[6:7], s[20:21]
	v_lshl_add_u64 v[4:5], v[10:11], 0, s[0:1]
	v_cmp_ne_u32_e64 s[0:1], 1, v14
	s_andn2_b64 vcc, exec, s[2:3]
	s_waitcnt vmcnt(0) lgkmcnt(0)
	v_mul_f32_e32 v12, v12, v13
	ds_write_b32 v18, v12
	v_mov_b64_e32 v[12:13], s[36:37]
	s_cbranch_vccnz .LBB5_93
; %bb.90:
	s_mov_b64 s[38:39], 0
	v_mov_b64_e32 v[6:7], s[20:21]
	v_mov_b64_e32 v[12:13], s[36:37]
	v_mov_b32_e32 v15, 0
.LBB5_91:                               ; =>This Inner Loop Header: Depth=1
	v_lshl_add_u64 v[16:17], v[12:13], 0, v[6:7]
	v_lshrrev_b32_e32 v14, 31, v17
	v_lshl_add_u64 v[16:17], v[16:17], 0, v[14:15]
	v_ashrrev_i64 v[16:17], 1, v[16:17]
	v_lshl_add_u64 v[20:21], v[16:17], 3, s[12:13]
	global_load_dwordx2 v[20:21], v[20:21], off
	s_waitcnt vmcnt(0)
	v_subrev_co_u32_e32 v20, vcc, s28, v20
	s_nop 1
	v_subbrev_co_u32_e32 v21, vcc, 0, v21, vcc
	v_cmp_lt_i64_e32 vcc, v[4:5], v[20:21]
	s_nop 1
	v_cndmask_b32_e32 v13, v13, v17, vcc
	v_cndmask_b32_e32 v12, v12, v16, vcc
	;; [unrolled: 1-line block ×4, first 2 shown]
	v_lshl_add_u64 v[16:17], v[12:13], 0, -1
	v_cmp_ge_i64_e32 vcc, v[6:7], v[12:13]
	v_cmp_eq_u64_e64 s[2:3], v[6:7], v[16:17]
	s_or_b64 s[2:3], vcc, s[2:3]
	s_and_b64 s[2:3], exec, s[2:3]
	s_or_b64 s[38:39], s[2:3], s[38:39]
	s_andn2_b64 exec, exec, s[38:39]
	s_cbranch_execnz .LBB5_91
; %bb.92:
	s_or_b64 exec, exec, s[38:39]
.LBB5_93:
	v_lshl_add_u64 v[14:15], v[12:13], 3, s[12:13]
	global_load_dwordx2 v[16:17], v[14:15], off
	global_load_dword v19, v[2:3], off offset:1024
	s_waitcnt vmcnt(1)
	v_subrev_co_u32_e32 v16, vcc, s28, v16
	s_nop 1
	v_subbrev_co_u32_e32 v17, vcc, 0, v17, vcc
	s_waitcnt vmcnt(0)
	v_subrev_u32_e32 v14, s28, v19
	v_cmp_lt_i64_e32 vcc, v[4:5], v[16:17]
	v_ashrrev_i32_e32 v15, 31, v14
	s_nop 0
	v_cndmask_b32_e32 v7, v13, v7, vcc
	v_cndmask_b32_e32 v6, v12, v6, vcc
	v_cmp_ne_u64_e32 vcc, v[6:7], v[14:15]
	s_and_saveexec_b64 s[38:39], vcc
	s_cbranch_execz .LBB5_99
; %bb.94:
	s_load_dwordx2 s[2:3], s[14:15], 0x0
	s_waitcnt lgkmcnt(0)
	s_sub_u32 s2, s2, s28
	s_subb_u32 s3, s3, 0
	v_cmp_gt_i64_e32 vcc, s[2:3], v[4:5]
	s_and_b64 exec, exec, vcc
	s_cbranch_execz .LBB5_99
; %bb.95:
	v_cmp_gt_i64_e32 vcc, s[4:5], v[14:15]
	v_cmp_le_i64_e64 s[2:3], s[22:23], v[14:15]
	s_or_b64 s[2:3], vcc, s[2:3]
	v_lshl_add_u64 v[4:5], v[6:7], 2, s[18:19]
	s_and_saveexec_b64 s[40:41], s[2:3]
	s_xor_b64 s[2:3], exec, s[40:41]
	s_cbranch_execz .LBB5_97
; %bb.96:
	global_load_dword v6, v[4:5], off
	ds_read_b32 v7, v18 offset:1024
	v_lshl_add_u64 v[4:5], v[14:15], 2, s[24:25]
	s_waitcnt vmcnt(0) lgkmcnt(0)
	v_mul_f32_e32 v6, v7, v6
	global_atomic_add_f32 v[4:5], v6, off
                                        ; implicit-def: $vgpr4_vgpr5
.LBB5_97:
	s_andn2_saveexec_b64 s[2:3], s[2:3]
	s_cbranch_execz .LBB5_99
; %bb.98:
	global_load_dword v4, v[4:5], off
	ds_read_b32 v5, v18 offset:1024
	v_subrev_u32_e32 v6, s4, v14
	v_mov_b32_e32 v7, 0x1000
	v_lshl_add_u32 v6, v6, 2, v7
	s_waitcnt vmcnt(0) lgkmcnt(0)
	v_mul_f32_e32 v4, v5, v4
	ds_add_f32 v6, v4
.LBB5_99:
	s_or_b64 exec, exec, s[38:39]
	v_lshl_add_u64 v[4:5], v[14:15], 2, s[18:19]
	global_load_dword v12, v[4:5], off
	ds_read_b32 v13, v18 offset:1024
	s_mov_b64 s[2:3], 0x200
	v_lshl_add_u64 v[4:5], v[10:11], 0, s[2:3]
	s_and_b64 vcc, exec, s[0:1]
	v_mov_b64_e32 v[6:7], s[20:21]
	s_waitcnt vmcnt(0) lgkmcnt(0)
	v_mul_f32_e32 v10, v12, v13
	ds_write_b32 v18, v10 offset:1024
	v_mov_b64_e32 v[10:11], s[36:37]
	s_cbranch_vccnz .LBB5_103
; %bb.100:
	s_mov_b64 s[38:39], 0
	v_mov_b64_e32 v[6:7], s[20:21]
	v_mov_b64_e32 v[10:11], s[36:37]
	v_mov_b32_e32 v13, 0
.LBB5_101:                              ; =>This Inner Loop Header: Depth=1
	v_lshl_add_u64 v[14:15], v[10:11], 0, v[6:7]
	v_lshrrev_b32_e32 v12, 31, v15
	v_lshl_add_u64 v[14:15], v[14:15], 0, v[12:13]
	v_ashrrev_i64 v[14:15], 1, v[14:15]
	v_lshl_add_u64 v[16:17], v[14:15], 3, s[12:13]
	global_load_dwordx2 v[16:17], v[16:17], off
	s_waitcnt vmcnt(0)
	v_subrev_co_u32_e32 v16, vcc, s28, v16
	s_nop 1
	v_subbrev_co_u32_e32 v17, vcc, 0, v17, vcc
	v_cmp_lt_i64_e32 vcc, v[4:5], v[16:17]
	s_nop 1
	v_cndmask_b32_e32 v11, v11, v15, vcc
	v_cndmask_b32_e32 v10, v10, v14, vcc
	;; [unrolled: 1-line block ×4, first 2 shown]
	v_lshl_add_u64 v[14:15], v[10:11], 0, -1
	v_cmp_ge_i64_e32 vcc, v[6:7], v[10:11]
	v_cmp_eq_u64_e64 s[2:3], v[6:7], v[14:15]
	s_or_b64 s[2:3], vcc, s[2:3]
	s_and_b64 s[2:3], exec, s[2:3]
	s_or_b64 s[38:39], s[2:3], s[38:39]
	s_andn2_b64 exec, exec, s[38:39]
	s_cbranch_execnz .LBB5_101
; %bb.102:
	s_or_b64 exec, exec, s[38:39]
.LBB5_103:
	v_lshl_add_u64 v[12:13], v[10:11], 3, s[12:13]
	global_load_dwordx2 v[14:15], v[12:13], off
	global_load_dword v16, v[2:3], off offset:2048
	s_waitcnt vmcnt(1)
	v_subrev_co_u32_e32 v14, vcc, s28, v14
	s_nop 1
	v_subbrev_co_u32_e32 v15, vcc, 0, v15, vcc
	s_waitcnt vmcnt(0)
	v_subrev_u32_e32 v12, s28, v16
	v_cmp_lt_i64_e32 vcc, v[4:5], v[14:15]
	v_ashrrev_i32_e32 v13, 31, v12
	s_nop 0
	v_cndmask_b32_e32 v7, v11, v7, vcc
	v_cndmask_b32_e32 v6, v10, v6, vcc
	v_cmp_ne_u64_e32 vcc, v[6:7], v[12:13]
	s_and_saveexec_b64 s[38:39], vcc
	s_cbranch_execz .LBB5_109
; %bb.104:
	s_load_dwordx2 s[2:3], s[14:15], 0x0
	s_waitcnt lgkmcnt(0)
	s_sub_u32 s2, s2, s28
	s_subb_u32 s3, s3, 0
	v_cmp_gt_i64_e32 vcc, s[2:3], v[4:5]
	s_and_b64 exec, exec, vcc
	s_cbranch_execz .LBB5_109
; %bb.105:
	v_cmp_gt_i64_e32 vcc, s[4:5], v[12:13]
	v_cmp_le_i64_e64 s[2:3], s[22:23], v[12:13]
	s_or_b64 s[2:3], vcc, s[2:3]
	v_lshl_add_u64 v[4:5], v[6:7], 2, s[18:19]
	s_and_saveexec_b64 s[40:41], s[2:3]
	s_xor_b64 s[2:3], exec, s[40:41]
	s_cbranch_execz .LBB5_107
; %bb.106:
	global_load_dword v6, v[4:5], off
	ds_read_b32 v7, v18 offset:2048
	v_lshl_add_u64 v[4:5], v[12:13], 2, s[24:25]
	s_waitcnt vmcnt(0) lgkmcnt(0)
	v_mul_f32_e32 v6, v7, v6
	global_atomic_add_f32 v[4:5], v6, off
                                        ; implicit-def: $vgpr4_vgpr5
.LBB5_107:
	s_andn2_saveexec_b64 s[2:3], s[2:3]
	s_cbranch_execz .LBB5_109
; %bb.108:
	global_load_dword v4, v[4:5], off
	ds_read_b32 v5, v18 offset:2048
	v_subrev_u32_e32 v6, s4, v12
	v_mov_b32_e32 v7, 0x1000
	v_lshl_add_u32 v6, v6, 2, v7
	s_waitcnt vmcnt(0) lgkmcnt(0)
	v_mul_f32_e32 v4, v5, v4
	ds_add_f32 v6, v4
.LBB5_109:
	s_or_b64 exec, exec, s[38:39]
	v_lshl_add_u64 v[4:5], v[12:13], 2, s[18:19]
	global_load_dword v6, v[4:5], off
	ds_read_b32 v7, v18 offset:2048
	s_and_b64 vcc, exec, s[0:1]
	v_mov_b64_e32 v[4:5], s[20:21]
	s_waitcnt vmcnt(0) lgkmcnt(0)
	v_mul_f32_e32 v6, v6, v7
	ds_write_b32 v18, v6 offset:2048
	v_mov_b64_e32 v[6:7], s[36:37]
	s_cbranch_vccnz .LBB5_113
; %bb.110:
	s_mov_b64 s[2:3], 0
	v_mov_b64_e32 v[4:5], s[20:21]
	v_mov_b64_e32 v[6:7], s[36:37]
	v_mov_b32_e32 v11, 0
.LBB5_111:                              ; =>This Inner Loop Header: Depth=1
	v_lshl_add_u64 v[12:13], v[6:7], 0, v[4:5]
	v_lshrrev_b32_e32 v10, 31, v13
	v_lshl_add_u64 v[12:13], v[12:13], 0, v[10:11]
	v_ashrrev_i64 v[12:13], 1, v[12:13]
	v_lshl_add_u64 v[14:15], v[12:13], 3, s[12:13]
	global_load_dwordx2 v[14:15], v[14:15], off
	s_waitcnt vmcnt(0)
	v_subrev_co_u32_e32 v14, vcc, s28, v14
	s_nop 1
	v_subbrev_co_u32_e32 v15, vcc, 0, v15, vcc
	v_cmp_lt_i64_e32 vcc, v[8:9], v[14:15]
	s_nop 1
	v_cndmask_b32_e32 v7, v7, v13, vcc
	v_cndmask_b32_e32 v6, v6, v12, vcc
	;; [unrolled: 1-line block ×4, first 2 shown]
	v_lshl_add_u64 v[12:13], v[6:7], 0, -1
	v_cmp_ge_i64_e32 vcc, v[4:5], v[6:7]
	v_cmp_eq_u64_e64 s[0:1], v[4:5], v[12:13]
	s_or_b64 s[0:1], vcc, s[0:1]
	s_and_b64 s[0:1], exec, s[0:1]
	s_or_b64 s[2:3], s[0:1], s[2:3]
	s_andn2_b64 exec, exec, s[2:3]
	s_cbranch_execnz .LBB5_111
; %bb.112:
	s_or_b64 exec, exec, s[2:3]
.LBB5_113:
	global_load_dword v12, v[2:3], off offset:3072
	v_lshl_add_u64 v[2:3], v[6:7], 3, s[12:13]
	global_load_dwordx2 v[10:11], v[2:3], off
	s_waitcnt vmcnt(1)
	v_subrev_u32_e32 v2, s28, v12
	v_ashrrev_i32_e32 v3, 31, v2
	s_waitcnt vmcnt(0)
	v_subrev_co_u32_e32 v10, vcc, s28, v10
	s_nop 1
	v_subbrev_co_u32_e32 v11, vcc, 0, v11, vcc
	v_cmp_lt_i64_e32 vcc, v[8:9], v[10:11]
	s_nop 1
	v_cndmask_b32_e32 v5, v7, v5, vcc
	v_cndmask_b32_e32 v4, v6, v4, vcc
	v_cmp_ne_u64_e32 vcc, v[4:5], v[2:3]
	s_and_saveexec_b64 s[2:3], vcc
	s_cbranch_execz .LBB5_119
; %bb.114:
	s_load_dwordx2 s[0:1], s[14:15], 0x0
	s_waitcnt lgkmcnt(0)
	s_sub_u32 s0, s0, s28
	s_subb_u32 s1, s1, 0
	v_cmp_gt_i64_e32 vcc, s[0:1], v[8:9]
	s_and_b64 exec, exec, vcc
	s_cbranch_execz .LBB5_119
; %bb.115:
	v_cmp_gt_i64_e32 vcc, s[4:5], v[2:3]
	v_cmp_le_i64_e64 s[0:1], s[22:23], v[2:3]
	s_or_b64 s[0:1], vcc, s[0:1]
	v_lshl_add_u64 v[4:5], v[4:5], 2, s[18:19]
	s_and_saveexec_b64 s[14:15], s[0:1]
	s_xor_b64 s[0:1], exec, s[14:15]
	s_cbranch_execz .LBB5_117
; %bb.116:
	global_load_dword v6, v[4:5], off
	ds_read_b32 v7, v18 offset:3072
	v_lshl_add_u64 v[4:5], v[2:3], 2, s[24:25]
	s_waitcnt vmcnt(0) lgkmcnt(0)
	v_mul_f32_e32 v6, v7, v6
	global_atomic_add_f32 v[4:5], v6, off
                                        ; implicit-def: $vgpr4_vgpr5
.LBB5_117:
	s_andn2_saveexec_b64 s[0:1], s[0:1]
	s_cbranch_execz .LBB5_119
; %bb.118:
	global_load_dword v4, v[4:5], off
	ds_read_b32 v5, v18 offset:3072
	v_subrev_u32_e32 v6, s4, v2
	v_mov_b32_e32 v7, 0x1000
	v_lshl_add_u32 v6, v6, 2, v7
	s_waitcnt vmcnt(0) lgkmcnt(0)
	v_mul_f32_e32 v4, v5, v4
	ds_add_f32 v6, v4
.LBB5_119:
	s_or_b64 exec, exec, s[2:3]
	v_lshl_add_u64 v[2:3], v[2:3], 2, s[18:19]
	global_load_dword v2, v[2:3], off
	ds_read_b32 v3, v18 offset:3072
	s_waitcnt vmcnt(0) lgkmcnt(0)
	v_mul_f32_e32 v2, v2, v3
	ds_write_b32 v18, v2 offset:3072
.LBB5_120:
	s_or_b64 exec, exec, s[16:17]
	v_mov_b64_e32 v[2:3], s[6:7]
	v_cmp_lt_i64_e32 vcc, s[22:23], v[2:3]
	s_and_b64 s[0:1], vcc, exec
	s_cselect_b32 s16, s22, s6
	s_cselect_b32 s0, s23, s7
	s_sub_u32 s2, s16, s26
	s_subb_u32 s3, s0, s27
	v_cmp_gt_i64_e32 vcc, s[2:3], v[0:1]
	s_waitcnt lgkmcnt(0)
	s_barrier
	s_and_saveexec_b64 s[0:1], vcc
	s_cbranch_execz .LBB5_123
; %bb.121:
	v_mov_b64_e32 v[2:3], s[6:7]
	v_cmp_gt_i64_e32 vcc, s[22:23], v[2:3]
	s_and_b64 s[4:5], vcc, exec
	s_cselect_b32 s5, s23, s7
	s_cselect_b32 s4, s22, s6
	v_lshlrev_b32_e32 v2, 2, v0
	v_mov_b32_e32 v3, 0
	v_lshl_add_u64 v[2:3], s[4:5], 2, v[2:3]
	s_lshl_b64 s[4:5], s[6:7], 2
	v_mov_b32_e32 v4, s5
	v_subrev_co_u32_e32 v2, vcc, s4, v2
	s_mov_b64 s[4:5], 0
	s_nop 0
	v_subb_co_u32_e32 v3, vcc, v3, v4, vcc
	v_mov_b32_e32 v4, 0x1000
	v_lshl_add_u64 v[2:3], s[24:25], 0, v[2:3]
	v_lshl_add_u32 v6, v0, 2, v4
	s_mov_b64 s[6:7], 0x100
	s_mov_b64 s[14:15], 0x400
	v_mov_b64_e32 v[4:5], v[0:1]
.LBB5_122:                              ; =>This Inner Loop Header: Depth=1
	ds_read_b32 v7, v6
	v_lshl_add_u64 v[4:5], v[4:5], 0, s[6:7]
	v_cmp_le_i64_e32 vcc, s[2:3], v[4:5]
	v_add_u32_e32 v6, 0x400, v6
	s_or_b64 s[4:5], vcc, s[4:5]
	s_waitcnt lgkmcnt(0)
	global_atomic_add_f32 v[2:3], v7, off
	v_lshl_add_u64 v[2:3], v[2:3], 0, s[14:15]
	s_andn2_b64 exec, exec, s[4:5]
	s_cbranch_execnz .LBB5_122
.LBB5_123:
	s_or_b64 exec, exec, s[0:1]
	s_add_i32 s0, s34, -1
	s_ashr_i32 s1, s0, 1
	s_or_b32 s0, s1, s0
	s_ashr_i32 s1, s0, 2
	s_or_b32 s0, s1, s0
	;; [unrolled: 2-line block ×5, first 2 shown]
	s_add_i32 s0, s0, 1
	s_ashr_i32 s3, s0, 1
	v_lshl_add_u64 v[6:7], s[20:21], 0, v[0:1]
	s_cmp_gt_i32 s3, 1
	s_mov_b64 s[0:1], -1
	s_barrier
	s_cbranch_scc1 .LBB5_132
; %bb.124:
	v_cmp_gt_i64_e32 vcc, s[22:23], v[6:7]
	s_and_saveexec_b64 s[0:1], vcc
	s_cbranch_execz .LBB5_131
; %bb.125:
	s_sub_i32 s4, s16, s22
	s_lshl_b32 s4, s4, 2
	s_add_i32 s16, s4, 0x1000
	s_lshl_b32 s4, s8, 2
	s_sub_i32 s17, 0, s4
	s_mov_b64 s[4:5], 0
	v_mov_b64_e32 v[8:9], v[6:7]
	s_branch .LBB5_127
.LBB5_126:                              ;   in Loop: Header=BB5_127 Depth=1
	s_or_b64 exec, exec, s[6:7]
	v_lshl_add_u32 v2, v8, 2, s16
	ds_read_b32 v2, v2
	s_waitcnt lgkmcnt(0)
	v_add_f32_e32 v4, v12, v2
	v_lshl_add_u64 v[2:3], v[8:9], 2, s[24:25]
	global_atomic_add_f32 v[2:3], v4, off
	v_lshl_add_u64 v[8:9], v[8:9], 0, s[30:31]
	v_cmp_le_i64_e32 vcc, s[22:23], v[8:9]
	s_or_b64 s[4:5], vcc, s[4:5]
	s_andn2_b64 exec, exec, s[4:5]
	s_cbranch_execz .LBB5_131
.LBB5_127:                              ; =>This Loop Header: Depth=1
                                        ;     Child Loop BB5_129 Depth 2
	v_lshl_add_u64 v[2:3], v[8:9], 3, s[12:13]
	global_load_dwordx4 v[2:5], v[2:3], off
	v_mov_b32_e32 v12, 0
	s_waitcnt vmcnt(0)
	v_cmp_lt_i64_e32 vcc, v[2:3], v[4:5]
	s_and_saveexec_b64 s[6:7], vcc
	s_cbranch_execz .LBB5_126
; %bb.128:                              ;   in Loop: Header=BB5_127 Depth=1
	v_mov_b32_e32 v10, s9
	v_subrev_co_u32_e32 v4, vcc, s8, v4
	v_mov_b32_e32 v11, s9
	s_nop 0
	v_subb_co_u32_e32 v5, vcc, v5, v10, vcc
	v_subrev_co_u32_e32 v10, vcc, s8, v2
	v_lshl_add_u32 v2, v2, 2, s17
	s_nop 0
	v_subb_co_u32_e32 v11, vcc, v3, v11, vcc
	v_mov_b32_e32 v12, 0
	s_mov_b64 s[14:15], 0
.LBB5_129:                              ;   Parent Loop BB5_127 Depth=1
                                        ; =>  This Inner Loop Header: Depth=2
	ds_read_b32 v3, v2
	v_lshl_add_u64 v[10:11], v[10:11], 0, 1
	v_cmp_ge_i64_e32 vcc, v[10:11], v[4:5]
	v_add_u32_e32 v2, 4, v2
	s_or_b64 s[14:15], vcc, s[14:15]
	s_waitcnt lgkmcnt(0)
	v_add_f32_e32 v12, v12, v3
	s_andn2_b64 exec, exec, s[14:15]
	s_cbranch_execnz .LBB5_129
; %bb.130:                              ;   in Loop: Header=BB5_127 Depth=1
	s_or_b64 exec, exec, s[14:15]
	s_branch .LBB5_126
.LBB5_131:
	s_or_b64 exec, exec, s[0:1]
	s_mov_b64 s[0:1], 0
.LBB5_132:
	s_andn2_b64 vcc, exec, s[0:1]
	s_cbranch_vccnz .LBB5_149
; %bb.133:
	v_cvt_f32_u32_e32 v2, s3
	s_sub_i32 s12, 0, s3
	v_mov_b32_e32 v5, 0
	v_mov_b32_e32 v13, s9
	v_rcp_iflag_f32_e32 v2, v2
	s_nop 0
	v_mul_f32_e32 v2, 0x4f7ffffe, v2
	v_cvt_u32_f32_e32 v2, v2
	v_mul_lo_u32 v3, s12, v2
	v_mul_hi_u32 v3, v2, v3
	v_add_u32_e32 v2, v2, v3
	v_mul_hi_u32 v2, v0, v2
	v_mul_lo_u32 v3, v2, s3
	v_sub_u32_e32 v3, v0, v3
	v_add_u32_e32 v4, 1, v2
	v_cmp_le_u32_e32 vcc, s3, v3
	s_nop 1
	v_cndmask_b32_e32 v2, v2, v4, vcc
	v_subrev_u32_e32 v4, s3, v3
	v_cndmask_b32_e32 v3, v3, v4, vcc
	v_add_u32_e32 v4, 1, v2
	v_cmp_le_u32_e32 vcc, s3, v3
	s_nop 1
	v_cndmask_b32_e32 v4, v2, v4, vcc
	v_lshl_add_u64 v[2:3], v[4:5], 3, s[10:11]
	global_load_dwordx4 v[8:11], v[2:3], off
	v_mov_b32_e32 v3, s9
	s_waitcnt vmcnt(0)
	v_subrev_co_u32_e32 v2, vcc, s8, v8
	s_nop 1
	v_subb_co_u32_e32 v3, vcc, v9, v3, vcc
	v_subrev_co_u32_e32 v12, vcc, s8, v10
	v_mov_b32_e32 v10, v5
	s_nop 0
	v_subb_co_u32_e32 v13, vcc, v11, v13, vcc
	v_sub_co_u32_e32 v8, vcc, v12, v2
	s_nop 1
	v_subb_co_u32_e32 v9, vcc, v13, v3, vcc
	v_mov_b32_e32 v11, v9
	v_cmp_ne_u64_e32 vcc, 0, v[10:11]
                                        ; implicit-def: $vgpr10_vgpr11
	s_and_saveexec_b64 s[0:1], vcc
	s_xor_b64 s[4:5], exec, s[0:1]
	s_cbranch_execz .LBB5_135
; %bb.134:
	s_add_u32 s0, s3, 0
	s_addc_u32 s1, 0, 0
	s_xor_b64 s[6:7], s[0:1], 0
	v_cvt_f32_u32_e32 v10, s6
	v_cvt_f32_u32_e32 v11, s7
	s_sub_u32 s8, 0, s6
	s_subb_u32 s9, 0, s7
	v_ashrrev_i32_e32 v14, 31, v9
	v_fmamk_f32 v10, v11, 0x4f800000, v10
	v_rcp_f32_e32 v10, v10
	v_mov_b32_e32 v15, v14
	v_lshl_add_u64 v[8:9], v[8:9], 0, v[14:15]
	v_xor_b32_e32 v19, v8, v14
	v_mul_f32_e32 v10, 0x5f7ffffc, v10
	v_mul_f32_e32 v11, 0x2f800000, v10
	v_trunc_f32_e32 v11, v11
	v_fmamk_f32 v10, v11, 0xcf800000, v10
	v_cvt_u32_f32_e32 v11, v11
	v_cvt_u32_f32_e32 v10, v10
	v_xor_b32_e32 v15, v9, v14
	v_readfirstlane_b32 s10, v11
	v_readfirstlane_b32 s0, v10
	s_mul_i32 s1, s8, s10
	s_mul_hi_u32 s13, s8, s0
	s_mul_i32 s11, s9, s0
	s_add_i32 s1, s13, s1
	s_mul_i32 s14, s8, s0
	s_add_i32 s1, s1, s11
	s_mul_i32 s13, s0, s1
	s_mul_hi_u32 s15, s0, s14
	s_mul_hi_u32 s11, s0, s1
	s_add_u32 s13, s15, s13
	s_addc_u32 s11, 0, s11
	s_mul_hi_u32 s16, s10, s14
	s_mul_i32 s14, s10, s14
	s_add_u32 s13, s13, s14
	s_mul_hi_u32 s15, s10, s1
	s_addc_u32 s11, s11, s16
	s_addc_u32 s13, s15, 0
	s_mul_i32 s1, s10, s1
	s_add_u32 s1, s11, s1
	s_addc_u32 s11, 0, s13
	s_add_u32 s13, s0, s1
	s_cselect_b64 s[0:1], -1, 0
	s_cmp_lg_u64 s[0:1], 0
	s_addc_u32 s10, s10, s11
	s_mul_i32 s0, s8, s10
	s_mul_hi_u32 s1, s8, s13
	s_add_i32 s0, s1, s0
	s_mul_i32 s9, s9, s13
	s_add_i32 s0, s0, s9
	s_mul_i32 s8, s8, s13
	s_mul_hi_u32 s9, s10, s8
	s_mul_i32 s11, s10, s8
	s_mul_i32 s15, s13, s0
	s_mul_hi_u32 s8, s13, s8
	s_mul_hi_u32 s14, s13, s0
	s_add_u32 s8, s8, s15
	s_addc_u32 s14, 0, s14
	s_add_u32 s8, s8, s11
	s_mul_hi_u32 s1, s10, s0
	s_addc_u32 s8, s14, s9
	s_addc_u32 s1, s1, 0
	s_mul_i32 s0, s10, s0
	s_add_u32 s0, s8, s0
	s_addc_u32 s8, 0, s1
	s_add_u32 s9, s13, s0
	s_cselect_b64 s[0:1], -1, 0
	s_cmp_lg_u64 s[0:1], 0
	s_addc_u32 s8, s10, s8
	v_mad_u64_u32 v[8:9], s[0:1], v19, s8, 0
	v_mul_hi_u32 v10, v19, s9
	v_mov_b32_e32 v11, v5
	v_lshl_add_u64 v[8:9], v[10:11], 0, v[8:9]
	v_mad_u64_u32 v[16:17], s[0:1], v15, s9, 0
	v_add_co_u32_e32 v8, vcc, v8, v16
	v_mad_u64_u32 v[10:11], s[0:1], v15, s8, 0
	s_nop 0
	v_addc_co_u32_e32 v8, vcc, v9, v17, vcc
	v_mov_b32_e32 v9, v5
	s_nop 0
	v_addc_co_u32_e32 v11, vcc, 0, v11, vcc
	v_lshl_add_u64 v[8:9], v[8:9], 0, v[10:11]
	v_mul_lo_u32 v16, s7, v8
	v_mul_lo_u32 v17, s6, v9
	v_mad_u64_u32 v[10:11], s[0:1], s6, v8, 0
	v_add3_u32 v20, v11, v17, v16
	v_sub_u32_e32 v11, v15, v20
	v_mov_b32_e32 v16, s7
	v_sub_co_u32_e32 v19, vcc, v19, v10
	s_nop 1
	v_subb_co_u32_e64 v10, s[0:1], v11, v16, vcc
	v_subrev_co_u32_e64 v11, s[0:1], s6, v19
	v_subb_co_u32_e32 v15, vcc, v15, v20, vcc
	s_nop 0
	v_subbrev_co_u32_e64 v10, s[0:1], 0, v10, s[0:1]
	v_cmp_le_u32_e64 s[0:1], s7, v10
	v_cmp_le_u32_e32 vcc, s7, v15
	s_nop 0
	v_cndmask_b32_e64 v16, 0, -1, s[0:1]
	v_cmp_le_u32_e64 s[0:1], s6, v11
	s_nop 1
	v_cndmask_b32_e64 v11, 0, -1, s[0:1]
	v_cmp_eq_u32_e64 s[0:1], s7, v10
	s_nop 1
	v_cndmask_b32_e64 v21, v16, v11, s[0:1]
	v_lshl_add_u64 v[10:11], v[8:9], 0, 2
	v_lshl_add_u64 v[16:17], v[8:9], 0, 1
	v_cmp_ne_u32_e64 s[0:1], 0, v21
	s_nop 1
	v_cndmask_b32_e64 v11, v17, v11, s[0:1]
	v_cndmask_b32_e64 v17, 0, -1, vcc
	v_cmp_le_u32_e32 vcc, s6, v19
	v_cndmask_b32_e64 v10, v16, v10, s[0:1]
	s_nop 0
	v_cndmask_b32_e64 v19, 0, -1, vcc
	v_cmp_eq_u32_e32 vcc, s7, v15
	s_nop 1
	v_cndmask_b32_e32 v15, v17, v19, vcc
	v_cmp_ne_u32_e32 vcc, 0, v15
	s_nop 1
	v_cndmask_b32_e32 v8, v8, v10, vcc
	v_cndmask_b32_e32 v9, v9, v11, vcc
	v_xor_b32_e32 v8, v8, v14
	v_xor_b32_e32 v9, v9, v14
	v_sub_co_u32_e32 v10, vcc, v8, v14
                                        ; implicit-def: $vgpr8
	s_nop 1
	v_subb_co_u32_e32 v11, vcc, v9, v14, vcc
.LBB5_135:
	s_andn2_saveexec_b64 s[0:1], s[4:5]
	s_cbranch_execz .LBB5_137
; %bb.136:
	v_cvt_f32_u32_e32 v9, s3
	v_rcp_iflag_f32_e32 v9, v9
	s_nop 0
	v_mul_f32_e32 v9, 0x4f7ffffe, v9
	v_cvt_u32_f32_e32 v9, v9
	v_mul_lo_u32 v10, s12, v9
	v_mul_hi_u32 v10, v9, v10
	v_add_u32_e32 v9, v9, v10
	v_mul_hi_u32 v9, v8, v9
	v_mul_lo_u32 v10, v9, s3
	v_sub_u32_e32 v8, v8, v10
	v_add_u32_e32 v11, 1, v9
	v_subrev_u32_e32 v10, s3, v8
	v_cmp_le_u32_e32 vcc, s3, v8
	s_nop 1
	v_cndmask_b32_e32 v8, v8, v10, vcc
	v_cndmask_b32_e32 v9, v9, v11, vcc
	v_add_u32_e32 v10, 1, v9
	v_cmp_le_u32_e32 vcc, s3, v8
	v_mov_b32_e32 v11, 0
	s_nop 0
	v_cndmask_b32_e32 v10, v9, v10, vcc
.LBB5_137:
	s_or_b64 exec, exec, s[0:1]
	v_cmp_gt_i64_e32 vcc, s[26:27], v[4:5]
	v_mov_b32_e32 v14, 0
	s_and_saveexec_b64 s[0:1], vcc
	s_cbranch_execz .LBB5_145
; %bb.138:
	s_add_i32 s4, s3, -1
	v_and_b32_e32 v4, s4, v0
	s_mov_b64 s[4:5], 0
	v_cmp_lt_i64_e32 vcc, 0, v[10:11]
	v_mov_b32_e32 v14, 0
	v_lshlrev_b32_e32 v15, 2, v4
	s_and_saveexec_b64 s[6:7], vcc
	s_cbranch_execz .LBB5_142
; %bb.139:
	v_lshl_add_u32 v5, v2, 2, v15
	s_lshl_b32 s8, s3, 2
	v_mov_b32_e32 v14, 0
	v_mov_b64_e32 v[8:9], v[10:11]
.LBB5_140:                              ; =>This Inner Loop Header: Depth=1
	ds_read_b32 v16, v5
	v_lshl_add_u64 v[8:9], v[8:9], 0, -1
	v_cmp_eq_u64_e32 vcc, 0, v[8:9]
	v_add_u32_e32 v5, s8, v5
	s_or_b64 s[4:5], vcc, s[4:5]
	s_waitcnt lgkmcnt(0)
	v_add_f32_e32 v14, v14, v16
	s_andn2_b64 exec, exec, s[4:5]
	s_cbranch_execnz .LBB5_140
; %bb.141:
	s_or_b64 exec, exec, s[4:5]
.LBB5_142:
	s_or_b64 exec, exec, s[6:7]
	v_mad_u64_u32 v[2:3], s[4:5], v10, s3, v[2:3]
	v_mov_b32_e32 v8, v3
	v_mad_u64_u32 v[8:9], s[4:5], v11, s3, v[8:9]
	v_sub_co_u32_e32 v10, vcc, v12, v2
	v_mov_b32_e32 v5, 0
	s_nop 0
	v_subb_co_u32_e32 v11, vcc, v13, v8, vcc
	v_cmp_gt_i64_e32 vcc, v[10:11], v[4:5]
	s_and_saveexec_b64 s[4:5], vcc
	s_cbranch_execz .LBB5_144
; %bb.143:
	v_lshl_add_u32 v2, v2, 2, v15
	ds_read_b32 v2, v2
	s_waitcnt lgkmcnt(0)
	v_add_f32_e32 v14, v14, v2
.LBB5_144:
	s_or_b64 exec, exec, s[4:5]
.LBB5_145:
	s_or_b64 exec, exec, s[0:1]
	v_cmp_gt_i64_e32 vcc, s[26:27], v[0:1]
	s_barrier
	ds_write_b32 v18, v14
	s_waitcnt lgkmcnt(0)
	s_barrier
	s_and_saveexec_b64 s[0:1], vcc
	s_cbranch_execz .LBB5_149
; %bb.146:
	v_mul_lo_u32 v1, s3, v0
	v_lshlrev_b32_e32 v2, 2, v1
	v_mov_b32_e32 v1, 0
.LBB5_147:                              ; =>This Inner Loop Header: Depth=1
	ds_read_b32 v3, v2
	s_add_i32 s3, s3, -1
	v_add_u32_e32 v2, 4, v2
	s_cmp_eq_u32 s3, 0
	s_waitcnt lgkmcnt(0)
	v_add_f32_e32 v1, v1, v3
	s_cbranch_scc0 .LBB5_147
; %bb.148:
	s_lshl_b32 s0, s2, 2
	s_addk_i32 s0, 0x1000
	v_lshl_add_u32 v0, v0, 2, s0
	ds_read_b32 v0, v0
	s_waitcnt lgkmcnt(0)
	v_add_f32_e32 v2, v1, v0
	v_lshl_add_u64 v[0:1], v[6:7], 2, s[24:25]
	global_atomic_add_f32 v[0:1], v2, off
.LBB5_149:
	s_endpgm
	.section	.rodata,"a",@progbits
	.p2align	6, 0x0
	.amdhsa_kernel _ZN9rocsparseL27csrmvn_symm_adaptive_kernelIliffffEEvbT_S1_PKS1_NS_24const_host_device_scalarIT4_EES3_PKT0_PKT1_PKT2_S6_PT3_21rocsparse_index_base_b
		.amdhsa_group_segment_fixed_size 4096
		.amdhsa_private_segment_fixed_size 0
		.amdhsa_kernarg_size 352
		.amdhsa_user_sgpr_count 2
		.amdhsa_user_sgpr_dispatch_ptr 0
		.amdhsa_user_sgpr_queue_ptr 0
		.amdhsa_user_sgpr_kernarg_segment_ptr 1
		.amdhsa_user_sgpr_dispatch_id 0
		.amdhsa_user_sgpr_kernarg_preload_length 0
		.amdhsa_user_sgpr_kernarg_preload_offset 0
		.amdhsa_user_sgpr_private_segment_size 0
		.amdhsa_uses_dynamic_stack 0
		.amdhsa_enable_private_segment 0
		.amdhsa_system_sgpr_workgroup_id_x 1
		.amdhsa_system_sgpr_workgroup_id_y 0
		.amdhsa_system_sgpr_workgroup_id_z 0
		.amdhsa_system_sgpr_workgroup_info 0
		.amdhsa_system_vgpr_workitem_id 0
		.amdhsa_next_free_vgpr 22
		.amdhsa_next_free_sgpr 52
		.amdhsa_accum_offset 24
		.amdhsa_reserve_vcc 1
		.amdhsa_float_round_mode_32 0
		.amdhsa_float_round_mode_16_64 0
		.amdhsa_float_denorm_mode_32 3
		.amdhsa_float_denorm_mode_16_64 3
		.amdhsa_dx10_clamp 1
		.amdhsa_ieee_mode 1
		.amdhsa_fp16_overflow 0
		.amdhsa_tg_split 0
		.amdhsa_exception_fp_ieee_invalid_op 0
		.amdhsa_exception_fp_denorm_src 0
		.amdhsa_exception_fp_ieee_div_zero 0
		.amdhsa_exception_fp_ieee_overflow 0
		.amdhsa_exception_fp_ieee_underflow 0
		.amdhsa_exception_fp_ieee_inexact 0
		.amdhsa_exception_int_div_zero 0
	.end_amdhsa_kernel
	.section	.text._ZN9rocsparseL27csrmvn_symm_adaptive_kernelIliffffEEvbT_S1_PKS1_NS_24const_host_device_scalarIT4_EES3_PKT0_PKT1_PKT2_S6_PT3_21rocsparse_index_base_b,"axG",@progbits,_ZN9rocsparseL27csrmvn_symm_adaptive_kernelIliffffEEvbT_S1_PKS1_NS_24const_host_device_scalarIT4_EES3_PKT0_PKT1_PKT2_S6_PT3_21rocsparse_index_base_b,comdat
.Lfunc_end5:
	.size	_ZN9rocsparseL27csrmvn_symm_adaptive_kernelIliffffEEvbT_S1_PKS1_NS_24const_host_device_scalarIT4_EES3_PKT0_PKT1_PKT2_S6_PT3_21rocsparse_index_base_b, .Lfunc_end5-_ZN9rocsparseL27csrmvn_symm_adaptive_kernelIliffffEEvbT_S1_PKS1_NS_24const_host_device_scalarIT4_EES3_PKT0_PKT1_PKT2_S6_PT3_21rocsparse_index_base_b
                                        ; -- End function
	.set _ZN9rocsparseL27csrmvn_symm_adaptive_kernelIliffffEEvbT_S1_PKS1_NS_24const_host_device_scalarIT4_EES3_PKT0_PKT1_PKT2_S6_PT3_21rocsparse_index_base_b.num_vgpr, 22
	.set _ZN9rocsparseL27csrmvn_symm_adaptive_kernelIliffffEEvbT_S1_PKS1_NS_24const_host_device_scalarIT4_EES3_PKT0_PKT1_PKT2_S6_PT3_21rocsparse_index_base_b.num_agpr, 0
	.set _ZN9rocsparseL27csrmvn_symm_adaptive_kernelIliffffEEvbT_S1_PKS1_NS_24const_host_device_scalarIT4_EES3_PKT0_PKT1_PKT2_S6_PT3_21rocsparse_index_base_b.numbered_sgpr, 52
	.set _ZN9rocsparseL27csrmvn_symm_adaptive_kernelIliffffEEvbT_S1_PKS1_NS_24const_host_device_scalarIT4_EES3_PKT0_PKT1_PKT2_S6_PT3_21rocsparse_index_base_b.num_named_barrier, 0
	.set _ZN9rocsparseL27csrmvn_symm_adaptive_kernelIliffffEEvbT_S1_PKS1_NS_24const_host_device_scalarIT4_EES3_PKT0_PKT1_PKT2_S6_PT3_21rocsparse_index_base_b.private_seg_size, 0
	.set _ZN9rocsparseL27csrmvn_symm_adaptive_kernelIliffffEEvbT_S1_PKS1_NS_24const_host_device_scalarIT4_EES3_PKT0_PKT1_PKT2_S6_PT3_21rocsparse_index_base_b.uses_vcc, 1
	.set _ZN9rocsparseL27csrmvn_symm_adaptive_kernelIliffffEEvbT_S1_PKS1_NS_24const_host_device_scalarIT4_EES3_PKT0_PKT1_PKT2_S6_PT3_21rocsparse_index_base_b.uses_flat_scratch, 0
	.set _ZN9rocsparseL27csrmvn_symm_adaptive_kernelIliffffEEvbT_S1_PKS1_NS_24const_host_device_scalarIT4_EES3_PKT0_PKT1_PKT2_S6_PT3_21rocsparse_index_base_b.has_dyn_sized_stack, 0
	.set _ZN9rocsparseL27csrmvn_symm_adaptive_kernelIliffffEEvbT_S1_PKS1_NS_24const_host_device_scalarIT4_EES3_PKT0_PKT1_PKT2_S6_PT3_21rocsparse_index_base_b.has_recursion, 0
	.set _ZN9rocsparseL27csrmvn_symm_adaptive_kernelIliffffEEvbT_S1_PKS1_NS_24const_host_device_scalarIT4_EES3_PKT0_PKT1_PKT2_S6_PT3_21rocsparse_index_base_b.has_indirect_call, 0
	.section	.AMDGPU.csdata,"",@progbits
; Kernel info:
; codeLenInByte = 7156
; TotalNumSgprs: 58
; NumVgprs: 22
; NumAgprs: 0
; TotalNumVgprs: 22
; ScratchSize: 0
; MemoryBound: 0
; FloatMode: 240
; IeeeMode: 1
; LDSByteSize: 4096 bytes/workgroup (compile time only)
; SGPRBlocks: 7
; VGPRBlocks: 2
; NumSGPRsForWavesPerEU: 58
; NumVGPRsForWavesPerEU: 22
; AccumOffset: 24
; Occupancy: 8
; WaveLimiterHint : 1
; COMPUTE_PGM_RSRC2:SCRATCH_EN: 0
; COMPUTE_PGM_RSRC2:USER_SGPR: 2
; COMPUTE_PGM_RSRC2:TRAP_HANDLER: 0
; COMPUTE_PGM_RSRC2:TGID_X_EN: 1
; COMPUTE_PGM_RSRC2:TGID_Y_EN: 0
; COMPUTE_PGM_RSRC2:TGID_Z_EN: 0
; COMPUTE_PGM_RSRC2:TIDIG_COMP_CNT: 0
; COMPUTE_PGM_RSRC3_GFX90A:ACCUM_OFFSET: 5
; COMPUTE_PGM_RSRC3_GFX90A:TG_SPLIT: 0
	.section	.text._ZL33csrmvn_symm_large_adaptive_kernelIliffffEvbT_PKS0_N9rocsparse24const_host_device_scalarIT4_EES2_PKT0_PKT1_PKT2_S6_PT3_21rocsparse_index_base_b,"axG",@progbits,_ZL33csrmvn_symm_large_adaptive_kernelIliffffEvbT_PKS0_N9rocsparse24const_host_device_scalarIT4_EES2_PKT0_PKT1_PKT2_S6_PT3_21rocsparse_index_base_b,comdat
	.globl	_ZL33csrmvn_symm_large_adaptive_kernelIliffffEvbT_PKS0_N9rocsparse24const_host_device_scalarIT4_EES2_PKT0_PKT1_PKT2_S6_PT3_21rocsparse_index_base_b ; -- Begin function _ZL33csrmvn_symm_large_adaptive_kernelIliffffEvbT_PKS0_N9rocsparse24const_host_device_scalarIT4_EES2_PKT0_PKT1_PKT2_S6_PT3_21rocsparse_index_base_b
	.p2align	8
	.type	_ZL33csrmvn_symm_large_adaptive_kernelIliffffEvbT_PKS0_N9rocsparse24const_host_device_scalarIT4_EES2_PKT0_PKT1_PKT2_S6_PT3_21rocsparse_index_base_b,@function
_ZL33csrmvn_symm_large_adaptive_kernelIliffffEvbT_PKS0_N9rocsparse24const_host_device_scalarIT4_EES2_PKT0_PKT1_PKT2_S6_PT3_21rocsparse_index_base_b: ; @_ZL33csrmvn_symm_large_adaptive_kernelIliffffEvbT_PKS0_N9rocsparse24const_host_device_scalarIT4_EES2_PKT0_PKT1_PKT2_S6_PT3_21rocsparse_index_base_b
; %bb.0:
	s_load_dwordx2 s[20:21], s[0:1], 0x50
	s_load_dwordx2 s[22:23], s[0:1], 0x18
	;; [unrolled: 1-line block ×3, first 2 shown]
	s_waitcnt lgkmcnt(0)
	s_bitcmp1_b32 s21, 0
	s_cselect_b64 s[8:9], -1, 0
	s_xor_b64 s[6:7], s[8:9], -1
	s_and_b64 vcc, exec, s[8:9]
	s_cbranch_vccnz .LBB6_2
; %bb.1:
	s_load_dword s22, s[22:23], 0x0
.LBB6_2:
	s_andn2_b64 vcc, exec, s[6:7]
	s_cbranch_vccnz .LBB6_4
; %bb.3:
	s_load_dword s4, s[4:5], 0x0
.LBB6_4:
	s_waitcnt lgkmcnt(0)
	v_cmp_neq_f32_e64 s[6:7], s22, 0
	v_cmp_neq_f32_e64 s[4:5], s4, 1.0
	s_or_b64 s[4:5], s[6:7], s[4:5]
	s_andn2_b64 vcc, exec, s[4:5]
	s_cbranch_vccnz .LBB6_32
; %bb.5:
	s_load_dwordx2 s[4:5], s[0:1], 0x10
	s_ashr_i32 s3, s2, 31
	s_lshl_b64 s[2:3], s[2:3], 3
	v_lshlrev_b32_e32 v10, 2, v0
	v_mov_b32_e32 v11, 0
	s_waitcnt lgkmcnt(0)
	s_add_u32 s2, s4, s2
	s_addc_u32 s3, s5, s3
	ds_write2st64_b32 v10, v11, v11 offset1:4
	ds_write2st64_b32 v10, v11, v11 offset0:8 offset1:12
	s_waitcnt lgkmcnt(0)
	s_barrier
	s_load_dwordx4 s[16:19], s[2:3], 0x0
	s_load_dwordx8 s[8:15], s[0:1], 0x20
	s_load_dwordx2 s[24:25], s[0:1], 0x48
	s_waitcnt lgkmcnt(0)
	v_mov_b64_e32 v[2:3], s[18:19]
	v_cmp_ge_i64_e32 vcc, s[16:17], v[2:3]
	v_subrev_co_u32_e64 v2, s[0:1], s20, v0
	s_nop 1
	v_subb_co_u32_e64 v3, s[0:1], 0, 0, s[0:1]
	s_cbranch_vccnz .LBB6_23
; %bb.6:
	v_cmp_gt_u32_e64 s[0:1], 64, v0
	v_cmp_gt_u32_e64 s[2:3], 16, v0
	;; [unrolled: 1-line block ×3, first 2 shown]
	v_cmp_eq_u32_e64 s[6:7], 0, v0
	s_mov_b64 s[26:27], 0x100
	s_mov_b64 s[28:29], 0x400
	v_mov_b64_e32 v[0:1], s[18:19]
	s_mov_b64 s[30:31], s[16:17]
	s_branch .LBB6_8
.LBB6_7:                                ;   in Loop: Header=BB6_8 Depth=1
	s_or_b64 exec, exec, s[34:35]
	s_add_u32 s30, s30, 1
	s_addc_u32 s31, s31, 0
	v_cmp_ge_i64_e32 vcc, s[30:31], v[0:1]
	s_cbranch_vccnz .LBB6_23
.LBB6_8:                                ; =>This Loop Header: Depth=1
                                        ;     Child Loop BB6_10 Depth 2
	s_lshl_b64 s[34:35], s[30:31], 3
	s_add_u32 s34, s8, s34
	s_addc_u32 s35, s9, s35
	s_load_dwordx4 s[36:39], s[34:35], 0x0
	v_mov_b32_e32 v12, 0
	s_waitcnt lgkmcnt(0)
	s_sub_u32 s34, s38, s20
	v_lshl_add_u64 v[4:5], s[36:37], 0, v[2:3]
	s_subb_u32 s35, s39, 0
	v_cmp_gt_i64_e32 vcc, s[34:35], v[4:5]
	s_and_saveexec_b64 s[36:37], vcc
	s_cbranch_execz .LBB6_12
; %bb.9:                                ;   in Loop: Header=BB6_8 Depth=1
	v_lshlrev_b64 v[8:9], 2, v[4:5]
	v_lshl_add_u64 v[6:7], s[10:11], 0, v[8:9]
	v_lshl_add_u64 v[8:9], s[12:13], 0, v[8:9]
	v_mov_b32_e32 v12, 0
	s_mov_b64 s[38:39], 0
.LBB6_10:                               ;   Parent Loop BB6_8 Depth=1
                                        ; =>  This Inner Loop Header: Depth=2
	global_load_dword v13, v[6:7], off
	global_load_dword v16, v[8:9], off
	v_lshl_add_u64 v[4:5], v[4:5], 0, s[26:27]
	v_cmp_le_i64_e32 vcc, s[34:35], v[4:5]
	v_lshl_add_u64 v[6:7], v[6:7], 0, s[28:29]
	v_lshl_add_u64 v[8:9], v[8:9], 0, s[28:29]
	s_or_b64 s[38:39], vcc, s[38:39]
	s_waitcnt vmcnt(1)
	v_subrev_u32_e32 v14, s20, v13
	v_ashrrev_i32_e32 v15, 31, v14
	v_lshl_add_u64 v[14:15], v[14:15], 2, s[14:15]
	global_load_dword v13, v[14:15], off
	s_waitcnt vmcnt(0)
	v_fmac_f32_e32 v12, v16, v13
	s_andn2_b64 exec, exec, s[38:39]
	s_cbranch_execnz .LBB6_10
; %bb.11:                               ;   in Loop: Header=BB6_8 Depth=1
	s_or_b64 exec, exec, s[38:39]
.LBB6_12:                               ;   in Loop: Header=BB6_8 Depth=1
	s_or_b64 exec, exec, s[36:37]
	ds_write_b32 v10, v12
	s_waitcnt lgkmcnt(0)
	s_barrier
	ds_read2st64_b32 v[4:5], v10 offset1:4
	ds_read2st64_b32 v[6:7], v10 offset0:8 offset1:12
	s_waitcnt lgkmcnt(0)
	v_add_f32_e32 v5, v5, v6
	v_add_f32_e32 v5, v5, v7
	;; [unrolled: 1-line block ×3, first 2 shown]
	ds_write_b32 v10, v4
	s_waitcnt lgkmcnt(0)
	s_barrier
	s_and_saveexec_b64 s[34:35], s[0:1]
	s_cbranch_execz .LBB6_14
; %bb.13:                               ;   in Loop: Header=BB6_8 Depth=1
	ds_read2st64_b32 v[4:5], v10 offset1:1
	ds_read2st64_b32 v[6:7], v10 offset0:2 offset1:3
	s_waitcnt lgkmcnt(0)
	v_add_f32_e32 v5, v5, v6
	v_add_f32_e32 v5, v5, v7
	v_add_f32_e32 v4, v4, v5
	ds_write_b32 v10, v4
.LBB6_14:                               ;   in Loop: Header=BB6_8 Depth=1
	s_or_b64 exec, exec, s[34:35]
	s_waitcnt lgkmcnt(0)
	s_barrier
	s_and_saveexec_b64 s[34:35], s[2:3]
	s_cbranch_execz .LBB6_16
; %bb.15:                               ;   in Loop: Header=BB6_8 Depth=1
	ds_read2_b32 v[4:5], v10 offset1:16
	ds_read2_b32 v[6:7], v10 offset0:32 offset1:48
	s_waitcnt lgkmcnt(0)
	v_add_f32_e32 v5, v5, v6
	v_add_f32_e32 v5, v5, v7
	;; [unrolled: 1-line block ×3, first 2 shown]
	ds_write_b32 v10, v4
.LBB6_16:                               ;   in Loop: Header=BB6_8 Depth=1
	s_or_b64 exec, exec, s[34:35]
	s_waitcnt lgkmcnt(0)
	s_barrier
	s_and_saveexec_b64 s[34:35], s[4:5]
	s_cbranch_execz .LBB6_18
; %bb.17:                               ;   in Loop: Header=BB6_8 Depth=1
	ds_read2_b32 v[4:5], v10 offset1:4
	ds_read2_b32 v[6:7], v10 offset0:8 offset1:12
	s_waitcnt lgkmcnt(0)
	v_add_f32_e32 v5, v5, v6
	v_add_f32_e32 v5, v5, v7
	;; [unrolled: 1-line block ×3, first 2 shown]
	ds_write_b32 v10, v4
.LBB6_18:                               ;   in Loop: Header=BB6_8 Depth=1
	s_or_b64 exec, exec, s[34:35]
	s_waitcnt lgkmcnt(0)
	s_barrier
	s_and_saveexec_b64 s[34:35], s[6:7]
	s_cbranch_execz .LBB6_20
; %bb.19:                               ;   in Loop: Header=BB6_8 Depth=1
	ds_read2_b32 v[4:5], v11 offset0:1 offset1:2
	ds_read_b32 v6, v11 offset:12
	ds_read_b32 v7, v10
	s_waitcnt lgkmcnt(2)
	v_add_f32_e32 v4, v4, v5
	s_waitcnt lgkmcnt(1)
	v_add_f32_e32 v4, v4, v6
	;; [unrolled: 2-line block ×3, first 2 shown]
	ds_write_b32 v10, v4
.LBB6_20:                               ;   in Loop: Header=BB6_8 Depth=1
	s_or_b64 exec, exec, s[34:35]
	s_waitcnt lgkmcnt(0)
	s_barrier
	s_and_saveexec_b64 s[34:35], s[6:7]
	s_cbranch_execz .LBB6_7
; %bb.21:                               ;   in Loop: Header=BB6_8 Depth=1
	s_mov_b64 s[36:37], exec
	v_mbcnt_lo_u32_b32 v4, s36, 0
	v_mbcnt_hi_u32_b32 v4, s37, v4
	v_cmp_eq_u32_e32 vcc, 0, v4
	s_and_b64 s[38:39], exec, vcc
	s_mov_b64 exec, s[38:39]
	s_cbranch_execz .LBB6_7
; %bb.22:                               ;   in Loop: Header=BB6_8 Depth=1
	ds_read_b32 v4, v11
	s_lshl_b64 s[38:39], s[30:31], 2
	s_add_u32 s38, s24, s38
	s_addc_u32 s39, s25, s39
	s_bcnt1_i32_b64 s21, s[36:37]
	s_waitcnt lgkmcnt(0)
	v_mul_f32_e32 v4, s22, v4
	v_cvt_f32_ubyte0_e32 v5, s21
	v_mul_f32_e32 v4, v4, v5
	global_atomic_add_f32 v11, v4, s[38:39]
	s_branch .LBB6_7
.LBB6_23:
	s_lshl_b64 s[0:1], s[16:17], 3
	s_add_u32 s0, s8, s0
	s_addc_u32 s1, s9, s1
	s_lshl_b64 s[2:3], s[18:19], 3
	s_add_u32 s2, s8, s2
	s_addc_u32 s3, s9, s3
	s_load_dwordx2 s[4:5], s[2:3], 0x0
	s_load_dwordx2 s[6:7], s[0:1], 0x0
	s_waitcnt lgkmcnt(0)
	s_sub_u32 s4, s4, s20
	s_subb_u32 s5, s5, 0
	v_lshl_add_u64 v[0:1], s[6:7], 0, v[2:3]
	v_cmp_gt_i64_e32 vcc, s[4:5], v[0:1]
	s_and_saveexec_b64 s[0:1], vcc
	s_cbranch_execz .LBB6_32
; %bb.24:
	s_add_u32 s6, s18, -1
	s_addc_u32 s7, s19, -1
	s_add_u32 s0, s18, -2
	s_addc_u32 s1, s19, -1
	v_mov_b64_e32 v[2:3], s[6:7]
	s_cmp_lg_u64 s[16:17], s[0:1]
	v_cmp_lt_i64_e32 vcc, s[16:17], v[2:3]
	s_cselect_b64 s[0:1], -1, 0
	s_and_b64 s[0:1], vcc, s[0:1]
	v_cndmask_b32_e64 v2, 0, 1, s[0:1]
	s_mov_b64 s[18:19], 0
	v_cmp_ne_u32_e64 s[0:1], 1, v2
	v_mov_b32_e32 v3, 0
	s_mov_b64 s[26:27], 0x100
	s_branch .LBB6_26
.LBB6_25:                               ;   in Loop: Header=BB6_26 Depth=1
	s_or_b64 exec, exec, s[2:3]
	v_lshl_add_u64 v[0:1], v[0:1], 0, s[26:27]
	v_cmp_le_i64_e32 vcc, s[4:5], v[0:1]
	s_or_b64 s[18:19], vcc, s[18:19]
	s_andn2_b64 exec, exec, s[18:19]
	s_cbranch_execz .LBB6_32
.LBB6_26:                               ; =>This Loop Header: Depth=1
                                        ;     Child Loop BB6_28 Depth 2
	s_and_b64 vcc, exec, s[0:1]
	v_mov_b64_e32 v[4:5], s[16:17]
	v_mov_b64_e32 v[6:7], s[6:7]
	s_cbranch_vccnz .LBB6_30
; %bb.27:                               ;   in Loop: Header=BB6_26 Depth=1
	s_mov_b64 s[28:29], 0
	v_mov_b64_e32 v[4:5], s[16:17]
	v_mov_b64_e32 v[6:7], s[6:7]
.LBB6_28:                               ;   Parent Loop BB6_26 Depth=1
                                        ; =>  This Inner Loop Header: Depth=2
	v_lshl_add_u64 v[8:9], v[6:7], 0, v[4:5]
	v_lshrrev_b32_e32 v2, 31, v9
	v_lshl_add_u64 v[8:9], v[8:9], 0, v[2:3]
	v_ashrrev_i64 v[8:9], 1, v[8:9]
	v_lshl_add_u64 v[10:11], v[8:9], 3, s[8:9]
	global_load_dwordx2 v[10:11], v[10:11], off
	s_waitcnt vmcnt(0)
	v_subrev_co_u32_e32 v10, vcc, s20, v10
	s_nop 1
	v_subbrev_co_u32_e32 v11, vcc, 0, v11, vcc
	v_cmp_lt_i64_e32 vcc, v[0:1], v[10:11]
	s_nop 1
	v_cndmask_b32_e32 v7, v7, v9, vcc
	v_cndmask_b32_e32 v6, v6, v8, vcc
	;; [unrolled: 1-line block ×4, first 2 shown]
	v_lshl_add_u64 v[8:9], v[6:7], 0, -1
	v_cmp_ge_i64_e32 vcc, v[4:5], v[6:7]
	v_cmp_eq_u64_e64 s[2:3], v[4:5], v[8:9]
	s_or_b64 s[2:3], vcc, s[2:3]
	s_and_b64 s[2:3], exec, s[2:3]
	s_or_b64 s[28:29], s[2:3], s[28:29]
	s_andn2_b64 exec, exec, s[28:29]
	s_cbranch_execnz .LBB6_28
; %bb.29:                               ;   in Loop: Header=BB6_26 Depth=1
	s_or_b64 exec, exec, s[28:29]
.LBB6_30:                               ;   in Loop: Header=BB6_26 Depth=1
	v_lshl_add_u64 v[8:9], v[6:7], 3, s[8:9]
	global_load_dwordx2 v[8:9], v[8:9], off
	v_lshl_add_u64 v[10:11], v[0:1], 2, s[10:11]
	global_load_dword v2, v[10:11], off
	s_waitcnt vmcnt(1)
	v_subrev_co_u32_e32 v10, vcc, s20, v8
	s_nop 1
	v_subbrev_co_u32_e32 v11, vcc, 0, v9, vcc
	s_waitcnt vmcnt(0)
	v_subrev_u32_e32 v8, s20, v2
	v_cmp_lt_i64_e32 vcc, v[0:1], v[10:11]
	v_ashrrev_i32_e32 v9, 31, v8
	s_nop 0
	v_cndmask_b32_e32 v5, v7, v5, vcc
	v_cndmask_b32_e32 v4, v6, v4, vcc
	v_cmp_ne_u64_e32 vcc, v[4:5], v[8:9]
	s_and_saveexec_b64 s[2:3], vcc
	s_cbranch_execz .LBB6_25
; %bb.31:                               ;   in Loop: Header=BB6_26 Depth=1
	v_lshl_add_u64 v[6:7], v[0:1], 2, s[12:13]
	global_load_dword v2, v[6:7], off
	v_lshl_add_u64 v[4:5], v[4:5], 2, s[14:15]
	global_load_dword v6, v[4:5], off
	v_lshl_add_u64 v[4:5], v[8:9], 2, s[24:25]
	s_waitcnt vmcnt(1)
	v_mul_f32_e32 v2, s22, v2
	s_waitcnt vmcnt(0)
	v_mul_f32_e32 v2, v2, v6
	global_atomic_add_f32 v[4:5], v2, off
	s_branch .LBB6_25
.LBB6_32:
	s_endpgm
	.section	.rodata,"a",@progbits
	.p2align	6, 0x0
	.amdhsa_kernel _ZL33csrmvn_symm_large_adaptive_kernelIliffffEvbT_PKS0_N9rocsparse24const_host_device_scalarIT4_EES2_PKT0_PKT1_PKT2_S6_PT3_21rocsparse_index_base_b
		.amdhsa_group_segment_fixed_size 4096
		.amdhsa_private_segment_fixed_size 0
		.amdhsa_kernarg_size 88
		.amdhsa_user_sgpr_count 2
		.amdhsa_user_sgpr_dispatch_ptr 0
		.amdhsa_user_sgpr_queue_ptr 0
		.amdhsa_user_sgpr_kernarg_segment_ptr 1
		.amdhsa_user_sgpr_dispatch_id 0
		.amdhsa_user_sgpr_kernarg_preload_length 0
		.amdhsa_user_sgpr_kernarg_preload_offset 0
		.amdhsa_user_sgpr_private_segment_size 0
		.amdhsa_uses_dynamic_stack 0
		.amdhsa_enable_private_segment 0
		.amdhsa_system_sgpr_workgroup_id_x 1
		.amdhsa_system_sgpr_workgroup_id_y 0
		.amdhsa_system_sgpr_workgroup_id_z 0
		.amdhsa_system_sgpr_workgroup_info 0
		.amdhsa_system_vgpr_workitem_id 0
		.amdhsa_next_free_vgpr 17
		.amdhsa_next_free_sgpr 40
		.amdhsa_accum_offset 20
		.amdhsa_reserve_vcc 1
		.amdhsa_float_round_mode_32 0
		.amdhsa_float_round_mode_16_64 0
		.amdhsa_float_denorm_mode_32 3
		.amdhsa_float_denorm_mode_16_64 3
		.amdhsa_dx10_clamp 1
		.amdhsa_ieee_mode 1
		.amdhsa_fp16_overflow 0
		.amdhsa_tg_split 0
		.amdhsa_exception_fp_ieee_invalid_op 0
		.amdhsa_exception_fp_denorm_src 0
		.amdhsa_exception_fp_ieee_div_zero 0
		.amdhsa_exception_fp_ieee_overflow 0
		.amdhsa_exception_fp_ieee_underflow 0
		.amdhsa_exception_fp_ieee_inexact 0
		.amdhsa_exception_int_div_zero 0
	.end_amdhsa_kernel
	.section	.text._ZL33csrmvn_symm_large_adaptive_kernelIliffffEvbT_PKS0_N9rocsparse24const_host_device_scalarIT4_EES2_PKT0_PKT1_PKT2_S6_PT3_21rocsparse_index_base_b,"axG",@progbits,_ZL33csrmvn_symm_large_adaptive_kernelIliffffEvbT_PKS0_N9rocsparse24const_host_device_scalarIT4_EES2_PKT0_PKT1_PKT2_S6_PT3_21rocsparse_index_base_b,comdat
.Lfunc_end6:
	.size	_ZL33csrmvn_symm_large_adaptive_kernelIliffffEvbT_PKS0_N9rocsparse24const_host_device_scalarIT4_EES2_PKT0_PKT1_PKT2_S6_PT3_21rocsparse_index_base_b, .Lfunc_end6-_ZL33csrmvn_symm_large_adaptive_kernelIliffffEvbT_PKS0_N9rocsparse24const_host_device_scalarIT4_EES2_PKT0_PKT1_PKT2_S6_PT3_21rocsparse_index_base_b
                                        ; -- End function
	.set _ZL33csrmvn_symm_large_adaptive_kernelIliffffEvbT_PKS0_N9rocsparse24const_host_device_scalarIT4_EES2_PKT0_PKT1_PKT2_S6_PT3_21rocsparse_index_base_b.num_vgpr, 17
	.set _ZL33csrmvn_symm_large_adaptive_kernelIliffffEvbT_PKS0_N9rocsparse24const_host_device_scalarIT4_EES2_PKT0_PKT1_PKT2_S6_PT3_21rocsparse_index_base_b.num_agpr, 0
	.set _ZL33csrmvn_symm_large_adaptive_kernelIliffffEvbT_PKS0_N9rocsparse24const_host_device_scalarIT4_EES2_PKT0_PKT1_PKT2_S6_PT3_21rocsparse_index_base_b.numbered_sgpr, 40
	.set _ZL33csrmvn_symm_large_adaptive_kernelIliffffEvbT_PKS0_N9rocsparse24const_host_device_scalarIT4_EES2_PKT0_PKT1_PKT2_S6_PT3_21rocsparse_index_base_b.num_named_barrier, 0
	.set _ZL33csrmvn_symm_large_adaptive_kernelIliffffEvbT_PKS0_N9rocsparse24const_host_device_scalarIT4_EES2_PKT0_PKT1_PKT2_S6_PT3_21rocsparse_index_base_b.private_seg_size, 0
	.set _ZL33csrmvn_symm_large_adaptive_kernelIliffffEvbT_PKS0_N9rocsparse24const_host_device_scalarIT4_EES2_PKT0_PKT1_PKT2_S6_PT3_21rocsparse_index_base_b.uses_vcc, 1
	.set _ZL33csrmvn_symm_large_adaptive_kernelIliffffEvbT_PKS0_N9rocsparse24const_host_device_scalarIT4_EES2_PKT0_PKT1_PKT2_S6_PT3_21rocsparse_index_base_b.uses_flat_scratch, 0
	.set _ZL33csrmvn_symm_large_adaptive_kernelIliffffEvbT_PKS0_N9rocsparse24const_host_device_scalarIT4_EES2_PKT0_PKT1_PKT2_S6_PT3_21rocsparse_index_base_b.has_dyn_sized_stack, 0
	.set _ZL33csrmvn_symm_large_adaptive_kernelIliffffEvbT_PKS0_N9rocsparse24const_host_device_scalarIT4_EES2_PKT0_PKT1_PKT2_S6_PT3_21rocsparse_index_base_b.has_recursion, 0
	.set _ZL33csrmvn_symm_large_adaptive_kernelIliffffEvbT_PKS0_N9rocsparse24const_host_device_scalarIT4_EES2_PKT0_PKT1_PKT2_S6_PT3_21rocsparse_index_base_b.has_indirect_call, 0
	.section	.AMDGPU.csdata,"",@progbits
; Kernel info:
; codeLenInByte = 1396
; TotalNumSgprs: 46
; NumVgprs: 17
; NumAgprs: 0
; TotalNumVgprs: 17
; ScratchSize: 0
; MemoryBound: 0
; FloatMode: 240
; IeeeMode: 1
; LDSByteSize: 4096 bytes/workgroup (compile time only)
; SGPRBlocks: 5
; VGPRBlocks: 2
; NumSGPRsForWavesPerEU: 46
; NumVGPRsForWavesPerEU: 17
; AccumOffset: 20
; Occupancy: 8
; WaveLimiterHint : 1
; COMPUTE_PGM_RSRC2:SCRATCH_EN: 0
; COMPUTE_PGM_RSRC2:USER_SGPR: 2
; COMPUTE_PGM_RSRC2:TRAP_HANDLER: 0
; COMPUTE_PGM_RSRC2:TGID_X_EN: 1
; COMPUTE_PGM_RSRC2:TGID_Y_EN: 0
; COMPUTE_PGM_RSRC2:TGID_Z_EN: 0
; COMPUTE_PGM_RSRC2:TIDIG_COMP_CNT: 0
; COMPUTE_PGM_RSRC3_GFX90A:ACCUM_OFFSET: 4
; COMPUTE_PGM_RSRC3_GFX90A:TG_SPLIT: 0
	.section	.text._ZN9rocsparseL22csrmvn_adaptive_kernelIllffffEEvbT_PKS1_PjPKT0_NS_24const_host_device_scalarIT4_EES3_S7_PKT1_PKT2_SA_PT3_21rocsparse_index_base_b,"axG",@progbits,_ZN9rocsparseL22csrmvn_adaptive_kernelIllffffEEvbT_PKS1_PjPKT0_NS_24const_host_device_scalarIT4_EES3_S7_PKT1_PKT2_SA_PT3_21rocsparse_index_base_b,comdat
	.globl	_ZN9rocsparseL22csrmvn_adaptive_kernelIllffffEEvbT_PKS1_PjPKT0_NS_24const_host_device_scalarIT4_EES3_S7_PKT1_PKT2_SA_PT3_21rocsparse_index_base_b ; -- Begin function _ZN9rocsparseL22csrmvn_adaptive_kernelIllffffEEvbT_PKS1_PjPKT0_NS_24const_host_device_scalarIT4_EES3_S7_PKT1_PKT2_SA_PT3_21rocsparse_index_base_b
	.p2align	8
	.type	_ZN9rocsparseL22csrmvn_adaptive_kernelIllffffEEvbT_PKS1_PjPKT0_NS_24const_host_device_scalarIT4_EES3_S7_PKT1_PKT2_SA_PT3_21rocsparse_index_base_b,@function
_ZN9rocsparseL22csrmvn_adaptive_kernelIllffffEEvbT_PKS1_PjPKT0_NS_24const_host_device_scalarIT4_EES3_S7_PKT1_PKT2_SA_PT3_21rocsparse_index_base_b: ; @_ZN9rocsparseL22csrmvn_adaptive_kernelIllffffEEvbT_PKS1_PjPKT0_NS_24const_host_device_scalarIT4_EES3_S7_PKT1_PKT2_SA_PT3_21rocsparse_index_base_b
; %bb.0:
	s_load_dwordx2 s[48:49], s[0:1], 0x60
	s_load_dwordx2 s[46:47], s[0:1], 0x28
	;; [unrolled: 1-line block ×3, first 2 shown]
	s_waitcnt lgkmcnt(0)
	s_bitcmp1_b32 s49, 0
	s_cselect_b64 s[6:7], -1, 0
	s_xor_b64 s[4:5], s[6:7], -1
	s_and_b64 vcc, exec, s[6:7]
	s_cbranch_vccnz .LBB7_2
; %bb.1:
	s_load_dword s46, s[46:47], 0x0
.LBB7_2:
	s_andn2_b64 vcc, exec, s[4:5]
	s_cbranch_vccnz .LBB7_4
; %bb.3:
	s_load_dword s22, s[22:23], 0x0
.LBB7_4:
	s_waitcnt lgkmcnt(0)
	v_cmp_neq_f32_e64 s[4:5], s46, 0
	v_cmp_neq_f32_e64 s[6:7], s22, 1.0
	s_or_b64 s[4:5], s[4:5], s[6:7]
	s_andn2_b64 vcc, exec, s[4:5]
	s_cbranch_vccnz .LBB7_114
; %bb.5:
	s_load_dwordx2 s[4:5], s[0:1], 0x10
	s_load_dwordx2 s[6:7], s[0:1], 0x20
	s_ashr_i32 s3, s2, 31
	s_lshl_b64 s[8:9], s[2:3], 3
	s_waitcnt lgkmcnt(0)
	s_add_u32 s4, s4, s8
	s_addc_u32 s5, s5, s9
	s_load_dwordx4 s[36:39], s[4:5], 0x0
	s_load_dwordx2 s[34:35], s[0:1], 0x58
	s_load_dwordx8 s[24:31], s[0:1], 0x30
	s_waitcnt lgkmcnt(0)
	s_sub_u32 s4, s38, s36
	s_subb_u32 s5, s39, s37
	s_add_u32 s6, s6, s8
	s_addc_u32 s7, s7, s9
	s_lshl_b64 s[8:9], s[36:37], 3
	s_add_u32 s44, s24, s8
	s_addc_u32 s45, s25, s9
	s_load_dwordx2 s[40:41], s[6:7], 0x0
	s_load_dwordx2 s[42:43], s[44:45], 0x0
	v_cmp_lt_i64_e64 s[8:9], s[4:5], 2
	s_mov_b64 s[6:7], -1
	s_and_b64 vcc, exec, s[8:9]
	s_cbranch_vccz .LBB7_70
; %bb.6:
	s_cmp_lg_u64 s[4:5], 1
	s_cselect_b64 s[4:5], -1, 0
	s_waitcnt lgkmcnt(0)
	s_cmp_lg_u64 s[40:41], 0
	s_cselect_b64 s[6:7], -1, 0
	s_or_b64 s[4:5], s[4:5], s[6:7]
	s_mov_b64 s[18:19], -1
	s_and_b64 vcc, exec, s[4:5]
	v_cmp_gt_u32_e64 s[4:5], 64, v0
	v_cmp_gt_u32_e64 s[6:7], 32, v0
	;; [unrolled: 1-line block ×6, first 2 shown]
	v_cmp_eq_u32_e64 s[16:17], 0, v0
	s_cbranch_vccnz .LBB7_34
; %bb.7:
	v_subrev_co_u32_e32 v2, vcc, s48, v0
	v_cmp_neq_f32_e64 s[20:21], s22, 0
	s_nop 0
	v_subb_co_u32_e64 v3, s[18:19], 0, 0, vcc
	s_movk_i32 s18, 0x80
	v_cndmask_b32_e64 v4, 0, 1, s[20:21]
	v_mov_b32_e32 v1, 0
	v_lshlrev_b32_e32 v12, 2, v0
	v_cmp_gt_u32_e64 s[18:19], s18, v0
	s_mov_b64 s[50:51], 0x100
	s_mov_b64 s[52:53], 0x400
	;; [unrolled: 1-line block ×3, first 2 shown]
	v_cmp_ne_u32_e64 s[20:21], 1, v4
	v_mov_b64_e32 v[4:5], s[38:39]
	s_mov_b64 s[56:57], s[36:37]
	s_branch .LBB7_10
.LBB7_8:                                ;   in Loop: Header=BB7_10 Depth=1
	s_lshl_b64 s[60:61], s[56:57], 2
	s_add_u32 s60, s34, s60
	s_addc_u32 s61, s35, s61
	s_waitcnt lgkmcnt(0)
	global_store_dword v1, v6, s[60:61]
.LBB7_9:                                ;   in Loop: Header=BB7_10 Depth=1
	s_or_b64 exec, exec, s[58:59]
	s_add_u32 s56, s56, 1
	s_addc_u32 s57, s57, 0
	v_cmp_ge_i64_e32 vcc, s[56:57], v[4:5]
	s_cbranch_vccnz .LBB7_33
.LBB7_10:                               ; =>This Loop Header: Depth=1
                                        ;     Child Loop BB7_12 Depth 2
	s_lshl_b64 s[58:59], s[56:57], 3
	s_add_u32 s58, s24, s58
	s_addc_u32 s59, s25, s59
	s_load_dwordx4 s[60:63], s[58:59], 0x0
	v_mov_b32_e32 v13, 0
	s_waitcnt lgkmcnt(0)
	s_sub_u32 s58, s62, s48
	v_lshl_add_u64 v[6:7], s[60:61], 0, v[2:3]
	s_subb_u32 s59, s63, 0
	v_cmp_gt_i64_e32 vcc, s[58:59], v[6:7]
	s_and_saveexec_b64 s[60:61], vcc
	s_cbranch_execz .LBB7_14
; %bb.11:                               ;   in Loop: Header=BB7_10 Depth=1
	v_lshl_add_u64 v[8:9], v[6:7], 2, s[28:29]
	v_lshl_add_u64 v[10:11], v[6:7], 3, s[26:27]
	v_mov_b32_e32 v13, 0
	s_mov_b64 s[62:63], 0
.LBB7_12:                               ;   Parent Loop BB7_10 Depth=1
                                        ; =>  This Inner Loop Header: Depth=2
	global_load_dwordx2 v[14:15], v[10:11], off
	global_load_dword v16, v[8:9], off
	v_lshl_add_u64 v[6:7], v[6:7], 0, s[50:51]
	v_lshl_add_u64 v[8:9], v[8:9], 0, s[52:53]
	;; [unrolled: 1-line block ×3, first 2 shown]
	s_waitcnt vmcnt(1)
	v_subrev_co_u32_e32 v14, vcc, s48, v14
	s_nop 1
	v_subbrev_co_u32_e32 v15, vcc, 0, v15, vcc
	v_lshl_add_u64 v[14:15], v[14:15], 2, s[30:31]
	global_load_dword v14, v[14:15], off
	v_cmp_le_i64_e32 vcc, s[58:59], v[6:7]
	s_waitcnt vmcnt(1)
	v_mul_f32_e32 v15, s46, v16
	s_or_b64 s[62:63], vcc, s[62:63]
	s_waitcnt vmcnt(0)
	v_fmac_f32_e32 v13, v15, v14
	s_andn2_b64 exec, exec, s[62:63]
	s_cbranch_execnz .LBB7_12
; %bb.13:                               ;   in Loop: Header=BB7_10 Depth=1
	s_or_b64 exec, exec, s[62:63]
.LBB7_14:                               ;   in Loop: Header=BB7_10 Depth=1
	s_or_b64 exec, exec, s[60:61]
	ds_write_b32 v12, v13
	s_waitcnt lgkmcnt(0)
	s_barrier
	s_and_saveexec_b64 s[58:59], s[18:19]
	s_cbranch_execz .LBB7_16
; %bb.15:                               ;   in Loop: Header=BB7_10 Depth=1
	ds_read2st64_b32 v[6:7], v12 offset1:2
	s_waitcnt lgkmcnt(0)
	v_add_f32_e32 v6, v6, v7
	ds_write_b32 v12, v6
.LBB7_16:                               ;   in Loop: Header=BB7_10 Depth=1
	s_or_b64 exec, exec, s[58:59]
	s_waitcnt lgkmcnt(0)
	s_barrier
	s_and_saveexec_b64 s[58:59], s[4:5]
	s_cbranch_execz .LBB7_18
; %bb.17:                               ;   in Loop: Header=BB7_10 Depth=1
	ds_read2st64_b32 v[6:7], v12 offset1:1
	s_waitcnt lgkmcnt(0)
	v_add_f32_e32 v6, v6, v7
	ds_write_b32 v12, v6
.LBB7_18:                               ;   in Loop: Header=BB7_10 Depth=1
	s_or_b64 exec, exec, s[58:59]
	s_waitcnt lgkmcnt(0)
	s_barrier
	s_and_saveexec_b64 s[58:59], s[6:7]
	s_cbranch_execz .LBB7_20
; %bb.19:                               ;   in Loop: Header=BB7_10 Depth=1
	ds_read2_b32 v[6:7], v12 offset1:32
	s_waitcnt lgkmcnt(0)
	v_add_f32_e32 v6, v6, v7
	ds_write_b32 v12, v6
.LBB7_20:                               ;   in Loop: Header=BB7_10 Depth=1
	s_or_b64 exec, exec, s[58:59]
	s_waitcnt lgkmcnt(0)
	s_barrier
	s_and_saveexec_b64 s[58:59], s[8:9]
	s_cbranch_execz .LBB7_22
; %bb.21:                               ;   in Loop: Header=BB7_10 Depth=1
	ds_read2_b32 v[6:7], v12 offset1:16
	s_waitcnt lgkmcnt(0)
	v_add_f32_e32 v6, v6, v7
	ds_write_b32 v12, v6
.LBB7_22:                               ;   in Loop: Header=BB7_10 Depth=1
	;; [unrolled: 11-line block ×5, first 2 shown]
	s_or_b64 exec, exec, s[58:59]
	s_waitcnt lgkmcnt(0)
	s_barrier
	s_and_saveexec_b64 s[58:59], s[16:17]
	s_cbranch_execz .LBB7_30
; %bb.29:                               ;   in Loop: Header=BB7_10 Depth=1
	ds_read_b64 v[6:7], v1
	s_waitcnt lgkmcnt(0)
	v_add_f32_e32 v6, v6, v7
	ds_write_b32 v1, v6
.LBB7_30:                               ;   in Loop: Header=BB7_10 Depth=1
	s_or_b64 exec, exec, s[58:59]
	s_waitcnt lgkmcnt(0)
	s_barrier
	s_and_saveexec_b64 s[58:59], s[16:17]
	s_cbranch_execz .LBB7_9
; %bb.31:                               ;   in Loop: Header=BB7_10 Depth=1
	ds_read_b32 v6, v1
	s_and_b64 vcc, exec, s[20:21]
	s_cbranch_vccnz .LBB7_8
; %bb.32:                               ;   in Loop: Header=BB7_10 Depth=1
	s_lshl_b64 s[60:61], s[56:57], 2
	s_add_u32 s60, s34, s60
	s_addc_u32 s61, s35, s61
	global_load_dword v7, v1, s[60:61]
	s_waitcnt vmcnt(0) lgkmcnt(0)
	v_fmac_f32_e32 v6, s22, v7
	s_branch .LBB7_8
.LBB7_33:
	s_mov_b64 s[18:19], 0
.LBB7_34:
	s_and_b64 vcc, exec, s[18:19]
	s_cbranch_vccz .LBB7_69
; %bb.35:
	s_load_dwordx2 s[6:7], s[0:1], 0x18
	s_sub_u32 s8, s2, s40
	s_subb_u32 s9, s3, s41
	s_lshl_b64 s[2:3], s[2:3], 2
	v_mov_b32_e32 v1, 0
	s_waitcnt lgkmcnt(0)
	s_add_u32 s4, s6, s2
	s_addc_u32 s5, s7, s3
	global_load_dword v8, v1, s[4:5]
	s_cmp_lg_u64 s[40:41], 0
	s_cselect_b64 s[10:11], -1, 0
	s_cmp_eq_u64 s[40:41], 0
	s_cselect_b64 s[2:3], -1, 0
	v_cmp_eq_u32_e32 vcc, 0, v0
	s_and_b64 s[2:3], vcc, s[2:3]
	v_mov_b32_e32 v9, 0
	s_and_saveexec_b64 s[12:13], s[2:3]
	s_cbranch_execz .LBB7_39
; %bb.36:
	s_lshl_b64 s[2:3], s[36:37], 2
	s_add_u32 s2, s34, s2
	s_addc_u32 s3, s35, s3
	v_mov_b32_e32 v4, 0
	global_load_dword v2, v4, s[2:3]
	s_mov_b64 s[14:15], exec
	v_mbcnt_lo_u32_b32 v5, s14, 0
	v_mbcnt_hi_u32_b32 v5, s15, v5
	v_add_f32_e64 v3, s22, -1.0
	v_cmp_eq_u32_e64 s[2:3], 0, v5
	s_waitcnt vmcnt(0) expcnt(0) lgkmcnt(0)
	s_and_saveexec_b64 s[16:17], s[2:3]
	s_cbranch_execz .LBB7_38
; %bb.37:
	s_lshl_b64 s[2:3], s[8:9], 2
	s_add_u32 s2, s6, s2
	s_addc_u32 s3, s7, s3
	s_bcnt1_i32_b64 s14, s[14:15]
	s_and_b32 s14, s14, 1
	v_mov_b32_e32 v5, s14
	global_atomic_xor v4, v5, s[2:3]
.LBB7_38:
	s_or_b64 exec, exec, s[16:17]
	v_mul_f32_e32 v9, v3, v2
.LBB7_39:
	s_or_b64 exec, exec, s[12:13]
	s_mul_i32 s2, s41, 0xc00
	s_mul_hi_u32 s3, s40, 0xc00
	s_add_i32 s12, s3, s2
	s_load_dwordx2 s[2:3], s[44:45], 0x8
	s_sub_u32 s14, s42, s48
	s_mul_i32 s13, s40, 0xc00
	s_subb_u32 s15, s43, 0
	s_add_u32 s16, s14, s13
	s_addc_u32 s17, s15, s12
	s_waitcnt lgkmcnt(0)
	s_sub_u32 s14, s2, s48
	s_subb_u32 s15, s3, 0
	v_lshl_add_u64 v[2:3], s[16:17], 0, v[0:1]
	v_cmp_gt_i64_e64 s[2:3], s[14:15], v[2:3]
	s_and_saveexec_b64 s[12:13], s[2:3]
	s_cbranch_execz .LBB7_43
; %bb.40:
	s_add_u32 s16, s16, 0xc00
	s_addc_u32 s17, s17, 0
	v_mov_b64_e32 v[4:5], s[14:15]
	v_cmp_lt_i64_e64 s[2:3], s[16:17], v[4:5]
	s_and_b64 s[2:3], s[2:3], exec
	s_cselect_b32 s15, s17, s15
	s_cselect_b32 s14, s16, s14
	v_lshl_add_u64 v[4:5], v[2:3], 2, s[28:29]
	v_lshl_add_u64 v[6:7], v[2:3], 3, s[26:27]
	s_mov_b64 s[16:17], 0
	s_mov_b64 s[18:19], 0x100
	;; [unrolled: 1-line block ×4, first 2 shown]
.LBB7_41:                               ; =>This Inner Loop Header: Depth=1
	global_load_dwordx2 v[10:11], v[6:7], off
	global_load_dword v1, v[4:5], off
	v_lshl_add_u64 v[2:3], v[2:3], 0, s[18:19]
	v_lshl_add_u64 v[4:5], v[4:5], 0, s[20:21]
	;; [unrolled: 1-line block ×3, first 2 shown]
	s_waitcnt vmcnt(1)
	v_subrev_co_u32_e64 v10, s[2:3], s48, v10
	s_nop 1
	v_subbrev_co_u32_e64 v11, s[2:3], 0, v11, s[2:3]
	v_lshl_add_u64 v[10:11], v[10:11], 2, s[30:31]
	global_load_dword v10, v[10:11], off
	v_cmp_le_i64_e64 s[2:3], s[14:15], v[2:3]
	s_waitcnt vmcnt(1)
	v_mul_f32_e32 v1, s46, v1
	s_or_b64 s[16:17], s[2:3], s[16:17]
	s_waitcnt vmcnt(0)
	v_fmac_f32_e32 v9, v1, v10
	s_andn2_b64 exec, exec, s[16:17]
	s_cbranch_execnz .LBB7_41
; %bb.42:
	s_or_b64 exec, exec, s[16:17]
.LBB7_43:
	s_or_b64 exec, exec, s[12:13]
	s_movk_i32 s2, 0x80
	v_lshlrev_b32_e32 v1, 2, v0
	v_cmp_gt_u32_e64 s[2:3], s2, v0
	ds_write_b32 v1, v9
	s_waitcnt lgkmcnt(0)
	s_barrier
	s_and_saveexec_b64 s[12:13], s[2:3]
	s_cbranch_execz .LBB7_45
; %bb.44:
	ds_read2st64_b32 v[2:3], v1 offset1:2
	s_waitcnt lgkmcnt(0)
	v_add_f32_e32 v2, v2, v3
	ds_write_b32 v1, v2
.LBB7_45:
	s_or_b64 exec, exec, s[12:13]
	v_cmp_gt_u32_e64 s[2:3], 64, v0
	s_waitcnt lgkmcnt(0)
	s_barrier
	s_and_saveexec_b64 s[12:13], s[2:3]
	s_cbranch_execz .LBB7_47
; %bb.46:
	ds_read2st64_b32 v[2:3], v1 offset1:1
	s_waitcnt lgkmcnt(0)
	v_add_f32_e32 v2, v2, v3
	ds_write_b32 v1, v2
.LBB7_47:
	s_or_b64 exec, exec, s[12:13]
	v_cmp_gt_u32_e64 s[2:3], 32, v0
	s_waitcnt lgkmcnt(0)
	s_barrier
	s_and_saveexec_b64 s[12:13], s[2:3]
	s_cbranch_execz .LBB7_49
; %bb.48:
	ds_read2_b32 v[2:3], v1 offset1:32
	s_waitcnt lgkmcnt(0)
	v_add_f32_e32 v2, v2, v3
	ds_write_b32 v1, v2
.LBB7_49:
	s_or_b64 exec, exec, s[12:13]
	v_cmp_gt_u32_e64 s[2:3], 16, v0
	s_waitcnt lgkmcnt(0)
	s_barrier
	s_and_saveexec_b64 s[12:13], s[2:3]
	s_cbranch_execz .LBB7_51
; %bb.50:
	ds_read2_b32 v[2:3], v1 offset1:16
	s_waitcnt lgkmcnt(0)
	v_add_f32_e32 v2, v2, v3
	ds_write_b32 v1, v2
.LBB7_51:
	;; [unrolled: 12-line block ×5, first 2 shown]
	s_or_b64 exec, exec, s[12:13]
	s_waitcnt lgkmcnt(0)
	s_barrier
	s_and_saveexec_b64 s[2:3], vcc
	s_cbranch_execz .LBB7_59
; %bb.58:
	v_mov_b32_e32 v1, 0
	ds_read_b64 v[2:3], v1
	s_waitcnt lgkmcnt(0)
	v_add_f32_e32 v2, v2, v3
	ds_write_b32 v1, v2
.LBB7_59:
	s_or_b64 exec, exec, s[2:3]
	s_waitcnt lgkmcnt(0)
	s_barrier
	s_and_saveexec_b64 s[2:3], vcc
	s_cbranch_execz .LBB7_68
; %bb.60:
	s_andn2_b64 vcc, exec, s[10:11]
	s_cbranch_vccnz .LBB7_66
; %bb.61:
	s_lshl_b64 s[8:9], s[8:9], 2
	s_add_u32 s6, s6, s8
	s_addc_u32 s7, s7, s9
	v_mov_b32_e32 v1, 0
	s_branch .LBB7_63
.LBB7_62:                               ;   in Loop: Header=BB7_63 Depth=1
	s_or_b64 exec, exec, s[8:9]
	s_waitcnt vmcnt(0)
	v_readfirstlane_b32 s8, v2
	s_nop 1
	v_cmp_eq_u32_e32 vcc, s8, v8
	s_cbranch_vccz .LBB7_65
.LBB7_63:                               ; =>This Inner Loop Header: Depth=1
	v_mbcnt_lo_u32_b32 v2, exec_lo, 0
	v_mbcnt_hi_u32_b32 v2, exec_hi, v2
	v_cmp_eq_u32_e32 vcc, 0, v2
                                        ; implicit-def: $vgpr2
	s_and_saveexec_b64 s[8:9], vcc
	s_cbranch_execz .LBB7_62
; %bb.64:                               ;   in Loop: Header=BB7_63 Depth=1
	global_load_dword v2, v1, s[6:7] sc1
	s_branch .LBB7_62
.LBB7_65:
	v_mov_b32_e32 v1, 0
	global_load_ushort v2, v1, s[4:5]
	s_waitcnt vmcnt(0)
	v_xor_b32_e32 v2, 1, v2
	global_store_short v1, v2, s[4:5]
.LBB7_66:
	s_mov_b64 s[4:5], exec
	v_mbcnt_lo_u32_b32 v1, s4, 0
	v_mbcnt_hi_u32_b32 v1, s5, v1
	v_cmp_eq_u32_e32 vcc, 0, v1
	s_and_b64 s[6:7], exec, vcc
	s_mov_b64 exec, s[6:7]
	s_cbranch_execz .LBB7_68
; %bb.67:
	v_mov_b32_e32 v1, 0
	ds_read_b32 v2, v1
	s_lshl_b64 s[6:7], s[36:37], 2
	s_add_u32 s6, s34, s6
	s_addc_u32 s7, s35, s7
	s_bcnt1_i32_b64 s4, s[4:5]
	v_cvt_f32_ubyte0_e32 v3, s4
	s_waitcnt lgkmcnt(0)
	v_mul_f32_e32 v2, v2, v3
	global_atomic_add_f32 v1, v2, s[6:7]
.LBB7_68:
	s_or_b64 exec, exec, s[2:3]
.LBB7_69:
	s_mov_b64 s[6:7], 0
.LBB7_70:
	s_andn2_b64 vcc, exec, s[6:7]
	s_cbranch_vccnz .LBB7_114
; %bb.71:
	s_load_dwordx2 s[0:1], s[0:1], 0x8
	v_subrev_co_u32_e32 v2, vcc, s48, v0
	v_mov_b32_e32 v1, 0
	s_nop 0
	v_subb_co_u32_e64 v3, s[2:3], 0, 0, vcc
	s_waitcnt lgkmcnt(0)
	v_lshl_add_u64 v[2:3], s[42:43], 0, v[2:3]
	s_mov_b64 s[2:3], 0x300
	v_lshl_add_u64 v[4:5], v[2:3], 0, s[2:3]
	v_cmp_le_i64_e32 vcc, s[0:1], v[4:5]
	s_and_saveexec_b64 s[0:1], vcc
	s_xor_b64 s[0:1], exec, s[0:1]
	s_cbranch_execz .LBB7_76
; %bb.72:
	s_lshl_b64 s[2:3], s[38:39], 3
	s_add_u32 s2, s24, s2
	s_addc_u32 s3, s25, s3
	s_load_dwordx2 s[2:3], s[2:3], 0x0
	s_waitcnt lgkmcnt(0)
	s_sub_u32 s2, s2, s48
	s_subb_u32 s3, s3, 0
	v_cmp_gt_i64_e32 vcc, s[2:3], v[2:3]
	s_and_saveexec_b64 s[4:5], vcc
	s_cbranch_execz .LBB7_75
; %bb.73:
	s_waitcnt vmcnt(0)
	v_lshlrev_b32_e32 v8, 2, v0
	v_lshl_add_u64 v[4:5], v[2:3], 2, s[28:29]
	v_lshl_add_u64 v[6:7], v[2:3], 3, s[26:27]
	s_mov_b64 s[6:7], 0
	s_mov_b64 s[8:9], 0x100
	;; [unrolled: 1-line block ×4, first 2 shown]
.LBB7_74:                               ; =>This Inner Loop Header: Depth=1
	global_load_dwordx2 v[10:11], v[6:7], off
	global_load_dword v9, v[4:5], off
	v_lshl_add_u64 v[2:3], v[2:3], 0, s[8:9]
	v_lshl_add_u64 v[4:5], v[4:5], 0, s[10:11]
	;; [unrolled: 1-line block ×3, first 2 shown]
	s_waitcnt vmcnt(1)
	v_subrev_co_u32_e32 v10, vcc, s48, v10
	s_nop 1
	v_subbrev_co_u32_e32 v11, vcc, 0, v11, vcc
	v_lshl_add_u64 v[10:11], v[10:11], 2, s[30:31]
	global_load_dword v10, v[10:11], off
	s_waitcnt vmcnt(1)
	v_mul_f32_e32 v9, s46, v9
	v_cmp_le_i64_e32 vcc, s[2:3], v[2:3]
	s_or_b64 s[6:7], vcc, s[6:7]
	s_waitcnt vmcnt(0)
	v_mul_f32_e32 v9, v9, v10
	ds_write_b32 v8, v9
	v_add_u32_e32 v8, 0x400, v8
	s_andn2_b64 exec, exec, s[6:7]
	s_cbranch_execnz .LBB7_74
.LBB7_75:
	s_or_b64 exec, exec, s[4:5]
                                        ; implicit-def: $vgpr2_vgpr3
.LBB7_76:
	s_or_saveexec_b64 s[0:1], s[0:1]
	v_lshlrev_b32_e32 v10, 2, v0
	s_xor_b64 exec, exec, s[0:1]
	s_cbranch_execz .LBB7_78
; %bb.77:
	v_lshl_add_u64 v[4:5], v[2:3], 3, s[26:27]
	global_load_dwordx2 v[6:7], v[4:5], off
	global_load_dwordx2 v[8:9], v[4:5], off offset:2048
	s_movk_i32 s2, 0x1000
	v_add_co_u32_e32 v4, vcc, s2, v4
	v_lshl_add_u64 v[2:3], v[2:3], 2, s[28:29]
	s_nop 0
	v_addc_co_u32_e32 v5, vcc, 0, v5, vcc
	global_load_dwordx2 v[12:13], v[4:5], off
	global_load_dwordx2 v[14:15], v[4:5], off offset:2048
	global_load_dword v11, v[2:3], off
	global_load_dword v16, v[2:3], off offset:1024
	global_load_dword v17, v[2:3], off offset:2048
	;; [unrolled: 1-line block ×3, first 2 shown]
	s_waitcnt vmcnt(7)
	v_subrev_co_u32_e32 v2, vcc, s48, v6
	s_nop 1
	v_subbrev_co_u32_e32 v3, vcc, 0, v7, vcc
	s_waitcnt vmcnt(6)
	v_subrev_co_u32_e32 v4, vcc, s48, v8
	v_lshl_add_u64 v[2:3], v[2:3], 2, s[30:31]
	s_nop 0
	v_subbrev_co_u32_e32 v5, vcc, 0, v9, vcc
	s_waitcnt vmcnt(5)
	v_subrev_co_u32_e32 v6, vcc, s48, v12
	v_lshl_add_u64 v[4:5], v[4:5], 2, s[30:31]
	s_nop 0
	v_subbrev_co_u32_e32 v7, vcc, 0, v13, vcc
	s_waitcnt vmcnt(4)
	v_subrev_co_u32_e32 v8, vcc, s48, v14
	global_load_dword v12, v[2:3], off
	global_load_dword v13, v[4:5], off
	v_subbrev_co_u32_e32 v9, vcc, 0, v15, vcc
	v_lshl_add_u64 v[2:3], v[6:7], 2, s[30:31]
	v_lshl_add_u64 v[4:5], v[8:9], 2, s[30:31]
	global_load_dword v6, v[2:3], off
	global_load_dword v7, v[4:5], off
	s_waitcnt vmcnt(7)
	v_mul_f32_e32 v2, s46, v11
	s_waitcnt vmcnt(6)
	v_mul_f32_e32 v3, s46, v16
	;; [unrolled: 2-line block ×6, first 2 shown]
	ds_write2st64_b32 v10, v2, v3 offset1:4
	s_waitcnt vmcnt(1)
	v_mul_f32_e32 v2, v4, v6
	s_waitcnt vmcnt(0)
	v_mul_f32_e32 v3, v5, v7
	ds_write2st64_b32 v10, v2, v3 offset0:8 offset1:12
.LBB7_78:
	s_or_b64 exec, exec, s[0:1]
	v_cmp_lt_i64_e64 s[2:3], s[40:41], 2
	s_mov_b64 s[0:1], -1
	s_and_b64 vcc, exec, s[2:3]
	s_waitcnt lgkmcnt(0)
	s_barrier
	s_cbranch_vccz .LBB7_89
; %bb.79:
	v_lshl_add_u64 v[6:7], s[36:37], 0, v[0:1]
	v_cmp_gt_i64_e32 vcc, s[38:39], v[6:7]
	s_and_saveexec_b64 s[0:1], vcc
	s_cbranch_execz .LBB7_88
; %bb.80:
	s_lshl_b32 s4, s42, 2
	v_cmp_neq_f32_e64 s[2:3], s22, 0
	s_sub_i32 s12, 0, s4
	s_mov_b64 s[4:5], 0
	s_mov_b64 s[6:7], 0x100
	s_branch .LBB7_82
.LBB7_81:                               ;   in Loop: Header=BB7_82 Depth=1
	v_lshl_add_u64 v[6:7], v[6:7], 0, s[6:7]
	v_cmp_le_i64_e32 vcc, s[38:39], v[6:7]
	s_or_b64 s[4:5], vcc, s[4:5]
	global_store_dword v[2:3], v1, off
	s_andn2_b64 exec, exec, s[4:5]
	s_cbranch_execz .LBB7_88
.LBB7_82:                               ; =>This Loop Header: Depth=1
                                        ;     Child Loop BB7_84 Depth 2
	v_lshl_add_u64 v[2:3], v[6:7], 3, s[24:25]
	global_load_dwordx4 v[2:5], v[2:3], off
	v_mov_b32_e32 v1, 0
	s_waitcnt vmcnt(0)
	v_cmp_lt_i64_e32 vcc, v[2:3], v[4:5]
	s_and_saveexec_b64 s[8:9], vcc
	s_cbranch_execz .LBB7_86
; %bb.83:                               ;   in Loop: Header=BB7_82 Depth=1
	v_mov_b32_e32 v1, s43
	v_subrev_co_u32_e32 v4, vcc, s42, v4
	s_mov_b64 s[10:11], 0
	s_nop 0
	v_subb_co_u32_e32 v5, vcc, v5, v1, vcc
	v_subrev_co_u32_e32 v8, vcc, s42, v2
	v_lshl_add_u32 v2, v2, 2, s12
	s_nop 0
	v_subb_co_u32_e32 v9, vcc, v3, v1, vcc
	v_mov_b32_e32 v1, 0
.LBB7_84:                               ;   Parent Loop BB7_82 Depth=1
                                        ; =>  This Inner Loop Header: Depth=2
	ds_read_b32 v3, v2
	v_lshl_add_u64 v[8:9], v[8:9], 0, 1
	v_cmp_ge_i64_e32 vcc, v[8:9], v[4:5]
	v_add_u32_e32 v2, 4, v2
	s_or_b64 s[10:11], vcc, s[10:11]
	s_waitcnt lgkmcnt(0)
	v_add_f32_e32 v1, v1, v3
	s_andn2_b64 exec, exec, s[10:11]
	s_cbranch_execnz .LBB7_84
; %bb.85:                               ;   in Loop: Header=BB7_82 Depth=1
	s_or_b64 exec, exec, s[10:11]
.LBB7_86:                               ;   in Loop: Header=BB7_82 Depth=1
	s_or_b64 exec, exec, s[8:9]
	s_and_b64 vcc, exec, s[2:3]
	v_lshl_add_u64 v[2:3], v[6:7], 2, s[34:35]
	s_cbranch_vccz .LBB7_81
; %bb.87:                               ;   in Loop: Header=BB7_82 Depth=1
	global_load_dword v4, v[2:3], off
	s_waitcnt vmcnt(0)
	v_fmac_f32_e32 v1, s22, v4
	s_branch .LBB7_81
.LBB7_88:
	s_or_b64 exec, exec, s[0:1]
	s_mov_b64 s[0:1], 0
.LBB7_89:
	s_andn2_b64 vcc, exec, s[0:1]
	s_cbranch_vccnz .LBB7_114
; %bb.90:
	s_flbit_i32_b32 s0, s40
	s_min_u32 s0, s0, 32
	s_sub_i32 s0, 31, s0
	v_lshrrev_b32_e32 v4, s0, v0
	v_mov_b32_e32 v5, 0
	v_lshl_add_u64 v[2:3], s[36:37], 0, v[4:5]
	s_add_i32 s0, s40, -1
	v_and_b32_e32 v0, s0, v0
	v_mov_b32_e32 v1, v5
	v_cmp_le_i64_e64 s[0:1], s[38:39], v[2:3]
	v_cmp_gt_i64_e32 vcc, s[38:39], v[2:3]
	s_and_saveexec_b64 s[2:3], vcc
	s_cbranch_execz .LBB7_96
; %bb.91:
	v_lshlrev_b32_e32 v4, 3, v4
	global_load_dwordx4 v[4:7], v4, s[44:45]
	v_mov_b32_e32 v9, s43
	s_waitcnt vmcnt(1)
	v_subrev_co_u32_e32 v8, vcc, s42, v0
	v_mov_b32_e32 v11, s43
	s_nop 0
	v_subb_co_u32_e32 v9, vcc, 0, v9, vcc
	s_waitcnt vmcnt(0)
	v_subrev_co_u32_e32 v6, vcc, s42, v6
	s_nop 1
	v_subb_co_u32_e32 v7, vcc, v7, v11, vcc
	v_lshl_add_u64 v[8:9], v[4:5], 0, v[8:9]
	v_cmp_lt_i64_e32 vcc, v[8:9], v[6:7]
	v_mov_b32_e32 v5, 0
	s_and_saveexec_b64 s[4:5], vcc
	s_cbranch_execz .LBB7_95
; %bb.92:
	v_lshlrev_b32_e32 v4, 2, v8
	s_lshl_b32 s8, s40, 2
	v_mov_b32_e32 v5, 0
	s_mov_b64 s[6:7], 0
.LBB7_93:                               ; =>This Inner Loop Header: Depth=1
	ds_read_b32 v11, v4
	v_lshl_add_u64 v[8:9], v[8:9], 0, s[40:41]
	v_cmp_ge_i64_e32 vcc, v[8:9], v[6:7]
	v_add_u32_e32 v4, s8, v4
	s_or_b64 s[6:7], vcc, s[6:7]
	s_waitcnt lgkmcnt(0)
	v_add_f32_e32 v5, v5, v11
	s_andn2_b64 exec, exec, s[6:7]
	s_cbranch_execnz .LBB7_93
; %bb.94:
	s_or_b64 exec, exec, s[6:7]
.LBB7_95:
	s_or_b64 exec, exec, s[4:5]
.LBB7_96:
	s_or_b64 exec, exec, s[2:3]
	v_mov_b64_e32 v[6:7], 0x81
	v_cmp_lt_u64_e32 vcc, s[40:41], v[6:7]
	s_and_b64 vcc, exec, vcc
	s_barrier
	ds_write_b32 v10, v5
	s_waitcnt lgkmcnt(0)
	s_barrier
	s_cbranch_vccnz .LBB7_98
; %bb.97:
	ds_read_b32 v4, v10 offset:512
	s_waitcnt lgkmcnt(0)
	s_barrier
	v_add_f32_e32 v5, v5, v4
	ds_write_b32 v10, v5
.LBB7_98:
	v_mov_b64_e32 v[6:7], 0x41
	v_cmp_lt_u64_e32 vcc, s[40:41], v[6:7]
	s_waitcnt lgkmcnt(0)
	s_barrier
	s_cbranch_vccnz .LBB7_100
; %bb.99:
	ds_read_b32 v4, v10 offset:256
	s_waitcnt lgkmcnt(0)
	s_barrier
	v_add_f32_e32 v5, v5, v4
	ds_write_b32 v10, v5
.LBB7_100:
	v_cmp_lt_u64_e64 s[2:3], s[40:41], 33
	s_and_b64 vcc, exec, s[2:3]
	s_waitcnt lgkmcnt(0)
	s_barrier
	s_cbranch_vccnz .LBB7_102
; %bb.101:
	ds_read_b32 v4, v10 offset:128
	s_waitcnt lgkmcnt(0)
	s_barrier
	v_add_f32_e32 v5, v5, v4
	ds_write_b32 v10, v5
.LBB7_102:
	v_cmp_lt_u64_e64 s[2:3], s[40:41], 17
	s_and_b64 vcc, exec, s[2:3]
	;; [unrolled: 12-line block ×4, first 2 shown]
	s_waitcnt lgkmcnt(0)
	s_barrier
	s_cbranch_vccnz .LBB7_108
; %bb.107:
	ds_read_b32 v4, v10 offset:16
	s_waitcnt lgkmcnt(0)
	s_barrier
	v_add_f32_e32 v5, v5, v4
	ds_write_b32 v10, v5
.LBB7_108:
	s_cmp_eq_u64 s[40:41], 2
	s_waitcnt lgkmcnt(0)
	s_barrier
	s_cbranch_scc1 .LBB7_110
; %bb.109:
	ds_read_b32 v4, v10 offset:8
	s_waitcnt lgkmcnt(0)
	s_barrier
	v_add_f32_e32 v5, v5, v4
	ds_write_b32 v10, v5
.LBB7_110:
	s_waitcnt lgkmcnt(0)
	s_barrier
	ds_read_b32 v4, v10 offset:4
	v_cmp_eq_u64_e32 vcc, 0, v[0:1]
	s_xor_b64 s[0:1], s[0:1], -1
	s_and_b64 s[0:1], vcc, s[0:1]
	s_waitcnt lgkmcnt(0)
	v_add_f32_e32 v4, v5, v4
	s_barrier
	ds_write_b32 v10, v4
	s_and_saveexec_b64 s[2:3], s[0:1]
	s_cbranch_execz .LBB7_114
; %bb.111:
	v_cmp_eq_f32_e64 s[0:1], s22, 0
	s_and_b64 vcc, exec, s[0:1]
	v_lshl_add_u64 v[0:1], v[2:3], 2, s[34:35]
	s_cbranch_vccnz .LBB7_113
; %bb.112:
	global_load_dword v2, v[0:1], off
	s_waitcnt vmcnt(0)
	v_fmac_f32_e32 v4, s22, v2
.LBB7_113:
	global_store_dword v[0:1], v4, off
.LBB7_114:
	s_endpgm
	.section	.rodata,"a",@progbits
	.p2align	6, 0x0
	.amdhsa_kernel _ZN9rocsparseL22csrmvn_adaptive_kernelIllffffEEvbT_PKS1_PjPKT0_NS_24const_host_device_scalarIT4_EES3_S7_PKT1_PKT2_SA_PT3_21rocsparse_index_base_b
		.amdhsa_group_segment_fixed_size 4096
		.amdhsa_private_segment_fixed_size 0
		.amdhsa_kernarg_size 104
		.amdhsa_user_sgpr_count 2
		.amdhsa_user_sgpr_dispatch_ptr 0
		.amdhsa_user_sgpr_queue_ptr 0
		.amdhsa_user_sgpr_kernarg_segment_ptr 1
		.amdhsa_user_sgpr_dispatch_id 0
		.amdhsa_user_sgpr_kernarg_preload_length 0
		.amdhsa_user_sgpr_kernarg_preload_offset 0
		.amdhsa_user_sgpr_private_segment_size 0
		.amdhsa_uses_dynamic_stack 0
		.amdhsa_enable_private_segment 0
		.amdhsa_system_sgpr_workgroup_id_x 1
		.amdhsa_system_sgpr_workgroup_id_y 0
		.amdhsa_system_sgpr_workgroup_id_z 0
		.amdhsa_system_sgpr_workgroup_info 0
		.amdhsa_system_vgpr_workitem_id 0
		.amdhsa_next_free_vgpr 19
		.amdhsa_next_free_sgpr 64
		.amdhsa_accum_offset 20
		.amdhsa_reserve_vcc 1
		.amdhsa_float_round_mode_32 0
		.amdhsa_float_round_mode_16_64 0
		.amdhsa_float_denorm_mode_32 3
		.amdhsa_float_denorm_mode_16_64 3
		.amdhsa_dx10_clamp 1
		.amdhsa_ieee_mode 1
		.amdhsa_fp16_overflow 0
		.amdhsa_tg_split 0
		.amdhsa_exception_fp_ieee_invalid_op 0
		.amdhsa_exception_fp_denorm_src 0
		.amdhsa_exception_fp_ieee_div_zero 0
		.amdhsa_exception_fp_ieee_overflow 0
		.amdhsa_exception_fp_ieee_underflow 0
		.amdhsa_exception_fp_ieee_inexact 0
		.amdhsa_exception_int_div_zero 0
	.end_amdhsa_kernel
	.section	.text._ZN9rocsparseL22csrmvn_adaptive_kernelIllffffEEvbT_PKS1_PjPKT0_NS_24const_host_device_scalarIT4_EES3_S7_PKT1_PKT2_SA_PT3_21rocsparse_index_base_b,"axG",@progbits,_ZN9rocsparseL22csrmvn_adaptive_kernelIllffffEEvbT_PKS1_PjPKT0_NS_24const_host_device_scalarIT4_EES3_S7_PKT1_PKT2_SA_PT3_21rocsparse_index_base_b,comdat
.Lfunc_end7:
	.size	_ZN9rocsparseL22csrmvn_adaptive_kernelIllffffEEvbT_PKS1_PjPKT0_NS_24const_host_device_scalarIT4_EES3_S7_PKT1_PKT2_SA_PT3_21rocsparse_index_base_b, .Lfunc_end7-_ZN9rocsparseL22csrmvn_adaptive_kernelIllffffEEvbT_PKS1_PjPKT0_NS_24const_host_device_scalarIT4_EES3_S7_PKT1_PKT2_SA_PT3_21rocsparse_index_base_b
                                        ; -- End function
	.set _ZN9rocsparseL22csrmvn_adaptive_kernelIllffffEEvbT_PKS1_PjPKT0_NS_24const_host_device_scalarIT4_EES3_S7_PKT1_PKT2_SA_PT3_21rocsparse_index_base_b.num_vgpr, 19
	.set _ZN9rocsparseL22csrmvn_adaptive_kernelIllffffEEvbT_PKS1_PjPKT0_NS_24const_host_device_scalarIT4_EES3_S7_PKT1_PKT2_SA_PT3_21rocsparse_index_base_b.num_agpr, 0
	.set _ZN9rocsparseL22csrmvn_adaptive_kernelIllffffEEvbT_PKS1_PjPKT0_NS_24const_host_device_scalarIT4_EES3_S7_PKT1_PKT2_SA_PT3_21rocsparse_index_base_b.numbered_sgpr, 64
	.set _ZN9rocsparseL22csrmvn_adaptive_kernelIllffffEEvbT_PKS1_PjPKT0_NS_24const_host_device_scalarIT4_EES3_S7_PKT1_PKT2_SA_PT3_21rocsparse_index_base_b.num_named_barrier, 0
	.set _ZN9rocsparseL22csrmvn_adaptive_kernelIllffffEEvbT_PKS1_PjPKT0_NS_24const_host_device_scalarIT4_EES3_S7_PKT1_PKT2_SA_PT3_21rocsparse_index_base_b.private_seg_size, 0
	.set _ZN9rocsparseL22csrmvn_adaptive_kernelIllffffEEvbT_PKS1_PjPKT0_NS_24const_host_device_scalarIT4_EES3_S7_PKT1_PKT2_SA_PT3_21rocsparse_index_base_b.uses_vcc, 1
	.set _ZN9rocsparseL22csrmvn_adaptive_kernelIllffffEEvbT_PKS1_PjPKT0_NS_24const_host_device_scalarIT4_EES3_S7_PKT1_PKT2_SA_PT3_21rocsparse_index_base_b.uses_flat_scratch, 0
	.set _ZN9rocsparseL22csrmvn_adaptive_kernelIllffffEEvbT_PKS1_PjPKT0_NS_24const_host_device_scalarIT4_EES3_S7_PKT1_PKT2_SA_PT3_21rocsparse_index_base_b.has_dyn_sized_stack, 0
	.set _ZN9rocsparseL22csrmvn_adaptive_kernelIllffffEEvbT_PKS1_PjPKT0_NS_24const_host_device_scalarIT4_EES3_S7_PKT1_PKT2_SA_PT3_21rocsparse_index_base_b.has_recursion, 0
	.set _ZN9rocsparseL22csrmvn_adaptive_kernelIllffffEEvbT_PKS1_PjPKT0_NS_24const_host_device_scalarIT4_EES3_S7_PKT1_PKT2_SA_PT3_21rocsparse_index_base_b.has_indirect_call, 0
	.section	.AMDGPU.csdata,"",@progbits
; Kernel info:
; codeLenInByte = 3840
; TotalNumSgprs: 70
; NumVgprs: 19
; NumAgprs: 0
; TotalNumVgprs: 19
; ScratchSize: 0
; MemoryBound: 0
; FloatMode: 240
; IeeeMode: 1
; LDSByteSize: 4096 bytes/workgroup (compile time only)
; SGPRBlocks: 8
; VGPRBlocks: 2
; NumSGPRsForWavesPerEU: 70
; NumVGPRsForWavesPerEU: 19
; AccumOffset: 20
; Occupancy: 8
; WaveLimiterHint : 1
; COMPUTE_PGM_RSRC2:SCRATCH_EN: 0
; COMPUTE_PGM_RSRC2:USER_SGPR: 2
; COMPUTE_PGM_RSRC2:TRAP_HANDLER: 0
; COMPUTE_PGM_RSRC2:TGID_X_EN: 1
; COMPUTE_PGM_RSRC2:TGID_Y_EN: 0
; COMPUTE_PGM_RSRC2:TGID_Z_EN: 0
; COMPUTE_PGM_RSRC2:TIDIG_COMP_CNT: 0
; COMPUTE_PGM_RSRC3_GFX90A:ACCUM_OFFSET: 4
; COMPUTE_PGM_RSRC3_GFX90A:TG_SPLIT: 0
	.section	.text._ZN9rocsparseL22partial_scale_y_kernelIlffEEvT_S1_S1_NS_24const_host_device_scalarIT1_EEPT0_b,"axG",@progbits,_ZN9rocsparseL22partial_scale_y_kernelIlffEEvT_S1_S1_NS_24const_host_device_scalarIT1_EEPT0_b,comdat
	.globl	_ZN9rocsparseL22partial_scale_y_kernelIlffEEvT_S1_S1_NS_24const_host_device_scalarIT1_EEPT0_b ; -- Begin function _ZN9rocsparseL22partial_scale_y_kernelIlffEEvT_S1_S1_NS_24const_host_device_scalarIT1_EEPT0_b
	.p2align	8
	.type	_ZN9rocsparseL22partial_scale_y_kernelIlffEEvT_S1_S1_NS_24const_host_device_scalarIT1_EEPT0_b,@function
_ZN9rocsparseL22partial_scale_y_kernelIlffEEvT_S1_S1_NS_24const_host_device_scalarIT1_EEPT0_b: ; @_ZN9rocsparseL22partial_scale_y_kernelIlffEEvT_S1_S1_NS_24const_host_device_scalarIT1_EEPT0_b
; %bb.0:
	s_load_dword s3, s[0:1], 0x28
	s_load_dwordx8 s[4:11], s[0:1], 0x0
	s_waitcnt lgkmcnt(0)
	s_bitcmp1_b32 s3, 0
	s_cselect_b64 s[12:13], -1, 0
	s_and_b64 vcc, exec, s[12:13]
	s_cbranch_vccnz .LBB8_2
; %bb.1:
	s_load_dword s10, s[10:11], 0x0
.LBB8_2:
	s_waitcnt lgkmcnt(0)
	v_cmp_eq_f32_e64 s[12:13], s10, 1.0
	s_and_b64 vcc, exec, s[12:13]
	s_cbranch_vccnz .LBB8_12
; %bb.3:
	v_lshl_or_b32 v0, s2, 8, v0
	s_add_u32 s2, s6, s4
	s_addc_u32 s3, s7, s5
	s_sub_u32 s2, s2, s8
	v_mov_b32_e32 v1, 0
	s_subb_u32 s3, s3, s9
	v_cmp_gt_i64_e32 vcc, s[2:3], v[0:1]
	s_and_saveexec_b64 s[2:3], vcc
	s_cbranch_execz .LBB8_12
; %bb.4:
	s_load_dwordx2 s[0:1], s[0:1], 0x20
	v_cmp_le_i64_e32 vcc, s[6:7], v[0:1]
	v_cmp_neq_f32_e64 s[2:3], s10, 0
	s_and_saveexec_b64 s[4:5], vcc
	s_xor_b64 s[4:5], exec, s[4:5]
	s_cbranch_execz .LBB8_8
; %bb.5:
	v_mov_b32_e32 v1, s7
	v_subrev_co_u32_e32 v0, vcc, s6, v0
	s_lshl_b64 s[6:7], s[8:9], 2
	s_waitcnt lgkmcnt(0)
	s_add_u32 s6, s0, s6
	v_subb_co_u32_e32 v1, vcc, 0, v1, vcc
	s_addc_u32 s7, s1, s7
	v_lshl_add_u64 v[2:3], v[0:1], 2, s[6:7]
	s_and_b64 vcc, exec, s[2:3]
	s_cbranch_vccz .LBB8_13
; %bb.6:
	global_load_dword v0, v[2:3], off
	s_waitcnt vmcnt(0)
	v_mul_f32_e32 v0, s10, v0
	global_store_dword v[2:3], v0, off
                                        ; implicit-def: $vgpr0_vgpr1
	s_cbranch_execnz .LBB8_8
.LBB8_7:
	v_mov_b32_e32 v0, 0
	global_store_dword v[2:3], v0, off
                                        ; implicit-def: $vgpr0_vgpr1
.LBB8_8:
	s_andn2_saveexec_b64 s[4:5], s[4:5]
	s_cbranch_execz .LBB8_12
; %bb.9:
	s_waitcnt lgkmcnt(0)
	v_lshl_add_u64 v[0:1], v[0:1], 2, s[0:1]
	s_and_b64 vcc, exec, s[2:3]
	s_cbranch_vccz .LBB8_14
; %bb.10:
	global_load_dword v2, v[0:1], off
	s_waitcnt vmcnt(0)
	v_mul_f32_e32 v2, s10, v2
	global_store_dword v[0:1], v2, off
	s_cbranch_execnz .LBB8_12
.LBB8_11:
	v_mov_b32_e32 v2, 0
	global_store_dword v[0:1], v2, off
.LBB8_12:
	s_endpgm
.LBB8_13:
                                        ; implicit-def: $vgpr0_vgpr1
	s_branch .LBB8_7
.LBB8_14:
	s_branch .LBB8_11
	.section	.rodata,"a",@progbits
	.p2align	6, 0x0
	.amdhsa_kernel _ZN9rocsparseL22partial_scale_y_kernelIlffEEvT_S1_S1_NS_24const_host_device_scalarIT1_EEPT0_b
		.amdhsa_group_segment_fixed_size 0
		.amdhsa_private_segment_fixed_size 0
		.amdhsa_kernarg_size 44
		.amdhsa_user_sgpr_count 2
		.amdhsa_user_sgpr_dispatch_ptr 0
		.amdhsa_user_sgpr_queue_ptr 0
		.amdhsa_user_sgpr_kernarg_segment_ptr 1
		.amdhsa_user_sgpr_dispatch_id 0
		.amdhsa_user_sgpr_kernarg_preload_length 0
		.amdhsa_user_sgpr_kernarg_preload_offset 0
		.amdhsa_user_sgpr_private_segment_size 0
		.amdhsa_uses_dynamic_stack 0
		.amdhsa_enable_private_segment 0
		.amdhsa_system_sgpr_workgroup_id_x 1
		.amdhsa_system_sgpr_workgroup_id_y 0
		.amdhsa_system_sgpr_workgroup_id_z 0
		.amdhsa_system_sgpr_workgroup_info 0
		.amdhsa_system_vgpr_workitem_id 0
		.amdhsa_next_free_vgpr 4
		.amdhsa_next_free_sgpr 14
		.amdhsa_accum_offset 4
		.amdhsa_reserve_vcc 1
		.amdhsa_float_round_mode_32 0
		.amdhsa_float_round_mode_16_64 0
		.amdhsa_float_denorm_mode_32 3
		.amdhsa_float_denorm_mode_16_64 3
		.amdhsa_dx10_clamp 1
		.amdhsa_ieee_mode 1
		.amdhsa_fp16_overflow 0
		.amdhsa_tg_split 0
		.amdhsa_exception_fp_ieee_invalid_op 0
		.amdhsa_exception_fp_denorm_src 0
		.amdhsa_exception_fp_ieee_div_zero 0
		.amdhsa_exception_fp_ieee_overflow 0
		.amdhsa_exception_fp_ieee_underflow 0
		.amdhsa_exception_fp_ieee_inexact 0
		.amdhsa_exception_int_div_zero 0
	.end_amdhsa_kernel
	.section	.text._ZN9rocsparseL22partial_scale_y_kernelIlffEEvT_S1_S1_NS_24const_host_device_scalarIT1_EEPT0_b,"axG",@progbits,_ZN9rocsparseL22partial_scale_y_kernelIlffEEvT_S1_S1_NS_24const_host_device_scalarIT1_EEPT0_b,comdat
.Lfunc_end8:
	.size	_ZN9rocsparseL22partial_scale_y_kernelIlffEEvT_S1_S1_NS_24const_host_device_scalarIT1_EEPT0_b, .Lfunc_end8-_ZN9rocsparseL22partial_scale_y_kernelIlffEEvT_S1_S1_NS_24const_host_device_scalarIT1_EEPT0_b
                                        ; -- End function
	.set _ZN9rocsparseL22partial_scale_y_kernelIlffEEvT_S1_S1_NS_24const_host_device_scalarIT1_EEPT0_b.num_vgpr, 4
	.set _ZN9rocsparseL22partial_scale_y_kernelIlffEEvT_S1_S1_NS_24const_host_device_scalarIT1_EEPT0_b.num_agpr, 0
	.set _ZN9rocsparseL22partial_scale_y_kernelIlffEEvT_S1_S1_NS_24const_host_device_scalarIT1_EEPT0_b.numbered_sgpr, 14
	.set _ZN9rocsparseL22partial_scale_y_kernelIlffEEvT_S1_S1_NS_24const_host_device_scalarIT1_EEPT0_b.num_named_barrier, 0
	.set _ZN9rocsparseL22partial_scale_y_kernelIlffEEvT_S1_S1_NS_24const_host_device_scalarIT1_EEPT0_b.private_seg_size, 0
	.set _ZN9rocsparseL22partial_scale_y_kernelIlffEEvT_S1_S1_NS_24const_host_device_scalarIT1_EEPT0_b.uses_vcc, 1
	.set _ZN9rocsparseL22partial_scale_y_kernelIlffEEvT_S1_S1_NS_24const_host_device_scalarIT1_EEPT0_b.uses_flat_scratch, 0
	.set _ZN9rocsparseL22partial_scale_y_kernelIlffEEvT_S1_S1_NS_24const_host_device_scalarIT1_EEPT0_b.has_dyn_sized_stack, 0
	.set _ZN9rocsparseL22partial_scale_y_kernelIlffEEvT_S1_S1_NS_24const_host_device_scalarIT1_EEPT0_b.has_recursion, 0
	.set _ZN9rocsparseL22partial_scale_y_kernelIlffEEvT_S1_S1_NS_24const_host_device_scalarIT1_EEPT0_b.has_indirect_call, 0
	.section	.AMDGPU.csdata,"",@progbits
; Kernel info:
; codeLenInByte = 300
; TotalNumSgprs: 20
; NumVgprs: 4
; NumAgprs: 0
; TotalNumVgprs: 4
; ScratchSize: 0
; MemoryBound: 0
; FloatMode: 240
; IeeeMode: 1
; LDSByteSize: 0 bytes/workgroup (compile time only)
; SGPRBlocks: 2
; VGPRBlocks: 0
; NumSGPRsForWavesPerEU: 20
; NumVGPRsForWavesPerEU: 4
; AccumOffset: 4
; Occupancy: 8
; WaveLimiterHint : 0
; COMPUTE_PGM_RSRC2:SCRATCH_EN: 0
; COMPUTE_PGM_RSRC2:USER_SGPR: 2
; COMPUTE_PGM_RSRC2:TRAP_HANDLER: 0
; COMPUTE_PGM_RSRC2:TGID_X_EN: 1
; COMPUTE_PGM_RSRC2:TGID_Y_EN: 0
; COMPUTE_PGM_RSRC2:TGID_Z_EN: 0
; COMPUTE_PGM_RSRC2:TIDIG_COMP_CNT: 0
; COMPUTE_PGM_RSRC3_GFX90A:ACCUM_OFFSET: 0
; COMPUTE_PGM_RSRC3_GFX90A:TG_SPLIT: 0
	.section	.text._ZN9rocsparseL27csrmvn_symm_adaptive_kernelIllffffEEvbT_S1_PKS1_NS_24const_host_device_scalarIT4_EES3_PKT0_PKT1_PKT2_S6_PT3_21rocsparse_index_base_b,"axG",@progbits,_ZN9rocsparseL27csrmvn_symm_adaptive_kernelIllffffEEvbT_S1_PKS1_NS_24const_host_device_scalarIT4_EES3_PKT0_PKT1_PKT2_S6_PT3_21rocsparse_index_base_b,comdat
	.globl	_ZN9rocsparseL27csrmvn_symm_adaptive_kernelIllffffEEvbT_S1_PKS1_NS_24const_host_device_scalarIT4_EES3_PKT0_PKT1_PKT2_S6_PT3_21rocsparse_index_base_b ; -- Begin function _ZN9rocsparseL27csrmvn_symm_adaptive_kernelIllffffEEvbT_S1_PKS1_NS_24const_host_device_scalarIT4_EES3_PKT0_PKT1_PKT2_S6_PT3_21rocsparse_index_base_b
	.p2align	8
	.type	_ZN9rocsparseL27csrmvn_symm_adaptive_kernelIllffffEEvbT_S1_PKS1_NS_24const_host_device_scalarIT4_EES3_PKT0_PKT1_PKT2_S6_PT3_21rocsparse_index_base_b,@function
_ZN9rocsparseL27csrmvn_symm_adaptive_kernelIllffffEEvbT_S1_PKS1_NS_24const_host_device_scalarIT4_EES3_PKT0_PKT1_PKT2_S6_PT3_21rocsparse_index_base_b: ; @_ZN9rocsparseL27csrmvn_symm_adaptive_kernelIllffffEEvbT_S1_PKS1_NS_24const_host_device_scalarIT4_EES3_PKT0_PKT1_PKT2_S6_PT3_21rocsparse_index_base_b
; %bb.0:
	s_load_dwordx2 s[28:29], s[0:1], 0x58
	s_load_dwordx2 s[36:37], s[0:1], 0x20
	;; [unrolled: 1-line block ×3, first 2 shown]
	s_waitcnt lgkmcnt(0)
	s_bitcmp1_b32 s29, 0
	s_cselect_b64 s[8:9], -1, 0
	s_xor_b64 s[6:7], s[8:9], -1
	s_and_b64 vcc, exec, s[8:9]
	s_cbranch_vccnz .LBB9_2
; %bb.1:
	s_load_dword s36, s[36:37], 0x0
.LBB9_2:
	s_andn2_b64 vcc, exec, s[6:7]
	s_cbranch_vccnz .LBB9_4
; %bb.3:
	s_load_dword s4, s[4:5], 0x0
.LBB9_4:
	s_waitcnt lgkmcnt(0)
	v_cmp_neq_f32_e64 s[6:7], s36, 0
	v_cmp_neq_f32_e64 s[4:5], s4, 1.0
	s_or_b64 s[4:5], s[6:7], s[4:5]
	s_andn2_b64 vcc, exec, s[4:5]
	s_cbranch_vccnz .LBB9_149
; %bb.5:
	s_load_dwordx2 s[4:5], s[0:1], 0x18
	s_ashr_i32 s3, s2, 31
	s_lshl_b64 s[2:3], s[2:3], 3
	v_lshlrev_b32_e32 v18, 2, v0
	v_mov_b32_e32 v1, 0
	s_waitcnt lgkmcnt(0)
	s_add_u32 s2, s4, s2
	s_addc_u32 s3, s5, s3
	ds_write2st64_b32 v18, v1, v1 offset1:4
	ds_write2st64_b32 v18, v1, v1 offset0:8 offset1:12
	s_waitcnt lgkmcnt(0)
	s_barrier
	s_load_dwordx4 s[20:23], s[2:3], 0x0
	s_load_dwordx8 s[12:19], s[0:1], 0x28
	s_load_dwordx2 s[24:25], s[0:1], 0x50
	s_mov_b64 s[2:3], -1
	s_waitcnt lgkmcnt(0)
	s_sub_u32 s26, s22, s20
	s_subb_u32 s27, s23, s21
	v_cmp_gt_i64_e64 s[4:5], s[26:27], 2
	s_and_b64 vcc, exec, s[4:5]
	s_cbranch_vccnz .LBB9_36
; %bb.6:
	v_mov_b64_e32 v[2:3], s[20:21]
	v_cmp_le_i64_e32 vcc, s[22:23], v[2:3]
	v_subrev_co_u32_e64 v2, s[2:3], s28, v0
	s_nop 1
	v_subb_co_u32_e64 v3, s[2:3], 0, 0, s[2:3]
	s_cbranch_vccnz .LBB9_26
; %bb.7:
	s_movk_i32 s2, 0x100
	v_cmp_gt_u32_e64 s[2:3], s2, v0
	v_cmp_gt_u32_e64 s[4:5], 64, v0
	v_cmp_gt_u32_e64 s[6:7], 16, v0
	v_cmp_gt_u32_e64 s[8:9], 4, v0
	v_cmp_eq_u32_e64 s[10:11], 0, v0
	s_mov_b64 s[30:31], 0x100
	s_mov_b64 s[34:35], 0x800
	;; [unrolled: 1-line block ×3, first 2 shown]
	v_mov_b32_e32 v1, 0
	v_mov_b64_e32 v[4:5], s[22:23]
	s_mov_b64 s[40:41], s[20:21]
	s_branch .LBB9_9
.LBB9_8:                                ;   in Loop: Header=BB9_9 Depth=1
	s_or_b64 exec, exec, s[42:43]
	s_add_u32 s40, s40, 1
	s_addc_u32 s41, s41, 0
	v_cmp_ge_i64_e32 vcc, s[40:41], v[4:5]
	s_cbranch_vccnz .LBB9_26
.LBB9_9:                                ; =>This Loop Header: Depth=1
                                        ;     Child Loop BB9_11 Depth 2
	s_lshl_b64 s[42:43], s[40:41], 3
	s_add_u32 s42, s12, s42
	s_addc_u32 s43, s13, s43
	s_load_dwordx4 s[44:47], s[42:43], 0x0
	v_mov_b32_e32 v12, 0
	s_waitcnt lgkmcnt(0)
	s_sub_u32 s42, s46, s28
	v_lshl_add_u64 v[6:7], s[44:45], 0, v[2:3]
	s_subb_u32 s43, s47, 0
	v_cmp_gt_i64_e32 vcc, s[42:43], v[6:7]
	s_and_saveexec_b64 s[44:45], vcc
	s_cbranch_execz .LBB9_13
; %bb.10:                               ;   in Loop: Header=BB9_9 Depth=1
	v_lshl_add_u64 v[8:9], v[6:7], 3, s[14:15]
	v_lshl_add_u64 v[10:11], v[6:7], 2, s[16:17]
	v_mov_b32_e32 v12, 0
	s_mov_b64 s[46:47], 0
.LBB9_11:                               ;   Parent Loop BB9_9 Depth=1
                                        ; =>  This Inner Loop Header: Depth=2
	global_load_dwordx2 v[14:15], v[8:9], off
	global_load_dword v13, v[10:11], off
	v_lshl_add_u64 v[6:7], v[6:7], 0, s[30:31]
	v_lshl_add_u64 v[8:9], v[8:9], 0, s[34:35]
	;; [unrolled: 1-line block ×3, first 2 shown]
	s_waitcnt vmcnt(1)
	v_subrev_co_u32_e32 v14, vcc, s28, v14
	s_nop 1
	v_subbrev_co_u32_e32 v15, vcc, 0, v15, vcc
	v_lshl_add_u64 v[14:15], v[14:15], 2, s[18:19]
	global_load_dword v14, v[14:15], off
	v_cmp_le_i64_e32 vcc, s[42:43], v[6:7]
	s_or_b64 s[46:47], vcc, s[46:47]
	s_waitcnt vmcnt(0)
	v_fmac_f32_e32 v12, v13, v14
	s_andn2_b64 exec, exec, s[46:47]
	s_cbranch_execnz .LBB9_11
; %bb.12:                               ;   in Loop: Header=BB9_9 Depth=1
	s_or_b64 exec, exec, s[46:47]
.LBB9_13:                               ;   in Loop: Header=BB9_9 Depth=1
	s_or_b64 exec, exec, s[44:45]
	ds_write_b32 v18, v12
	s_waitcnt lgkmcnt(0)
	s_barrier
	s_and_saveexec_b64 s[42:43], s[2:3]
	s_cbranch_execz .LBB9_15
; %bb.14:                               ;   in Loop: Header=BB9_9 Depth=1
	ds_read2st64_b32 v[6:7], v18 offset1:4
	ds_read2st64_b32 v[8:9], v18 offset0:8 offset1:12
	s_waitcnt lgkmcnt(0)
	v_add_f32_e32 v7, v7, v8
	v_add_f32_e32 v7, v7, v9
	;; [unrolled: 1-line block ×3, first 2 shown]
	ds_write_b32 v18, v6
.LBB9_15:                               ;   in Loop: Header=BB9_9 Depth=1
	s_or_b64 exec, exec, s[42:43]
	s_waitcnt lgkmcnt(0)
	s_barrier
	s_and_saveexec_b64 s[42:43], s[4:5]
	s_cbranch_execz .LBB9_17
; %bb.16:                               ;   in Loop: Header=BB9_9 Depth=1
	ds_read2st64_b32 v[6:7], v18 offset1:1
	ds_read2st64_b32 v[8:9], v18 offset0:2 offset1:3
	s_waitcnt lgkmcnt(0)
	v_add_f32_e32 v7, v7, v8
	v_add_f32_e32 v7, v7, v9
	;; [unrolled: 1-line block ×3, first 2 shown]
	ds_write_b32 v18, v6
.LBB9_17:                               ;   in Loop: Header=BB9_9 Depth=1
	s_or_b64 exec, exec, s[42:43]
	s_waitcnt lgkmcnt(0)
	s_barrier
	s_and_saveexec_b64 s[42:43], s[6:7]
	s_cbranch_execz .LBB9_19
; %bb.18:                               ;   in Loop: Header=BB9_9 Depth=1
	ds_read2_b32 v[6:7], v18 offset1:16
	ds_read2_b32 v[8:9], v18 offset0:32 offset1:48
	s_waitcnt lgkmcnt(0)
	v_add_f32_e32 v7, v7, v8
	v_add_f32_e32 v7, v7, v9
	;; [unrolled: 1-line block ×3, first 2 shown]
	ds_write_b32 v18, v6
.LBB9_19:                               ;   in Loop: Header=BB9_9 Depth=1
	s_or_b64 exec, exec, s[42:43]
	s_waitcnt lgkmcnt(0)
	s_barrier
	s_and_saveexec_b64 s[42:43], s[8:9]
	s_cbranch_execz .LBB9_21
; %bb.20:                               ;   in Loop: Header=BB9_9 Depth=1
	ds_read2_b32 v[6:7], v18 offset1:4
	ds_read2_b32 v[8:9], v18 offset0:8 offset1:12
	s_waitcnt lgkmcnt(0)
	v_add_f32_e32 v7, v7, v8
	v_add_f32_e32 v7, v7, v9
	;; [unrolled: 1-line block ×3, first 2 shown]
	ds_write_b32 v18, v6
.LBB9_21:                               ;   in Loop: Header=BB9_9 Depth=1
	s_or_b64 exec, exec, s[42:43]
	s_waitcnt lgkmcnt(0)
	s_barrier
	s_and_saveexec_b64 s[42:43], s[10:11]
	s_cbranch_execz .LBB9_23
; %bb.22:                               ;   in Loop: Header=BB9_9 Depth=1
	ds_read2_b32 v[6:7], v1 offset0:1 offset1:2
	ds_read_b32 v8, v1 offset:12
	ds_read_b32 v9, v18
	s_waitcnt lgkmcnt(2)
	v_add_f32_e32 v6, v6, v7
	s_waitcnt lgkmcnt(1)
	v_add_f32_e32 v6, v6, v8
	;; [unrolled: 2-line block ×3, first 2 shown]
	ds_write_b32 v18, v6
.LBB9_23:                               ;   in Loop: Header=BB9_9 Depth=1
	s_or_b64 exec, exec, s[42:43]
	s_waitcnt lgkmcnt(0)
	s_barrier
	s_and_saveexec_b64 s[42:43], s[10:11]
	s_cbranch_execz .LBB9_8
; %bb.24:                               ;   in Loop: Header=BB9_9 Depth=1
	s_mov_b64 s[44:45], exec
	v_mbcnt_lo_u32_b32 v6, s44, 0
	v_mbcnt_hi_u32_b32 v6, s45, v6
	v_cmp_eq_u32_e32 vcc, 0, v6
	s_and_b64 s[46:47], exec, vcc
	s_mov_b64 exec, s[46:47]
	s_cbranch_execz .LBB9_8
; %bb.25:                               ;   in Loop: Header=BB9_9 Depth=1
	ds_read_b32 v6, v1
	s_lshl_b64 s[46:47], s[40:41], 2
	s_add_u32 s46, s24, s46
	s_addc_u32 s47, s25, s47
	s_bcnt1_i32_b64 s29, s[44:45]
	s_waitcnt lgkmcnt(0)
	v_mul_f32_e32 v6, s36, v6
	v_cvt_f32_ubyte0_e32 v7, s29
	v_mul_f32_e32 v6, v6, v7
	global_atomic_add_f32 v1, v6, s[46:47]
	s_branch .LBB9_8
.LBB9_26:
	s_lshl_b64 s[2:3], s[20:21], 3
	s_add_u32 s2, s12, s2
	s_addc_u32 s3, s13, s3
	s_lshl_b64 s[4:5], s[22:23], 3
	s_add_u32 s4, s12, s4
	s_addc_u32 s5, s13, s5
	s_load_dwordx2 s[6:7], s[4:5], 0x0
	s_load_dwordx2 s[8:9], s[2:3], 0x0
	s_waitcnt lgkmcnt(0)
	s_sub_u32 s6, s6, s28
	s_subb_u32 s7, s7, 0
	v_lshl_add_u64 v[2:3], s[8:9], 0, v[2:3]
	v_cmp_gt_i64_e32 vcc, s[6:7], v[2:3]
	s_and_saveexec_b64 s[8:9], vcc
	s_cbranch_execz .LBB9_35
; %bb.27:
	s_add_u32 s10, s22, -1
	s_addc_u32 s11, s23, -1
	s_add_u32 s2, s22, -2
	s_addc_u32 s3, s23, -1
	v_mov_b64_e32 v[4:5], s[10:11]
	s_cmp_lg_u64 s[20:21], s[2:3]
	v_cmp_lt_i64_e32 vcc, s[20:21], v[4:5]
	s_cselect_b64 s[2:3], -1, 0
	s_and_b64 s[2:3], vcc, s[2:3]
	v_cndmask_b32_e64 v1, 0, 1, s[2:3]
	s_mov_b64 s[30:31], 0
	v_cmp_ne_u32_e64 s[2:3], 1, v1
	v_mov_b32_e32 v5, 0
	s_mov_b64 s[34:35], 0x100
	s_branch .LBB9_29
.LBB9_28:                               ;   in Loop: Header=BB9_29 Depth=1
	s_or_b64 exec, exec, s[4:5]
	v_lshl_add_u64 v[2:3], v[2:3], 0, s[34:35]
	v_cmp_le_i64_e32 vcc, s[6:7], v[2:3]
	s_or_b64 s[30:31], vcc, s[30:31]
	s_andn2_b64 exec, exec, s[30:31]
	s_cbranch_execz .LBB9_35
.LBB9_29:                               ; =>This Loop Header: Depth=1
                                        ;     Child Loop BB9_31 Depth 2
	s_and_b64 vcc, exec, s[2:3]
	v_mov_b64_e32 v[6:7], s[20:21]
	v_mov_b64_e32 v[8:9], s[10:11]
	s_cbranch_vccnz .LBB9_33
; %bb.30:                               ;   in Loop: Header=BB9_29 Depth=1
	s_mov_b64 s[38:39], 0
	v_mov_b64_e32 v[6:7], s[20:21]
	v_mov_b64_e32 v[8:9], s[10:11]
.LBB9_31:                               ;   Parent Loop BB9_29 Depth=1
                                        ; =>  This Inner Loop Header: Depth=2
	v_lshl_add_u64 v[10:11], v[8:9], 0, v[6:7]
	v_lshrrev_b32_e32 v4, 31, v11
	v_lshl_add_u64 v[10:11], v[10:11], 0, v[4:5]
	v_ashrrev_i64 v[10:11], 1, v[10:11]
	v_lshl_add_u64 v[12:13], v[10:11], 3, s[12:13]
	global_load_dwordx2 v[12:13], v[12:13], off
	s_waitcnt vmcnt(0)
	v_subrev_co_u32_e32 v12, vcc, s28, v12
	s_nop 1
	v_subbrev_co_u32_e32 v13, vcc, 0, v13, vcc
	v_cmp_lt_i64_e32 vcc, v[2:3], v[12:13]
	s_nop 1
	v_cndmask_b32_e32 v9, v9, v11, vcc
	v_cndmask_b32_e32 v8, v8, v10, vcc
	;; [unrolled: 1-line block ×4, first 2 shown]
	v_lshl_add_u64 v[10:11], v[8:9], 0, -1
	v_cmp_ge_i64_e32 vcc, v[6:7], v[8:9]
	v_cmp_eq_u64_e64 s[4:5], v[6:7], v[10:11]
	s_or_b64 s[4:5], vcc, s[4:5]
	s_and_b64 s[4:5], exec, s[4:5]
	s_or_b64 s[38:39], s[4:5], s[38:39]
	s_andn2_b64 exec, exec, s[38:39]
	s_cbranch_execnz .LBB9_31
; %bb.32:                               ;   in Loop: Header=BB9_29 Depth=1
	s_or_b64 exec, exec, s[38:39]
.LBB9_33:                               ;   in Loop: Header=BB9_29 Depth=1
	v_lshl_add_u64 v[10:11], v[8:9], 3, s[12:13]
	global_load_dwordx2 v[10:11], v[10:11], off
	v_lshl_add_u64 v[12:13], v[2:3], 3, s[14:15]
	global_load_dwordx2 v[12:13], v[12:13], off
	s_waitcnt vmcnt(1)
	v_subrev_co_u32_e32 v10, vcc, s28, v10
	s_nop 1
	v_subbrev_co_u32_e32 v11, vcc, 0, v11, vcc
	v_cmp_lt_i64_e32 vcc, v[2:3], v[10:11]
	s_nop 1
	v_cndmask_b32_e32 v9, v9, v7, vcc
	v_cndmask_b32_e32 v8, v8, v6, vcc
	s_waitcnt vmcnt(0)
	v_subrev_co_u32_e32 v6, vcc, s28, v12
	s_nop 1
	v_subbrev_co_u32_e32 v7, vcc, 0, v13, vcc
	v_cmp_ne_u64_e32 vcc, v[6:7], v[8:9]
	s_and_saveexec_b64 s[4:5], vcc
	s_cbranch_execz .LBB9_28
; %bb.34:                               ;   in Loop: Header=BB9_29 Depth=1
	v_lshl_add_u64 v[10:11], v[2:3], 2, s[16:17]
	global_load_dword v1, v[10:11], off
	v_lshl_add_u64 v[8:9], v[8:9], 2, s[18:19]
	global_load_dword v4, v[8:9], off
	v_lshl_add_u64 v[6:7], v[6:7], 2, s[24:25]
	s_waitcnt vmcnt(1)
	v_mul_f32_e32 v1, s36, v1
	s_waitcnt vmcnt(0)
	v_mul_f32_e32 v1, v1, v4
	global_atomic_add_f32 v[6:7], v1, off
	s_branch .LBB9_28
.LBB9_35:
	s_or_b64 exec, exec, s[8:9]
	s_mov_b64 s[2:3], 0
.LBB9_36:
	s_and_b64 vcc, exec, s[2:3]
	s_cbranch_vccz .LBB9_149
; %bb.37:
	s_load_dword s2, s[0:1], 0x6c
	s_mov_b32 s31, 0
	v_mov_b64_e32 v[2:3], s[26:27]
	s_mov_b64 s[34:35], 0
	s_waitcnt lgkmcnt(0)
	s_and_b32 s30, s2, 0xffff
	v_cmp_lt_u64_e32 vcc, s[30:31], v[2:3]
	s_cbranch_vccnz .LBB9_39
; %bb.38:
	v_cvt_f32_u32_e32 v1, s26
	s_sub_i32 s2, 0, s26
	v_rcp_iflag_f32_e32 v1, v1
	s_nop 0
	v_mul_f32_e32 v1, 0x4f7ffffe, v1
	v_cvt_u32_f32_e32 v1, v1
	s_nop 0
	v_readfirstlane_b32 s3, v1
	s_mul_i32 s2, s2, s3
	s_mul_hi_u32 s2, s3, s2
	s_add_i32 s3, s3, s2
	s_mul_hi_u32 s2, s30, s3
	s_mul_i32 s4, s2, s26
	s_sub_i32 s4, s30, s4
	s_add_i32 s3, s2, 1
	s_sub_i32 s5, s4, s26
	s_cmp_ge_u32 s4, s26
	s_cselect_b32 s2, s3, s2
	s_cselect_b32 s4, s5, s4
	s_add_i32 s3, s2, 1
	s_cmp_ge_u32 s4, s26
	s_cselect_b32 s34, s3, s2
.LBB9_39:
	s_load_dwordx4 s[4:7], s[0:1], 0x8
	s_lshl_b64 s[0:1], s[20:21], 3
	s_add_u32 s10, s12, s0
	s_addc_u32 s11, s13, s1
	s_load_dwordx2 s[8:9], s[10:11], 0x0
	v_subrev_co_u32_e32 v2, vcc, s28, v0
	v_mov_b32_e32 v1, 0
	s_nop 0
	v_subb_co_u32_e64 v3, s[0:1], 0, 0, vcc
	s_waitcnt lgkmcnt(0)
	v_lshl_add_u64 v[10:11], s[8:9], 0, v[2:3]
	s_mov_b64 s[0:1], 0x300
	v_lshl_add_u64 v[8:9], v[10:11], 0, s[0:1]
	v_cmp_le_i64_e32 vcc, s[4:5], v[8:9]
	s_and_saveexec_b64 s[0:1], vcc
	s_xor_b64 s[2:3], exec, s[0:1]
	s_cbranch_execnz .LBB9_42
; %bb.40:
	s_andn2_saveexec_b64 s[0:1], s[2:3]
	s_cbranch_execnz .LBB9_53
.LBB9_41:
	s_or_b64 exec, exec, s[0:1]
	v_cmp_gt_i64_e64 s[0:1], s[6:7], v[0:1]
	s_and_saveexec_b64 s[2:3], s[0:1]
	s_cbranch_execnz .LBB9_54
	s_branch .LBB9_61
.LBB9_42:
	s_lshl_b64 s[0:1], s[22:23], 3
	s_add_u32 s0, s12, s0
	s_addc_u32 s1, s13, s1
	s_load_dwordx2 s[40:41], s[0:1], 0x0
	s_waitcnt lgkmcnt(0)
	s_sub_u32 s4, s40, s8
	s_subb_u32 s5, s41, s9
	v_cmp_gt_i64_e64 s[0:1], s[4:5], v[0:1]
	s_and_saveexec_b64 s[38:39], s[0:1]
	s_cbranch_execz .LBB9_52
; %bb.43:
	s_not_b64 s[0:1], s[8:9]
	s_add_u32 s0, s40, s0
	s_addc_u32 s1, s41, s1
	v_mov_b32_e32 v2, s1
	v_sub_co_u32_e64 v4, s[0:1], s0, v0
	s_mov_b64 s[42:43], 0
	s_nop 0
	v_subbrev_co_u32_e64 v5, s[0:1], 0, v2, s[0:1]
	s_mov_b64 s[0:1], 0xff
	s_nop 0
	v_cmp_lt_u64_e64 s[0:1], s[0:1], v[4:5]
	v_lshlrev_b64 v[2:3], 2, v[10:11]
                                        ; implicit-def: $vgpr12_vgpr13
	s_and_saveexec_b64 s[40:41], s[0:1]
	s_xor_b64 s[40:41], exec, s[40:41]
	s_cbranch_execnz .LBB9_46
; %bb.44:
	s_andn2_saveexec_b64 s[0:1], s[40:41]
	s_cbranch_execnz .LBB9_49
.LBB9_45:
	s_or_b64 exec, exec, s[0:1]
	s_and_b64 exec, exec, s[42:43]
	s_cbranch_execnz .LBB9_50
	s_branch .LBB9_52
.LBB9_46:
	v_lshrrev_b64 v[2:3], 8, v[4:5]
	v_lshl_add_u64 v[4:5], v[2:3], 0, 1
	v_lshlrev_b64 v[2:3], 2, v[10:11]
	v_and_b32_e32 v6, -2, v4
	v_mov_b32_e32 v7, v5
	v_lshl_add_u64 v[12:13], s[16:17], 0, v[2:3]
	s_mov_b64 s[0:1], 0x400
	s_mov_b32 s37, s36
	v_lshl_add_u64 v[12:13], v[12:13], 0, s[0:1]
	s_mov_b64 s[44:45], 0x100
	s_mov_b64 s[46:47], 0x800
	v_mov_b64_e32 v[14:15], v[6:7]
	s_mov_b64 s[48:49], 0
.LBB9_47:                               ; =>This Inner Loop Header: Depth=1
	global_load_dword v16, v[12:13], off offset:-1024
	global_load_dword v17, v[12:13], off
	v_lshl_add_u32 v19, s48, 2, v18
	s_add_u32 s48, s48, 0x200
	s_addc_u32 s49, s49, 0
	v_lshl_add_u32 v20, s44, 2, v18
	v_lshl_add_u64 v[14:15], v[14:15], 0, -2
	s_add_u32 s44, s44, 0x200
	v_cmp_eq_u64_e64 s[0:1], 0, v[14:15]
	s_addc_u32 s45, s45, 0
	v_lshl_add_u64 v[12:13], v[12:13], 0, s[46:47]
	s_or_b64 s[42:43], s[0:1], s[42:43]
	s_waitcnt vmcnt(0)
	v_pk_mul_f32 v[16:17], s[36:37], v[16:17]
	ds_write_b32 v19, v16
	ds_write_b32 v20, v17
	s_andn2_b64 exec, exec, s[42:43]
	s_cbranch_execnz .LBB9_47
; %bb.48:
	s_or_b64 exec, exec, s[42:43]
	v_cmp_ne_u64_e64 s[0:1], v[4:5], v[6:7]
	v_lshlrev_b64 v[12:13], 8, v[6:7]
	s_and_b64 s[42:43], s[0:1], exec
	s_andn2_saveexec_b64 s[0:1], s[40:41]
	s_cbranch_execz .LBB9_45
.LBB9_49:
	v_mov_b64_e32 v[12:13], 0
	s_or_b64 s[42:43], s[42:43], exec
	s_or_b64 exec, exec, s[0:1]
	s_and_b64 exec, exec, s[42:43]
	s_cbranch_execz .LBB9_52
.LBB9_50:
	v_lshl_add_u64 v[2:3], v[12:13], 2, v[2:3]
	v_lshlrev_b32_e32 v6, 2, v12
	v_lshl_add_u64 v[2:3], s[16:17], 0, v[2:3]
	v_lshl_add_u64 v[4:5], v[12:13], 0, v[0:1]
	v_lshl_add_u32 v6, v0, 2, v6
	s_mov_b64 s[40:41], 0
	s_mov_b64 s[42:43], 0x400
	;; [unrolled: 1-line block ×3, first 2 shown]
.LBB9_51:                               ; =>This Inner Loop Header: Depth=1
	global_load_dword v7, v[2:3], off
	v_lshl_add_u64 v[4:5], v[4:5], 0, s[44:45]
	v_cmp_le_i64_e64 s[0:1], s[4:5], v[4:5]
	v_lshl_add_u64 v[2:3], v[2:3], 0, s[42:43]
	s_or_b64 s[40:41], s[0:1], s[40:41]
	s_waitcnt vmcnt(0)
	v_mul_f32_e32 v7, s36, v7
	ds_write_b32 v6, v7
	v_add_u32_e32 v6, 0x400, v6
	s_andn2_b64 exec, exec, s[40:41]
	s_cbranch_execnz .LBB9_51
.LBB9_52:
	s_or_b64 exec, exec, s[38:39]
	s_andn2_saveexec_b64 s[0:1], s[2:3]
	s_cbranch_execz .LBB9_41
.LBB9_53:
	v_lshl_add_u64 v[2:3], v[10:11], 2, s[16:17]
	global_load_dword v4, v[2:3], off
	global_load_dword v5, v[2:3], off offset:1024
	global_load_dword v6, v[2:3], off offset:2048
	;; [unrolled: 1-line block ×3, first 2 shown]
	s_waitcnt vmcnt(3)
	v_mul_f32_e32 v2, s36, v4
	s_waitcnt vmcnt(2)
	v_mul_f32_e32 v3, s36, v5
	;; [unrolled: 2-line block ×4, first 2 shown]
	ds_write2st64_b32 v18, v2, v3 offset1:4
	ds_write2st64_b32 v18, v4, v5 offset0:8 offset1:12
	s_or_b64 exec, exec, s[0:1]
	v_cmp_gt_i64_e64 s[0:1], s[6:7], v[0:1]
	s_and_saveexec_b64 s[2:3], s[0:1]
	s_cbranch_execz .LBB9_61
.LBB9_54:
	v_mov_b32_e32 v3, -1
	v_not_b32_e32 v2, v0
	v_lshl_add_u64 v[4:5], s[6:7], 0, v[2:3]
	s_mov_b64 s[0:1], 0xff
	v_cmp_lt_u64_e64 s[0:1], s[0:1], v[4:5]
	s_mov_b64 s[16:17], -1
	v_mov_b64_e32 v[2:3], v[0:1]
	s_and_saveexec_b64 s[4:5], s[0:1]
	s_cbranch_execz .LBB9_58
; %bb.55:
	v_lshrrev_b64 v[2:3], 8, v[4:5]
	v_lshl_add_u64 v[12:13], v[2:3], 0, 1
	v_mov_b32_e32 v3, 0
	v_or_b32_e32 v4, 0x100, v0
	v_mov_b32_e32 v5, v3
	v_and_b32_e32 v14, -2, v12
	v_mov_b32_e32 v15, v13
	v_mov_b32_e32 v2, v0
	v_mov_b64_e32 v[6:7], v[4:5]
	s_mov_b64 s[16:17], 0
	v_mov_b32_e32 v19, 0x1000
	s_mov_b64 s[36:37], 0x200
	v_mov_b64_e32 v[16:17], v[14:15]
	v_mov_b64_e32 v[4:5], v[2:3]
.LBB9_56:                               ; =>This Inner Loop Header: Depth=1
	v_lshl_add_u64 v[16:17], v[16:17], 0, -2
	v_cmp_eq_u64_e64 s[0:1], 0, v[16:17]
	v_lshl_add_u32 v2, v4, 2, v19
	v_lshl_add_u32 v20, v6, 2, v19
	v_lshl_add_u64 v[6:7], v[6:7], 0, s[36:37]
	v_lshl_add_u64 v[4:5], v[4:5], 0, s[36:37]
	s_or_b64 s[16:17], s[0:1], s[16:17]
	ds_write_b32 v2, v3
	ds_write_b32 v20, v3
	s_andn2_b64 exec, exec, s[16:17]
	s_cbranch_execnz .LBB9_56
; %bb.57:
	s_or_b64 exec, exec, s[16:17]
	v_lshlrev_b64 v[2:3], 8, v[14:15]
	v_cmp_ne_u64_e64 s[0:1], v[12:13], v[14:15]
	v_or_b32_e32 v2, v2, v0
	s_orn2_b64 s[16:17], s[0:1], exec
.LBB9_58:
	s_or_b64 exec, exec, s[4:5]
	s_and_b64 exec, exec, s[16:17]
	s_cbranch_execz .LBB9_61
; %bb.59:
	v_mov_b32_e32 v4, 0x1000
	v_lshl_add_u32 v4, v2, 2, v4
	s_mov_b64 s[4:5], 0
	v_mov_b32_e32 v5, 0
	s_mov_b64 s[16:17], 0x100
.LBB9_60:                               ; =>This Inner Loop Header: Depth=1
	v_lshl_add_u64 v[2:3], v[2:3], 0, s[16:17]
	v_cmp_le_i64_e64 s[0:1], s[6:7], v[2:3]
	ds_write_b32 v4, v5
	s_or_b64 s[4:5], s[0:1], s[4:5]
	v_add_u32_e32 v4, 0x400, v4
	s_andn2_b64 exec, exec, s[4:5]
	s_cbranch_execnz .LBB9_60
.LBB9_61:
	s_or_b64 exec, exec, s[2:3]
	s_sub_u32 s2, s22, s6
	v_mov_b64_e32 v[2:3], s[6:7]
	s_subb_u32 s3, s23, s7
	v_cmp_ge_i64_e64 s[0:1], s[22:23], v[2:3]
	s_and_b64 s[0:1], s[0:1], exec
	s_cselect_b32 s5, s3, 0
	s_cselect_b32 s4, s2, 0
	s_waitcnt lgkmcnt(0)
	s_barrier
	s_and_saveexec_b64 s[0:1], vcc
	s_xor_b64 s[16:17], exec, s[0:1]
	s_cbranch_execz .LBB9_78
; %bb.62:
	s_lshl_b64 s[0:1], s[22:23], 3
	s_add_u32 s0, s12, s0
	s_addc_u32 s1, s13, s1
	s_load_dwordx2 s[0:1], s[0:1], 0x0
	s_waitcnt lgkmcnt(0)
	s_sub_u32 s36, s0, s8
	s_subb_u32 s37, s1, s9
	v_cmp_gt_i64_e32 vcc, s[36:37], v[0:1]
	s_and_saveexec_b64 s[38:39], vcc
	s_cbranch_execz .LBB9_77
; %bb.63:
	s_add_u32 s40, s22, -1
	s_addc_u32 s41, s23, -1
	s_add_u32 s2, s22, -2
	s_addc_u32 s3, s23, -1
	s_cmp_lg_u64 s[20:21], s[2:3]
	s_cselect_b64 s[2:3], -1, 0
	s_sub_u32 s42, s0, s28
	v_cndmask_b32_e64 v2, 0, 1, s[2:3]
	s_subb_u32 s43, s1, 0
	s_mov_b64 s[44:45], 0
	v_cmp_ne_u32_e64 s[0:1], 1, v2
	v_mov_b32_e32 v3, 0
	v_mov_b32_e32 v16, 0x1000
	s_mov_b64 s[46:47], 0
	s_branch .LBB9_66
.LBB9_64:                               ;   in Loop: Header=BB9_66 Depth=1
	s_or_b64 exec, exec, s[2:3]
.LBB9_65:                               ;   in Loop: Header=BB9_66 Depth=1
	s_or_b64 exec, exec, s[48:49]
	v_lshl_add_u64 v[6:7], v[6:7], 2, s[18:19]
	global_load_dword v6, v[6:7], off
	s_add_u32 s46, s46, 0x100
	s_addc_u32 s47, s47, 0
	v_lshlrev_b32_e32 v7, 2, v4
	v_lshl_add_u64 v[4:5], s[46:47], 0, v[0:1]
	v_cmp_le_i64_e32 vcc, s[36:37], v[4:5]
	s_or_b64 s[44:45], vcc, s[44:45]
	s_waitcnt vmcnt(0) lgkmcnt(0)
	v_mul_f32_e32 v2, v6, v2
	ds_write_b32 v7, v2
	s_andn2_b64 exec, exec, s[44:45]
	s_cbranch_execz .LBB9_77
.LBB9_66:                               ; =>This Loop Header: Depth=1
                                        ;     Child Loop BB9_68 Depth 2
	v_lshl_add_u64 v[8:9], s[46:47], 0, v[10:11]
	s_and_b64 vcc, exec, s[0:1]
	v_mov_b64_e32 v[12:13], s[20:21]
	v_mov_b64_e32 v[14:15], s[40:41]
	s_cbranch_vccnz .LBB9_70
; %bb.67:                               ;   in Loop: Header=BB9_66 Depth=1
	s_mov_b64 s[48:49], 0
	v_mov_b64_e32 v[12:13], s[20:21]
	v_mov_b64_e32 v[14:15], s[40:41]
.LBB9_68:                               ;   Parent Loop BB9_66 Depth=1
                                        ; =>  This Inner Loop Header: Depth=2
	v_lshl_add_u64 v[4:5], v[14:15], 0, v[12:13]
	v_lshrrev_b32_e32 v2, 31, v5
	v_lshl_add_u64 v[4:5], v[4:5], 0, v[2:3]
	v_ashrrev_i64 v[4:5], 1, v[4:5]
	v_lshl_add_u64 v[6:7], v[4:5], 3, s[12:13]
	global_load_dwordx2 v[6:7], v[6:7], off
	s_waitcnt vmcnt(0)
	v_subrev_co_u32_e32 v6, vcc, s28, v6
	s_nop 1
	v_subbrev_co_u32_e32 v7, vcc, 0, v7, vcc
	v_cmp_lt_i64_e32 vcc, v[8:9], v[6:7]
	s_nop 1
	v_cndmask_b32_e32 v15, v15, v5, vcc
	v_cndmask_b32_e32 v14, v14, v4, vcc
	;; [unrolled: 1-line block ×4, first 2 shown]
	v_lshl_add_u64 v[4:5], v[14:15], 0, -1
	v_cmp_ge_i64_e32 vcc, v[12:13], v[14:15]
	v_cmp_eq_u64_e64 s[2:3], v[12:13], v[4:5]
	s_or_b64 s[2:3], vcc, s[2:3]
	s_and_b64 s[2:3], exec, s[2:3]
	s_or_b64 s[48:49], s[2:3], s[48:49]
	s_andn2_b64 exec, exec, s[48:49]
	s_cbranch_execnz .LBB9_68
; %bb.69:                               ;   in Loop: Header=BB9_66 Depth=1
	s_or_b64 exec, exec, s[48:49]
.LBB9_70:                               ;   in Loop: Header=BB9_66 Depth=1
	v_lshl_add_u64 v[4:5], v[14:15], 3, s[12:13]
	global_load_dwordx2 v[6:7], v[4:5], off
	v_lshl_add_u64 v[4:5], v[8:9], 3, s[14:15]
	global_load_dwordx2 v[20:21], v[4:5], off
	v_cmp_le_i64_e32 vcc, s[42:43], v[8:9]
	v_lshl_add_u64 v[4:5], s[46:47], 0, v[0:1]
	v_lshlrev_b32_e32 v5, 2, v4
                                        ; implicit-def: $vgpr2
	s_waitcnt vmcnt(1)
	v_subrev_co_u32_e64 v22, s[2:3], s28, v6
	s_nop 1
	v_subbrev_co_u32_e64 v23, s[2:3], 0, v7, s[2:3]
	s_waitcnt vmcnt(0)
	v_subrev_co_u32_e64 v6, s[2:3], s28, v20
	s_nop 1
	v_subbrev_co_u32_e64 v7, s[2:3], 0, v21, s[2:3]
	v_cmp_lt_i64_e64 s[2:3], v[8:9], v[22:23]
	s_nop 1
	v_cndmask_b32_e64 v9, v15, v13, s[2:3]
	v_cndmask_b32_e64 v8, v14, v12, s[2:3]
	v_cmp_eq_u64_e64 s[2:3], v[6:7], v[8:9]
	s_or_b64 s[2:3], s[2:3], vcc
	s_and_saveexec_b64 s[48:49], s[2:3]
	s_xor_b64 s[2:3], exec, s[48:49]
; %bb.71:                               ;   in Loop: Header=BB9_66 Depth=1
	ds_read_b32 v2, v5
                                        ; implicit-def: $vgpr5
                                        ; implicit-def: $vgpr8_vgpr9
; %bb.72:                               ;   in Loop: Header=BB9_66 Depth=1
	s_andn2_saveexec_b64 s[48:49], s[2:3]
	s_cbranch_execz .LBB9_65
; %bb.73:                               ;   in Loop: Header=BB9_66 Depth=1
	v_cmp_gt_i64_e32 vcc, s[4:5], v[6:7]
	v_cmp_le_i64_e64 s[2:3], s[22:23], v[6:7]
	s_or_b64 s[2:3], vcc, s[2:3]
	v_lshl_add_u64 v[8:9], v[8:9], 2, s[18:19]
                                        ; implicit-def: $vgpr2
	s_and_saveexec_b64 s[50:51], s[2:3]
	s_xor_b64 s[2:3], exec, s[50:51]
	s_cbranch_execz .LBB9_75
; %bb.74:                               ;   in Loop: Header=BB9_66 Depth=1
	global_load_dword v12, v[8:9], off
	s_waitcnt lgkmcnt(0)
	ds_read_b32 v2, v5
	v_lshl_add_u64 v[8:9], v[6:7], 2, s[24:25]
	s_waitcnt vmcnt(0) lgkmcnt(0)
	v_mul_f32_e32 v5, v2, v12
	global_atomic_add_f32 v[8:9], v5, off
                                        ; implicit-def: $vgpr5
                                        ; implicit-def: $vgpr8_vgpr9
.LBB9_75:                               ;   in Loop: Header=BB9_66 Depth=1
	s_andn2_saveexec_b64 s[2:3], s[2:3]
	s_cbranch_execz .LBB9_64
; %bb.76:                               ;   in Loop: Header=BB9_66 Depth=1
	global_load_dword v8, v[8:9], off
	s_waitcnt lgkmcnt(0)
	ds_read_b32 v2, v5
	v_subrev_u32_e32 v5, s4, v6
	v_lshl_add_u32 v5, v5, 2, v16
	s_waitcnt vmcnt(0) lgkmcnt(0)
	v_mul_f32_e32 v8, v2, v8
	ds_add_f32 v5, v8
	s_branch .LBB9_64
.LBB9_77:
	s_or_b64 exec, exec, s[38:39]
                                        ; implicit-def: $vgpr8_vgpr9
                                        ; implicit-def: $vgpr10_vgpr11
.LBB9_78:
	s_andn2_saveexec_b64 s[16:17], s[16:17]
	s_cbranch_execz .LBB9_120
; %bb.79:
	s_add_u32 s36, s22, -1
	s_addc_u32 s37, s23, -1
	s_add_u32 s0, s22, -2
	s_addc_u32 s1, s23, -1
	s_cmp_lg_u64 s[20:21], s[0:1]
	s_cselect_b64 s[2:3], -1, 0
	s_cmp_eq_u64 s[20:21], s[0:1]
	v_mov_b64_e32 v[4:5], s[20:21]
	v_mov_b64_e32 v[6:7], s[36:37]
	s_cbranch_scc1 .LBB9_83
; %bb.80:
	s_mov_b64 s[38:39], 0
	v_mov_b64_e32 v[4:5], s[20:21]
	v_mov_b64_e32 v[6:7], s[36:37]
	v_mov_b32_e32 v3, 0
.LBB9_81:                               ; =>This Inner Loop Header: Depth=1
	v_lshl_add_u64 v[12:13], v[6:7], 0, v[4:5]
	v_lshrrev_b32_e32 v2, 31, v13
	v_lshl_add_u64 v[12:13], v[12:13], 0, v[2:3]
	v_ashrrev_i64 v[12:13], 1, v[12:13]
	v_lshl_add_u64 v[14:15], v[12:13], 3, s[12:13]
	global_load_dwordx2 v[14:15], v[14:15], off
	s_waitcnt vmcnt(0)
	v_subrev_co_u32_e32 v14, vcc, s28, v14
	s_nop 1
	v_subbrev_co_u32_e32 v15, vcc, 0, v15, vcc
	v_cmp_lt_i64_e32 vcc, v[10:11], v[14:15]
	s_nop 1
	v_cndmask_b32_e32 v7, v7, v13, vcc
	v_cndmask_b32_e32 v6, v6, v12, vcc
	;; [unrolled: 1-line block ×4, first 2 shown]
	v_lshl_add_u64 v[12:13], v[6:7], 0, -1
	v_cmp_ge_i64_e32 vcc, v[4:5], v[6:7]
	v_cmp_eq_u64_e64 s[0:1], v[4:5], v[12:13]
	s_or_b64 s[0:1], vcc, s[0:1]
	s_and_b64 s[0:1], exec, s[0:1]
	s_or_b64 s[38:39], s[0:1], s[38:39]
	s_andn2_b64 exec, exec, s[38:39]
	s_cbranch_execnz .LBB9_81
; %bb.82:
	s_or_b64 exec, exec, s[38:39]
.LBB9_83:
	v_lshl_add_u64 v[2:3], v[6:7], 3, s[12:13]
	global_load_dwordx2 v[12:13], v[2:3], off
	v_lshl_add_u64 v[2:3], v[10:11], 3, s[14:15]
	global_load_dwordx2 v[14:15], v[2:3], off
	s_lshl_b64 s[0:1], s[22:23], 3
	s_add_u32 s14, s12, s0
	s_addc_u32 s15, s13, s1
	s_waitcnt vmcnt(1)
	v_subrev_co_u32_e32 v12, vcc, s28, v12
	s_nop 1
	v_subbrev_co_u32_e32 v13, vcc, 0, v13, vcc
	v_cmp_lt_i64_e32 vcc, v[10:11], v[12:13]
	s_nop 1
	v_cndmask_b32_e32 v7, v7, v5, vcc
	v_cndmask_b32_e32 v6, v6, v4, vcc
	s_waitcnt vmcnt(0)
	v_subrev_co_u32_e32 v4, vcc, s28, v14
	s_nop 1
	v_subbrev_co_u32_e32 v5, vcc, 0, v15, vcc
	v_cmp_ne_u64_e32 vcc, v[4:5], v[6:7]
	s_and_saveexec_b64 s[38:39], vcc
	s_cbranch_execz .LBB9_89
; %bb.84:
	s_load_dwordx2 s[0:1], s[14:15], 0x0
	s_waitcnt lgkmcnt(0)
	s_sub_u32 s0, s0, s28
	s_subb_u32 s1, s1, 0
	v_cmp_gt_i64_e32 vcc, s[0:1], v[10:11]
	s_and_b64 exec, exec, vcc
	s_cbranch_execz .LBB9_89
; %bb.85:
	v_cmp_gt_i64_e32 vcc, s[4:5], v[4:5]
	v_cmp_le_i64_e64 s[0:1], s[22:23], v[4:5]
	s_or_b64 s[0:1], vcc, s[0:1]
	v_lshl_add_u64 v[6:7], v[6:7], 2, s[18:19]
	s_and_saveexec_b64 s[40:41], s[0:1]
	s_xor_b64 s[0:1], exec, s[40:41]
	s_cbranch_execz .LBB9_87
; %bb.86:
	global_load_dword v12, v[6:7], off
	ds_read_b32 v13, v18
	v_lshl_add_u64 v[6:7], v[4:5], 2, s[24:25]
	s_waitcnt vmcnt(0) lgkmcnt(0)
	v_mul_f32_e32 v12, v13, v12
	global_atomic_add_f32 v[6:7], v12, off
                                        ; implicit-def: $vgpr6_vgpr7
.LBB9_87:
	s_andn2_saveexec_b64 s[0:1], s[0:1]
	s_cbranch_execz .LBB9_89
; %bb.88:
	global_load_dword v6, v[6:7], off
	ds_read_b32 v7, v18
	v_subrev_u32_e32 v12, s4, v4
	v_mov_b32_e32 v13, 0x1000
	v_lshl_add_u32 v12, v12, 2, v13
	s_waitcnt vmcnt(0) lgkmcnt(0)
	v_mul_f32_e32 v6, v7, v6
	ds_add_f32 v12, v6
.LBB9_89:
	s_or_b64 exec, exec, s[38:39]
	v_lshl_add_u64 v[4:5], v[4:5], 2, s[18:19]
	global_load_dword v12, v[4:5], off
	ds_read_b32 v13, v18
	s_mov_b64 s[0:1], 0x100
	v_cndmask_b32_e64 v14, 0, 1, s[2:3]
	v_mov_b64_e32 v[6:7], s[20:21]
	v_lshl_add_u64 v[4:5], v[10:11], 0, s[0:1]
	v_cmp_ne_u32_e64 s[0:1], 1, v14
	s_andn2_b64 vcc, exec, s[2:3]
	s_waitcnt vmcnt(0) lgkmcnt(0)
	v_mul_f32_e32 v12, v12, v13
	ds_write_b32 v18, v12
	v_mov_b64_e32 v[12:13], s[36:37]
	s_cbranch_vccnz .LBB9_93
; %bb.90:
	s_mov_b64 s[38:39], 0
	v_mov_b64_e32 v[6:7], s[20:21]
	v_mov_b64_e32 v[12:13], s[36:37]
	v_mov_b32_e32 v15, 0
.LBB9_91:                               ; =>This Inner Loop Header: Depth=1
	v_lshl_add_u64 v[16:17], v[12:13], 0, v[6:7]
	v_lshrrev_b32_e32 v14, 31, v17
	v_lshl_add_u64 v[16:17], v[16:17], 0, v[14:15]
	v_ashrrev_i64 v[16:17], 1, v[16:17]
	v_lshl_add_u64 v[20:21], v[16:17], 3, s[12:13]
	global_load_dwordx2 v[20:21], v[20:21], off
	s_waitcnt vmcnt(0)
	v_subrev_co_u32_e32 v20, vcc, s28, v20
	s_nop 1
	v_subbrev_co_u32_e32 v21, vcc, 0, v21, vcc
	v_cmp_lt_i64_e32 vcc, v[4:5], v[20:21]
	s_nop 1
	v_cndmask_b32_e32 v13, v13, v17, vcc
	v_cndmask_b32_e32 v12, v12, v16, vcc
	;; [unrolled: 1-line block ×4, first 2 shown]
	v_lshl_add_u64 v[16:17], v[12:13], 0, -1
	v_cmp_ge_i64_e32 vcc, v[6:7], v[12:13]
	v_cmp_eq_u64_e64 s[2:3], v[6:7], v[16:17]
	s_or_b64 s[2:3], vcc, s[2:3]
	s_and_b64 s[2:3], exec, s[2:3]
	s_or_b64 s[38:39], s[2:3], s[38:39]
	s_andn2_b64 exec, exec, s[38:39]
	s_cbranch_execnz .LBB9_91
; %bb.92:
	s_or_b64 exec, exec, s[38:39]
.LBB9_93:
	v_lshl_add_u64 v[14:15], v[12:13], 3, s[12:13]
	global_load_dwordx2 v[16:17], v[14:15], off
	global_load_dwordx2 v[20:21], v[2:3], off offset:2048
	s_waitcnt vmcnt(1)
	v_subrev_co_u32_e32 v14, vcc, s28, v16
	s_nop 1
	v_subbrev_co_u32_e32 v15, vcc, 0, v17, vcc
	v_cmp_lt_i64_e32 vcc, v[4:5], v[14:15]
	s_nop 1
	v_cndmask_b32_e32 v13, v13, v7, vcc
	v_cndmask_b32_e32 v12, v12, v6, vcc
	s_waitcnt vmcnt(0)
	v_subrev_co_u32_e32 v6, vcc, s28, v20
	s_nop 1
	v_subbrev_co_u32_e32 v7, vcc, 0, v21, vcc
	v_cmp_ne_u64_e32 vcc, v[6:7], v[12:13]
	s_and_saveexec_b64 s[38:39], vcc
	s_cbranch_execz .LBB9_99
; %bb.94:
	s_load_dwordx2 s[2:3], s[14:15], 0x0
	s_waitcnt lgkmcnt(0)
	s_sub_u32 s2, s2, s28
	s_subb_u32 s3, s3, 0
	v_cmp_gt_i64_e32 vcc, s[2:3], v[4:5]
	s_and_b64 exec, exec, vcc
	s_cbranch_execz .LBB9_99
; %bb.95:
	v_cmp_gt_i64_e32 vcc, s[4:5], v[6:7]
	v_cmp_le_i64_e64 s[2:3], s[22:23], v[6:7]
	s_or_b64 s[2:3], vcc, s[2:3]
	v_lshl_add_u64 v[4:5], v[12:13], 2, s[18:19]
	s_and_saveexec_b64 s[40:41], s[2:3]
	s_xor_b64 s[2:3], exec, s[40:41]
	s_cbranch_execz .LBB9_97
; %bb.96:
	global_load_dword v12, v[4:5], off
	ds_read_b32 v13, v18 offset:1024
	v_lshl_add_u64 v[4:5], v[6:7], 2, s[24:25]
	s_waitcnt vmcnt(0) lgkmcnt(0)
	v_mul_f32_e32 v12, v13, v12
	global_atomic_add_f32 v[4:5], v12, off
                                        ; implicit-def: $vgpr4_vgpr5
.LBB9_97:
	s_andn2_saveexec_b64 s[2:3], s[2:3]
	s_cbranch_execz .LBB9_99
; %bb.98:
	global_load_dword v4, v[4:5], off
	ds_read_b32 v5, v18 offset:1024
	v_subrev_u32_e32 v12, s4, v6
	v_mov_b32_e32 v13, 0x1000
	v_lshl_add_u32 v12, v12, 2, v13
	s_waitcnt vmcnt(0) lgkmcnt(0)
	v_mul_f32_e32 v4, v5, v4
	ds_add_f32 v12, v4
.LBB9_99:
	s_or_b64 exec, exec, s[38:39]
	v_lshl_add_u64 v[4:5], v[6:7], 2, s[18:19]
	global_load_dword v12, v[4:5], off
	ds_read_b32 v13, v18 offset:1024
	s_mov_b64 s[2:3], 0x200
	v_lshl_add_u64 v[4:5], v[10:11], 0, s[2:3]
	s_and_b64 vcc, exec, s[0:1]
	v_mov_b64_e32 v[6:7], s[20:21]
	s_waitcnt vmcnt(0) lgkmcnt(0)
	v_mul_f32_e32 v10, v12, v13
	ds_write_b32 v18, v10 offset:1024
	v_mov_b64_e32 v[10:11], s[36:37]
	s_cbranch_vccnz .LBB9_103
; %bb.100:
	s_mov_b64 s[38:39], 0
	v_mov_b64_e32 v[6:7], s[20:21]
	v_mov_b64_e32 v[10:11], s[36:37]
	v_mov_b32_e32 v13, 0
.LBB9_101:                              ; =>This Inner Loop Header: Depth=1
	v_lshl_add_u64 v[14:15], v[10:11], 0, v[6:7]
	v_lshrrev_b32_e32 v12, 31, v15
	v_lshl_add_u64 v[14:15], v[14:15], 0, v[12:13]
	v_ashrrev_i64 v[14:15], 1, v[14:15]
	v_lshl_add_u64 v[16:17], v[14:15], 3, s[12:13]
	global_load_dwordx2 v[16:17], v[16:17], off
	s_waitcnt vmcnt(0)
	v_subrev_co_u32_e32 v16, vcc, s28, v16
	s_nop 1
	v_subbrev_co_u32_e32 v17, vcc, 0, v17, vcc
	v_cmp_lt_i64_e32 vcc, v[4:5], v[16:17]
	s_nop 1
	v_cndmask_b32_e32 v11, v11, v15, vcc
	v_cndmask_b32_e32 v10, v10, v14, vcc
	;; [unrolled: 1-line block ×4, first 2 shown]
	v_lshl_add_u64 v[14:15], v[10:11], 0, -1
	v_cmp_ge_i64_e32 vcc, v[6:7], v[10:11]
	v_cmp_eq_u64_e64 s[2:3], v[6:7], v[14:15]
	s_or_b64 s[2:3], vcc, s[2:3]
	s_and_b64 s[2:3], exec, s[2:3]
	s_or_b64 s[38:39], s[2:3], s[38:39]
	s_andn2_b64 exec, exec, s[38:39]
	s_cbranch_execnz .LBB9_101
; %bb.102:
	s_or_b64 exec, exec, s[38:39]
.LBB9_103:
	v_lshl_add_u64 v[12:13], v[10:11], 3, s[12:13]
	global_load_dwordx2 v[12:13], v[12:13], off
	v_add_co_u32_e32 v14, vcc, 0x1000, v2
	s_nop 1
	v_addc_co_u32_e32 v15, vcc, 0, v3, vcc
	global_load_dwordx2 v[14:15], v[14:15], off
	s_waitcnt vmcnt(1)
	v_subrev_co_u32_e32 v12, vcc, s28, v12
	s_nop 1
	v_subbrev_co_u32_e32 v13, vcc, 0, v13, vcc
	v_cmp_lt_i64_e32 vcc, v[4:5], v[12:13]
	s_nop 1
	v_cndmask_b32_e32 v11, v11, v7, vcc
	v_cndmask_b32_e32 v10, v10, v6, vcc
	s_waitcnt vmcnt(0)
	v_subrev_co_u32_e32 v6, vcc, s28, v14
	s_nop 1
	v_subbrev_co_u32_e32 v7, vcc, 0, v15, vcc
	v_cmp_ne_u64_e32 vcc, v[6:7], v[10:11]
	s_and_saveexec_b64 s[38:39], vcc
	s_cbranch_execz .LBB9_109
; %bb.104:
	s_load_dwordx2 s[2:3], s[14:15], 0x0
	s_waitcnt lgkmcnt(0)
	s_sub_u32 s2, s2, s28
	s_subb_u32 s3, s3, 0
	v_cmp_gt_i64_e32 vcc, s[2:3], v[4:5]
	s_and_b64 exec, exec, vcc
	s_cbranch_execz .LBB9_109
; %bb.105:
	v_cmp_gt_i64_e32 vcc, s[4:5], v[6:7]
	v_cmp_le_i64_e64 s[2:3], s[22:23], v[6:7]
	s_or_b64 s[2:3], vcc, s[2:3]
	v_lshl_add_u64 v[4:5], v[10:11], 2, s[18:19]
	s_and_saveexec_b64 s[40:41], s[2:3]
	s_xor_b64 s[2:3], exec, s[40:41]
	s_cbranch_execz .LBB9_107
; %bb.106:
	global_load_dword v10, v[4:5], off
	ds_read_b32 v11, v18 offset:2048
	v_lshl_add_u64 v[4:5], v[6:7], 2, s[24:25]
	s_waitcnt vmcnt(0) lgkmcnt(0)
	v_mul_f32_e32 v10, v11, v10
	global_atomic_add_f32 v[4:5], v10, off
                                        ; implicit-def: $vgpr4_vgpr5
.LBB9_107:
	s_andn2_saveexec_b64 s[2:3], s[2:3]
	s_cbranch_execz .LBB9_109
; %bb.108:
	global_load_dword v4, v[4:5], off
	ds_read_b32 v5, v18 offset:2048
	v_subrev_u32_e32 v10, s4, v6
	v_mov_b32_e32 v11, 0x1000
	v_lshl_add_u32 v10, v10, 2, v11
	s_waitcnt vmcnt(0) lgkmcnt(0)
	v_mul_f32_e32 v4, v5, v4
	ds_add_f32 v10, v4
.LBB9_109:
	s_or_b64 exec, exec, s[38:39]
	v_lshl_add_u64 v[4:5], v[6:7], 2, s[18:19]
	global_load_dword v6, v[4:5], off
	ds_read_b32 v7, v18 offset:2048
	s_and_b64 vcc, exec, s[0:1]
	v_mov_b64_e32 v[4:5], s[20:21]
	s_waitcnt vmcnt(0) lgkmcnt(0)
	v_mul_f32_e32 v6, v6, v7
	ds_write_b32 v18, v6 offset:2048
	v_mov_b64_e32 v[6:7], s[36:37]
	s_cbranch_vccnz .LBB9_113
; %bb.110:
	s_mov_b64 s[2:3], 0
	v_mov_b64_e32 v[4:5], s[20:21]
	v_mov_b64_e32 v[6:7], s[36:37]
	v_mov_b32_e32 v11, 0
.LBB9_111:                              ; =>This Inner Loop Header: Depth=1
	v_lshl_add_u64 v[12:13], v[6:7], 0, v[4:5]
	v_lshrrev_b32_e32 v10, 31, v13
	v_lshl_add_u64 v[12:13], v[12:13], 0, v[10:11]
	v_ashrrev_i64 v[12:13], 1, v[12:13]
	v_lshl_add_u64 v[14:15], v[12:13], 3, s[12:13]
	global_load_dwordx2 v[14:15], v[14:15], off
	s_waitcnt vmcnt(0)
	v_subrev_co_u32_e32 v14, vcc, s28, v14
	s_nop 1
	v_subbrev_co_u32_e32 v15, vcc, 0, v15, vcc
	v_cmp_lt_i64_e32 vcc, v[8:9], v[14:15]
	s_nop 1
	v_cndmask_b32_e32 v7, v7, v13, vcc
	v_cndmask_b32_e32 v6, v6, v12, vcc
	v_cndmask_b32_e32 v5, v13, v5, vcc
	v_cndmask_b32_e32 v4, v12, v4, vcc
	v_lshl_add_u64 v[12:13], v[6:7], 0, -1
	v_cmp_ge_i64_e32 vcc, v[4:5], v[6:7]
	v_cmp_eq_u64_e64 s[0:1], v[4:5], v[12:13]
	s_or_b64 s[0:1], vcc, s[0:1]
	s_and_b64 s[0:1], exec, s[0:1]
	s_or_b64 s[2:3], s[0:1], s[2:3]
	s_andn2_b64 exec, exec, s[2:3]
	s_cbranch_execnz .LBB9_111
; %bb.112:
	s_or_b64 exec, exec, s[2:3]
.LBB9_113:
	v_lshl_add_u64 v[10:11], v[6:7], 3, s[12:13]
	global_load_dwordx2 v[10:11], v[10:11], off
	v_add_co_u32_e32 v2, vcc, 0x1000, v2
	s_nop 1
	v_addc_co_u32_e32 v3, vcc, 0, v3, vcc
	global_load_dwordx2 v[2:3], v[2:3], off offset:2048
	s_waitcnt vmcnt(1)
	v_subrev_co_u32_e32 v10, vcc, s28, v10
	s_nop 1
	v_subbrev_co_u32_e32 v11, vcc, 0, v11, vcc
	v_cmp_lt_i64_e32 vcc, v[8:9], v[10:11]
	s_nop 1
	v_cndmask_b32_e32 v5, v7, v5, vcc
	v_cndmask_b32_e32 v4, v6, v4, vcc
	s_waitcnt vmcnt(0)
	v_subrev_co_u32_e32 v2, vcc, s28, v2
	s_nop 1
	v_subbrev_co_u32_e32 v3, vcc, 0, v3, vcc
	v_cmp_ne_u64_e32 vcc, v[2:3], v[4:5]
	s_and_saveexec_b64 s[2:3], vcc
	s_cbranch_execz .LBB9_119
; %bb.114:
	s_load_dwordx2 s[0:1], s[14:15], 0x0
	s_waitcnt lgkmcnt(0)
	s_sub_u32 s0, s0, s28
	s_subb_u32 s1, s1, 0
	v_cmp_gt_i64_e32 vcc, s[0:1], v[8:9]
	s_and_b64 exec, exec, vcc
	s_cbranch_execz .LBB9_119
; %bb.115:
	v_cmp_gt_i64_e32 vcc, s[4:5], v[2:3]
	v_cmp_le_i64_e64 s[0:1], s[22:23], v[2:3]
	s_or_b64 s[0:1], vcc, s[0:1]
	v_lshl_add_u64 v[4:5], v[4:5], 2, s[18:19]
	s_and_saveexec_b64 s[14:15], s[0:1]
	s_xor_b64 s[0:1], exec, s[14:15]
	s_cbranch_execz .LBB9_117
; %bb.116:
	global_load_dword v6, v[4:5], off
	ds_read_b32 v7, v18 offset:3072
	v_lshl_add_u64 v[4:5], v[2:3], 2, s[24:25]
	s_waitcnt vmcnt(0) lgkmcnt(0)
	v_mul_f32_e32 v6, v7, v6
	global_atomic_add_f32 v[4:5], v6, off
                                        ; implicit-def: $vgpr4_vgpr5
.LBB9_117:
	s_andn2_saveexec_b64 s[0:1], s[0:1]
	s_cbranch_execz .LBB9_119
; %bb.118:
	global_load_dword v4, v[4:5], off
	ds_read_b32 v5, v18 offset:3072
	v_subrev_u32_e32 v6, s4, v2
	v_mov_b32_e32 v7, 0x1000
	v_lshl_add_u32 v6, v6, 2, v7
	s_waitcnt vmcnt(0) lgkmcnt(0)
	v_mul_f32_e32 v4, v5, v4
	ds_add_f32 v6, v4
.LBB9_119:
	s_or_b64 exec, exec, s[2:3]
	v_lshl_add_u64 v[2:3], v[2:3], 2, s[18:19]
	global_load_dword v2, v[2:3], off
	ds_read_b32 v3, v18 offset:3072
	s_waitcnt vmcnt(0) lgkmcnt(0)
	v_mul_f32_e32 v2, v2, v3
	ds_write_b32 v18, v2 offset:3072
.LBB9_120:
	s_or_b64 exec, exec, s[16:17]
	v_mov_b64_e32 v[2:3], s[6:7]
	v_cmp_lt_i64_e32 vcc, s[22:23], v[2:3]
	s_and_b64 s[0:1], vcc, exec
	s_cselect_b32 s16, s22, s6
	s_cselect_b32 s0, s23, s7
	s_sub_u32 s2, s16, s26
	s_subb_u32 s3, s0, s27
	v_cmp_gt_i64_e32 vcc, s[2:3], v[0:1]
	s_waitcnt lgkmcnt(0)
	s_barrier
	s_and_saveexec_b64 s[0:1], vcc
	s_cbranch_execz .LBB9_123
; %bb.121:
	v_mov_b64_e32 v[2:3], s[6:7]
	v_cmp_gt_i64_e32 vcc, s[22:23], v[2:3]
	s_and_b64 s[4:5], vcc, exec
	s_cselect_b32 s5, s23, s7
	s_cselect_b32 s4, s22, s6
	v_lshlrev_b32_e32 v2, 2, v0
	v_mov_b32_e32 v3, 0
	v_lshl_add_u64 v[2:3], s[4:5], 2, v[2:3]
	s_lshl_b64 s[4:5], s[6:7], 2
	v_mov_b32_e32 v4, s5
	v_subrev_co_u32_e32 v2, vcc, s4, v2
	s_mov_b64 s[4:5], 0
	s_nop 0
	v_subb_co_u32_e32 v3, vcc, v3, v4, vcc
	v_mov_b32_e32 v4, 0x1000
	v_lshl_add_u64 v[2:3], s[24:25], 0, v[2:3]
	v_lshl_add_u32 v6, v0, 2, v4
	s_mov_b64 s[6:7], 0x100
	s_mov_b64 s[14:15], 0x400
	v_mov_b64_e32 v[4:5], v[0:1]
.LBB9_122:                              ; =>This Inner Loop Header: Depth=1
	ds_read_b32 v7, v6
	v_lshl_add_u64 v[4:5], v[4:5], 0, s[6:7]
	v_cmp_le_i64_e32 vcc, s[2:3], v[4:5]
	v_add_u32_e32 v6, 0x400, v6
	s_or_b64 s[4:5], vcc, s[4:5]
	s_waitcnt lgkmcnt(0)
	global_atomic_add_f32 v[2:3], v7, off
	v_lshl_add_u64 v[2:3], v[2:3], 0, s[14:15]
	s_andn2_b64 exec, exec, s[4:5]
	s_cbranch_execnz .LBB9_122
.LBB9_123:
	s_or_b64 exec, exec, s[0:1]
	s_add_i32 s0, s34, -1
	s_ashr_i32 s1, s0, 1
	s_or_b32 s0, s1, s0
	s_ashr_i32 s1, s0, 2
	s_or_b32 s0, s1, s0
	;; [unrolled: 2-line block ×5, first 2 shown]
	s_add_i32 s0, s0, 1
	s_ashr_i32 s3, s0, 1
	v_lshl_add_u64 v[6:7], s[20:21], 0, v[0:1]
	s_cmp_gt_i32 s3, 1
	s_mov_b64 s[0:1], -1
	s_barrier
	s_cbranch_scc1 .LBB9_132
; %bb.124:
	v_cmp_gt_i64_e32 vcc, s[22:23], v[6:7]
	s_and_saveexec_b64 s[0:1], vcc
	s_cbranch_execz .LBB9_131
; %bb.125:
	s_sub_i32 s4, s16, s22
	s_lshl_b32 s4, s4, 2
	s_add_i32 s16, s4, 0x1000
	s_lshl_b32 s4, s8, 2
	s_sub_i32 s17, 0, s4
	s_mov_b64 s[4:5], 0
	v_mov_b64_e32 v[8:9], v[6:7]
	s_branch .LBB9_127
.LBB9_126:                              ;   in Loop: Header=BB9_127 Depth=1
	s_or_b64 exec, exec, s[6:7]
	v_lshl_add_u32 v2, v8, 2, s16
	ds_read_b32 v2, v2
	s_waitcnt lgkmcnt(0)
	v_add_f32_e32 v4, v12, v2
	v_lshl_add_u64 v[2:3], v[8:9], 2, s[24:25]
	global_atomic_add_f32 v[2:3], v4, off
	v_lshl_add_u64 v[8:9], v[8:9], 0, s[30:31]
	v_cmp_le_i64_e32 vcc, s[22:23], v[8:9]
	s_or_b64 s[4:5], vcc, s[4:5]
	s_andn2_b64 exec, exec, s[4:5]
	s_cbranch_execz .LBB9_131
.LBB9_127:                              ; =>This Loop Header: Depth=1
                                        ;     Child Loop BB9_129 Depth 2
	v_lshl_add_u64 v[2:3], v[8:9], 3, s[12:13]
	global_load_dwordx4 v[2:5], v[2:3], off
	v_mov_b32_e32 v12, 0
	s_waitcnt vmcnt(0)
	v_cmp_lt_i64_e32 vcc, v[2:3], v[4:5]
	s_and_saveexec_b64 s[6:7], vcc
	s_cbranch_execz .LBB9_126
; %bb.128:                              ;   in Loop: Header=BB9_127 Depth=1
	v_mov_b32_e32 v10, s9
	v_subrev_co_u32_e32 v4, vcc, s8, v4
	v_mov_b32_e32 v11, s9
	s_nop 0
	v_subb_co_u32_e32 v5, vcc, v5, v10, vcc
	v_subrev_co_u32_e32 v10, vcc, s8, v2
	v_lshl_add_u32 v2, v2, 2, s17
	s_nop 0
	v_subb_co_u32_e32 v11, vcc, v3, v11, vcc
	v_mov_b32_e32 v12, 0
	s_mov_b64 s[14:15], 0
.LBB9_129:                              ;   Parent Loop BB9_127 Depth=1
                                        ; =>  This Inner Loop Header: Depth=2
	ds_read_b32 v3, v2
	v_lshl_add_u64 v[10:11], v[10:11], 0, 1
	v_cmp_ge_i64_e32 vcc, v[10:11], v[4:5]
	v_add_u32_e32 v2, 4, v2
	s_or_b64 s[14:15], vcc, s[14:15]
	s_waitcnt lgkmcnt(0)
	v_add_f32_e32 v12, v12, v3
	s_andn2_b64 exec, exec, s[14:15]
	s_cbranch_execnz .LBB9_129
; %bb.130:                              ;   in Loop: Header=BB9_127 Depth=1
	s_or_b64 exec, exec, s[14:15]
	s_branch .LBB9_126
.LBB9_131:
	s_or_b64 exec, exec, s[0:1]
	s_mov_b64 s[0:1], 0
.LBB9_132:
	s_andn2_b64 vcc, exec, s[0:1]
	s_cbranch_vccnz .LBB9_149
; %bb.133:
	v_cvt_f32_u32_e32 v2, s3
	s_sub_i32 s12, 0, s3
	v_mov_b32_e32 v5, 0
	v_mov_b32_e32 v13, s9
	v_rcp_iflag_f32_e32 v2, v2
	s_nop 0
	v_mul_f32_e32 v2, 0x4f7ffffe, v2
	v_cvt_u32_f32_e32 v2, v2
	v_mul_lo_u32 v3, s12, v2
	v_mul_hi_u32 v3, v2, v3
	v_add_u32_e32 v2, v2, v3
	v_mul_hi_u32 v2, v0, v2
	v_mul_lo_u32 v3, v2, s3
	v_sub_u32_e32 v3, v0, v3
	v_add_u32_e32 v4, 1, v2
	v_cmp_le_u32_e32 vcc, s3, v3
	s_nop 1
	v_cndmask_b32_e32 v2, v2, v4, vcc
	v_subrev_u32_e32 v4, s3, v3
	v_cndmask_b32_e32 v3, v3, v4, vcc
	v_add_u32_e32 v4, 1, v2
	v_cmp_le_u32_e32 vcc, s3, v3
	s_nop 1
	v_cndmask_b32_e32 v4, v2, v4, vcc
	v_lshl_add_u64 v[2:3], v[4:5], 3, s[10:11]
	global_load_dwordx4 v[8:11], v[2:3], off
	v_mov_b32_e32 v3, s9
	s_waitcnt vmcnt(0)
	v_subrev_co_u32_e32 v2, vcc, s8, v8
	s_nop 1
	v_subb_co_u32_e32 v3, vcc, v9, v3, vcc
	v_subrev_co_u32_e32 v12, vcc, s8, v10
	v_mov_b32_e32 v10, v5
	s_nop 0
	v_subb_co_u32_e32 v13, vcc, v11, v13, vcc
	v_sub_co_u32_e32 v8, vcc, v12, v2
	s_nop 1
	v_subb_co_u32_e32 v9, vcc, v13, v3, vcc
	v_mov_b32_e32 v11, v9
	v_cmp_ne_u64_e32 vcc, 0, v[10:11]
                                        ; implicit-def: $vgpr10_vgpr11
	s_and_saveexec_b64 s[0:1], vcc
	s_xor_b64 s[4:5], exec, s[0:1]
	s_cbranch_execz .LBB9_135
; %bb.134:
	s_add_u32 s0, s3, 0
	s_addc_u32 s1, 0, 0
	s_xor_b64 s[6:7], s[0:1], 0
	v_cvt_f32_u32_e32 v10, s6
	v_cvt_f32_u32_e32 v11, s7
	s_sub_u32 s8, 0, s6
	s_subb_u32 s9, 0, s7
	v_ashrrev_i32_e32 v14, 31, v9
	v_fmamk_f32 v10, v11, 0x4f800000, v10
	v_rcp_f32_e32 v10, v10
	v_mov_b32_e32 v15, v14
	v_lshl_add_u64 v[8:9], v[8:9], 0, v[14:15]
	v_xor_b32_e32 v19, v8, v14
	v_mul_f32_e32 v10, 0x5f7ffffc, v10
	v_mul_f32_e32 v11, 0x2f800000, v10
	v_trunc_f32_e32 v11, v11
	v_fmamk_f32 v10, v11, 0xcf800000, v10
	v_cvt_u32_f32_e32 v11, v11
	v_cvt_u32_f32_e32 v10, v10
	v_xor_b32_e32 v15, v9, v14
	v_readfirstlane_b32 s10, v11
	v_readfirstlane_b32 s0, v10
	s_mul_i32 s1, s8, s10
	s_mul_hi_u32 s13, s8, s0
	s_mul_i32 s11, s9, s0
	s_add_i32 s1, s13, s1
	s_mul_i32 s14, s8, s0
	s_add_i32 s1, s1, s11
	s_mul_i32 s13, s0, s1
	s_mul_hi_u32 s15, s0, s14
	s_mul_hi_u32 s11, s0, s1
	s_add_u32 s13, s15, s13
	s_addc_u32 s11, 0, s11
	s_mul_hi_u32 s16, s10, s14
	s_mul_i32 s14, s10, s14
	s_add_u32 s13, s13, s14
	s_mul_hi_u32 s15, s10, s1
	s_addc_u32 s11, s11, s16
	s_addc_u32 s13, s15, 0
	s_mul_i32 s1, s10, s1
	s_add_u32 s1, s11, s1
	s_addc_u32 s11, 0, s13
	s_add_u32 s13, s0, s1
	s_cselect_b64 s[0:1], -1, 0
	s_cmp_lg_u64 s[0:1], 0
	s_addc_u32 s10, s10, s11
	s_mul_i32 s0, s8, s10
	s_mul_hi_u32 s1, s8, s13
	s_add_i32 s0, s1, s0
	s_mul_i32 s9, s9, s13
	s_add_i32 s0, s0, s9
	s_mul_i32 s8, s8, s13
	s_mul_hi_u32 s9, s10, s8
	s_mul_i32 s11, s10, s8
	s_mul_i32 s15, s13, s0
	s_mul_hi_u32 s8, s13, s8
	s_mul_hi_u32 s14, s13, s0
	s_add_u32 s8, s8, s15
	s_addc_u32 s14, 0, s14
	s_add_u32 s8, s8, s11
	s_mul_hi_u32 s1, s10, s0
	s_addc_u32 s8, s14, s9
	s_addc_u32 s1, s1, 0
	s_mul_i32 s0, s10, s0
	s_add_u32 s0, s8, s0
	s_addc_u32 s8, 0, s1
	s_add_u32 s9, s13, s0
	s_cselect_b64 s[0:1], -1, 0
	s_cmp_lg_u64 s[0:1], 0
	s_addc_u32 s8, s10, s8
	v_mad_u64_u32 v[8:9], s[0:1], v19, s8, 0
	v_mul_hi_u32 v10, v19, s9
	v_mov_b32_e32 v11, v5
	v_lshl_add_u64 v[8:9], v[10:11], 0, v[8:9]
	v_mad_u64_u32 v[16:17], s[0:1], v15, s9, 0
	v_add_co_u32_e32 v8, vcc, v8, v16
	v_mad_u64_u32 v[10:11], s[0:1], v15, s8, 0
	s_nop 0
	v_addc_co_u32_e32 v8, vcc, v9, v17, vcc
	v_mov_b32_e32 v9, v5
	s_nop 0
	v_addc_co_u32_e32 v11, vcc, 0, v11, vcc
	v_lshl_add_u64 v[8:9], v[8:9], 0, v[10:11]
	v_mul_lo_u32 v16, s7, v8
	v_mul_lo_u32 v17, s6, v9
	v_mad_u64_u32 v[10:11], s[0:1], s6, v8, 0
	v_add3_u32 v20, v11, v17, v16
	v_sub_u32_e32 v11, v15, v20
	v_mov_b32_e32 v16, s7
	v_sub_co_u32_e32 v19, vcc, v19, v10
	s_nop 1
	v_subb_co_u32_e64 v10, s[0:1], v11, v16, vcc
	v_subrev_co_u32_e64 v11, s[0:1], s6, v19
	v_subb_co_u32_e32 v15, vcc, v15, v20, vcc
	s_nop 0
	v_subbrev_co_u32_e64 v10, s[0:1], 0, v10, s[0:1]
	v_cmp_le_u32_e64 s[0:1], s7, v10
	v_cmp_le_u32_e32 vcc, s7, v15
	s_nop 0
	v_cndmask_b32_e64 v16, 0, -1, s[0:1]
	v_cmp_le_u32_e64 s[0:1], s6, v11
	s_nop 1
	v_cndmask_b32_e64 v11, 0, -1, s[0:1]
	v_cmp_eq_u32_e64 s[0:1], s7, v10
	s_nop 1
	v_cndmask_b32_e64 v21, v16, v11, s[0:1]
	v_lshl_add_u64 v[10:11], v[8:9], 0, 2
	v_lshl_add_u64 v[16:17], v[8:9], 0, 1
	v_cmp_ne_u32_e64 s[0:1], 0, v21
	s_nop 1
	v_cndmask_b32_e64 v11, v17, v11, s[0:1]
	v_cndmask_b32_e64 v17, 0, -1, vcc
	v_cmp_le_u32_e32 vcc, s6, v19
	v_cndmask_b32_e64 v10, v16, v10, s[0:1]
	s_nop 0
	v_cndmask_b32_e64 v19, 0, -1, vcc
	v_cmp_eq_u32_e32 vcc, s7, v15
	s_nop 1
	v_cndmask_b32_e32 v15, v17, v19, vcc
	v_cmp_ne_u32_e32 vcc, 0, v15
	s_nop 1
	v_cndmask_b32_e32 v8, v8, v10, vcc
	v_cndmask_b32_e32 v9, v9, v11, vcc
	v_xor_b32_e32 v8, v8, v14
	v_xor_b32_e32 v9, v9, v14
	v_sub_co_u32_e32 v10, vcc, v8, v14
                                        ; implicit-def: $vgpr8
	s_nop 1
	v_subb_co_u32_e32 v11, vcc, v9, v14, vcc
.LBB9_135:
	s_andn2_saveexec_b64 s[0:1], s[4:5]
	s_cbranch_execz .LBB9_137
; %bb.136:
	v_cvt_f32_u32_e32 v9, s3
	v_rcp_iflag_f32_e32 v9, v9
	s_nop 0
	v_mul_f32_e32 v9, 0x4f7ffffe, v9
	v_cvt_u32_f32_e32 v9, v9
	v_mul_lo_u32 v10, s12, v9
	v_mul_hi_u32 v10, v9, v10
	v_add_u32_e32 v9, v9, v10
	v_mul_hi_u32 v9, v8, v9
	v_mul_lo_u32 v10, v9, s3
	v_sub_u32_e32 v8, v8, v10
	v_add_u32_e32 v11, 1, v9
	v_subrev_u32_e32 v10, s3, v8
	v_cmp_le_u32_e32 vcc, s3, v8
	s_nop 1
	v_cndmask_b32_e32 v8, v8, v10, vcc
	v_cndmask_b32_e32 v9, v9, v11, vcc
	v_add_u32_e32 v10, 1, v9
	v_cmp_le_u32_e32 vcc, s3, v8
	v_mov_b32_e32 v11, 0
	s_nop 0
	v_cndmask_b32_e32 v10, v9, v10, vcc
.LBB9_137:
	s_or_b64 exec, exec, s[0:1]
	v_cmp_gt_i64_e32 vcc, s[26:27], v[4:5]
	v_mov_b32_e32 v14, 0
	s_and_saveexec_b64 s[0:1], vcc
	s_cbranch_execz .LBB9_145
; %bb.138:
	s_add_i32 s4, s3, -1
	v_and_b32_e32 v4, s4, v0
	s_mov_b64 s[4:5], 0
	v_cmp_lt_i64_e32 vcc, 0, v[10:11]
	v_mov_b32_e32 v14, 0
	v_lshlrev_b32_e32 v15, 2, v4
	s_and_saveexec_b64 s[6:7], vcc
	s_cbranch_execz .LBB9_142
; %bb.139:
	v_lshl_add_u32 v5, v2, 2, v15
	s_lshl_b32 s8, s3, 2
	v_mov_b32_e32 v14, 0
	v_mov_b64_e32 v[8:9], v[10:11]
.LBB9_140:                              ; =>This Inner Loop Header: Depth=1
	ds_read_b32 v16, v5
	v_lshl_add_u64 v[8:9], v[8:9], 0, -1
	v_cmp_eq_u64_e32 vcc, 0, v[8:9]
	v_add_u32_e32 v5, s8, v5
	s_or_b64 s[4:5], vcc, s[4:5]
	s_waitcnt lgkmcnt(0)
	v_add_f32_e32 v14, v14, v16
	s_andn2_b64 exec, exec, s[4:5]
	s_cbranch_execnz .LBB9_140
; %bb.141:
	s_or_b64 exec, exec, s[4:5]
.LBB9_142:
	s_or_b64 exec, exec, s[6:7]
	v_mad_u64_u32 v[2:3], s[4:5], v10, s3, v[2:3]
	v_mov_b32_e32 v8, v3
	v_mad_u64_u32 v[8:9], s[4:5], v11, s3, v[8:9]
	v_sub_co_u32_e32 v10, vcc, v12, v2
	v_mov_b32_e32 v5, 0
	s_nop 0
	v_subb_co_u32_e32 v11, vcc, v13, v8, vcc
	v_cmp_gt_i64_e32 vcc, v[10:11], v[4:5]
	s_and_saveexec_b64 s[4:5], vcc
	s_cbranch_execz .LBB9_144
; %bb.143:
	v_lshl_add_u32 v2, v2, 2, v15
	ds_read_b32 v2, v2
	s_waitcnt lgkmcnt(0)
	v_add_f32_e32 v14, v14, v2
.LBB9_144:
	s_or_b64 exec, exec, s[4:5]
.LBB9_145:
	s_or_b64 exec, exec, s[0:1]
	v_cmp_gt_i64_e32 vcc, s[26:27], v[0:1]
	s_barrier
	ds_write_b32 v18, v14
	s_waitcnt lgkmcnt(0)
	s_barrier
	s_and_saveexec_b64 s[0:1], vcc
	s_cbranch_execz .LBB9_149
; %bb.146:
	v_mul_lo_u32 v1, s3, v0
	v_lshlrev_b32_e32 v2, 2, v1
	v_mov_b32_e32 v1, 0
.LBB9_147:                              ; =>This Inner Loop Header: Depth=1
	ds_read_b32 v3, v2
	s_add_i32 s3, s3, -1
	v_add_u32_e32 v2, 4, v2
	s_cmp_eq_u32 s3, 0
	s_waitcnt lgkmcnt(0)
	v_add_f32_e32 v1, v1, v3
	s_cbranch_scc0 .LBB9_147
; %bb.148:
	s_lshl_b32 s0, s2, 2
	s_addk_i32 s0, 0x1000
	v_lshl_add_u32 v0, v0, 2, s0
	ds_read_b32 v0, v0
	s_waitcnt lgkmcnt(0)
	v_add_f32_e32 v2, v1, v0
	v_lshl_add_u64 v[0:1], v[6:7], 2, s[24:25]
	global_atomic_add_f32 v[0:1], v2, off
.LBB9_149:
	s_endpgm
	.section	.rodata,"a",@progbits
	.p2align	6, 0x0
	.amdhsa_kernel _ZN9rocsparseL27csrmvn_symm_adaptive_kernelIllffffEEvbT_S1_PKS1_NS_24const_host_device_scalarIT4_EES3_PKT0_PKT1_PKT2_S6_PT3_21rocsparse_index_base_b
		.amdhsa_group_segment_fixed_size 4096
		.amdhsa_private_segment_fixed_size 0
		.amdhsa_kernarg_size 352
		.amdhsa_user_sgpr_count 2
		.amdhsa_user_sgpr_dispatch_ptr 0
		.amdhsa_user_sgpr_queue_ptr 0
		.amdhsa_user_sgpr_kernarg_segment_ptr 1
		.amdhsa_user_sgpr_dispatch_id 0
		.amdhsa_user_sgpr_kernarg_preload_length 0
		.amdhsa_user_sgpr_kernarg_preload_offset 0
		.amdhsa_user_sgpr_private_segment_size 0
		.amdhsa_uses_dynamic_stack 0
		.amdhsa_enable_private_segment 0
		.amdhsa_system_sgpr_workgroup_id_x 1
		.amdhsa_system_sgpr_workgroup_id_y 0
		.amdhsa_system_sgpr_workgroup_id_z 0
		.amdhsa_system_sgpr_workgroup_info 0
		.amdhsa_system_vgpr_workitem_id 0
		.amdhsa_next_free_vgpr 24
		.amdhsa_next_free_sgpr 52
		.amdhsa_accum_offset 24
		.amdhsa_reserve_vcc 1
		.amdhsa_float_round_mode_32 0
		.amdhsa_float_round_mode_16_64 0
		.amdhsa_float_denorm_mode_32 3
		.amdhsa_float_denorm_mode_16_64 3
		.amdhsa_dx10_clamp 1
		.amdhsa_ieee_mode 1
		.amdhsa_fp16_overflow 0
		.amdhsa_tg_split 0
		.amdhsa_exception_fp_ieee_invalid_op 0
		.amdhsa_exception_fp_denorm_src 0
		.amdhsa_exception_fp_ieee_div_zero 0
		.amdhsa_exception_fp_ieee_overflow 0
		.amdhsa_exception_fp_ieee_underflow 0
		.amdhsa_exception_fp_ieee_inexact 0
		.amdhsa_exception_int_div_zero 0
	.end_amdhsa_kernel
	.section	.text._ZN9rocsparseL27csrmvn_symm_adaptive_kernelIllffffEEvbT_S1_PKS1_NS_24const_host_device_scalarIT4_EES3_PKT0_PKT1_PKT2_S6_PT3_21rocsparse_index_base_b,"axG",@progbits,_ZN9rocsparseL27csrmvn_symm_adaptive_kernelIllffffEEvbT_S1_PKS1_NS_24const_host_device_scalarIT4_EES3_PKT0_PKT1_PKT2_S6_PT3_21rocsparse_index_base_b,comdat
.Lfunc_end9:
	.size	_ZN9rocsparseL27csrmvn_symm_adaptive_kernelIllffffEEvbT_S1_PKS1_NS_24const_host_device_scalarIT4_EES3_PKT0_PKT1_PKT2_S6_PT3_21rocsparse_index_base_b, .Lfunc_end9-_ZN9rocsparseL27csrmvn_symm_adaptive_kernelIllffffEEvbT_S1_PKS1_NS_24const_host_device_scalarIT4_EES3_PKT0_PKT1_PKT2_S6_PT3_21rocsparse_index_base_b
                                        ; -- End function
	.set _ZN9rocsparseL27csrmvn_symm_adaptive_kernelIllffffEEvbT_S1_PKS1_NS_24const_host_device_scalarIT4_EES3_PKT0_PKT1_PKT2_S6_PT3_21rocsparse_index_base_b.num_vgpr, 24
	.set _ZN9rocsparseL27csrmvn_symm_adaptive_kernelIllffffEEvbT_S1_PKS1_NS_24const_host_device_scalarIT4_EES3_PKT0_PKT1_PKT2_S6_PT3_21rocsparse_index_base_b.num_agpr, 0
	.set _ZN9rocsparseL27csrmvn_symm_adaptive_kernelIllffffEEvbT_S1_PKS1_NS_24const_host_device_scalarIT4_EES3_PKT0_PKT1_PKT2_S6_PT3_21rocsparse_index_base_b.numbered_sgpr, 52
	.set _ZN9rocsparseL27csrmvn_symm_adaptive_kernelIllffffEEvbT_S1_PKS1_NS_24const_host_device_scalarIT4_EES3_PKT0_PKT1_PKT2_S6_PT3_21rocsparse_index_base_b.num_named_barrier, 0
	.set _ZN9rocsparseL27csrmvn_symm_adaptive_kernelIllffffEEvbT_S1_PKS1_NS_24const_host_device_scalarIT4_EES3_PKT0_PKT1_PKT2_S6_PT3_21rocsparse_index_base_b.private_seg_size, 0
	.set _ZN9rocsparseL27csrmvn_symm_adaptive_kernelIllffffEEvbT_S1_PKS1_NS_24const_host_device_scalarIT4_EES3_PKT0_PKT1_PKT2_S6_PT3_21rocsparse_index_base_b.uses_vcc, 1
	.set _ZN9rocsparseL27csrmvn_symm_adaptive_kernelIllffffEEvbT_S1_PKS1_NS_24const_host_device_scalarIT4_EES3_PKT0_PKT1_PKT2_S6_PT3_21rocsparse_index_base_b.uses_flat_scratch, 0
	.set _ZN9rocsparseL27csrmvn_symm_adaptive_kernelIllffffEEvbT_S1_PKS1_NS_24const_host_device_scalarIT4_EES3_PKT0_PKT1_PKT2_S6_PT3_21rocsparse_index_base_b.has_dyn_sized_stack, 0
	.set _ZN9rocsparseL27csrmvn_symm_adaptive_kernelIllffffEEvbT_S1_PKS1_NS_24const_host_device_scalarIT4_EES3_PKT0_PKT1_PKT2_S6_PT3_21rocsparse_index_base_b.has_recursion, 0
	.set _ZN9rocsparseL27csrmvn_symm_adaptive_kernelIllffffEEvbT_S1_PKS1_NS_24const_host_device_scalarIT4_EES3_PKT0_PKT1_PKT2_S6_PT3_21rocsparse_index_base_b.has_indirect_call, 0
	.section	.AMDGPU.csdata,"",@progbits
; Kernel info:
; codeLenInByte = 7224
; TotalNumSgprs: 58
; NumVgprs: 24
; NumAgprs: 0
; TotalNumVgprs: 24
; ScratchSize: 0
; MemoryBound: 0
; FloatMode: 240
; IeeeMode: 1
; LDSByteSize: 4096 bytes/workgroup (compile time only)
; SGPRBlocks: 7
; VGPRBlocks: 2
; NumSGPRsForWavesPerEU: 58
; NumVGPRsForWavesPerEU: 24
; AccumOffset: 24
; Occupancy: 8
; WaveLimiterHint : 1
; COMPUTE_PGM_RSRC2:SCRATCH_EN: 0
; COMPUTE_PGM_RSRC2:USER_SGPR: 2
; COMPUTE_PGM_RSRC2:TRAP_HANDLER: 0
; COMPUTE_PGM_RSRC2:TGID_X_EN: 1
; COMPUTE_PGM_RSRC2:TGID_Y_EN: 0
; COMPUTE_PGM_RSRC2:TGID_Z_EN: 0
; COMPUTE_PGM_RSRC2:TIDIG_COMP_CNT: 0
; COMPUTE_PGM_RSRC3_GFX90A:ACCUM_OFFSET: 5
; COMPUTE_PGM_RSRC3_GFX90A:TG_SPLIT: 0
	.section	.text._ZL33csrmvn_symm_large_adaptive_kernelIllffffEvbT_PKS0_N9rocsparse24const_host_device_scalarIT4_EES2_PKT0_PKT1_PKT2_S6_PT3_21rocsparse_index_base_b,"axG",@progbits,_ZL33csrmvn_symm_large_adaptive_kernelIllffffEvbT_PKS0_N9rocsparse24const_host_device_scalarIT4_EES2_PKT0_PKT1_PKT2_S6_PT3_21rocsparse_index_base_b,comdat
	.globl	_ZL33csrmvn_symm_large_adaptive_kernelIllffffEvbT_PKS0_N9rocsparse24const_host_device_scalarIT4_EES2_PKT0_PKT1_PKT2_S6_PT3_21rocsparse_index_base_b ; -- Begin function _ZL33csrmvn_symm_large_adaptive_kernelIllffffEvbT_PKS0_N9rocsparse24const_host_device_scalarIT4_EES2_PKT0_PKT1_PKT2_S6_PT3_21rocsparse_index_base_b
	.p2align	8
	.type	_ZL33csrmvn_symm_large_adaptive_kernelIllffffEvbT_PKS0_N9rocsparse24const_host_device_scalarIT4_EES2_PKT0_PKT1_PKT2_S6_PT3_21rocsparse_index_base_b,@function
_ZL33csrmvn_symm_large_adaptive_kernelIllffffEvbT_PKS0_N9rocsparse24const_host_device_scalarIT4_EES2_PKT0_PKT1_PKT2_S6_PT3_21rocsparse_index_base_b: ; @_ZL33csrmvn_symm_large_adaptive_kernelIllffffEvbT_PKS0_N9rocsparse24const_host_device_scalarIT4_EES2_PKT0_PKT1_PKT2_S6_PT3_21rocsparse_index_base_b
; %bb.0:
	s_load_dwordx2 s[10:11], s[0:1], 0x50
	s_load_dwordx2 s[24:25], s[0:1], 0x18
	;; [unrolled: 1-line block ×3, first 2 shown]
	s_waitcnt lgkmcnt(0)
	s_bitcmp1_b32 s11, 0
	s_cselect_b64 s[8:9], -1, 0
	s_xor_b64 s[6:7], s[8:9], -1
	s_and_b64 vcc, exec, s[8:9]
	s_cbranch_vccnz .LBB10_2
; %bb.1:
	s_load_dword s24, s[24:25], 0x0
.LBB10_2:
	s_andn2_b64 vcc, exec, s[6:7]
	s_cbranch_vccnz .LBB10_4
; %bb.3:
	s_load_dword s4, s[4:5], 0x0
.LBB10_4:
	s_waitcnt lgkmcnt(0)
	v_cmp_neq_f32_e64 s[6:7], s24, 0
	v_cmp_neq_f32_e64 s[4:5], s4, 1.0
	s_or_b64 s[4:5], s[6:7], s[4:5]
	s_andn2_b64 vcc, exec, s[4:5]
	s_cbranch_vccnz .LBB10_34
; %bb.5:
	s_load_dwordx2 s[4:5], s[0:1], 0x10
	s_ashr_i32 s3, s2, 31
	s_lshl_b64 s[2:3], s[2:3], 3
	v_lshlrev_b32_e32 v10, 2, v0
	v_mov_b32_e32 v11, 0
	s_waitcnt lgkmcnt(0)
	s_add_u32 s2, s4, s2
	s_addc_u32 s3, s5, s3
	ds_write2st64_b32 v10, v11, v11 offset1:4
	ds_write2st64_b32 v10, v11, v11 offset0:8 offset1:12
	s_waitcnt lgkmcnt(0)
	s_barrier
	s_load_dwordx4 s[20:23], s[2:3], 0x0
	s_load_dwordx8 s[12:19], s[0:1], 0x20
	s_load_dwordx2 s[26:27], s[0:1], 0x48
	s_waitcnt lgkmcnt(0)
	v_mov_b64_e32 v[2:3], s[22:23]
	v_cmp_ge_i64_e32 vcc, s[20:21], v[2:3]
	v_subrev_co_u32_e64 v2, s[0:1], s10, v0
	s_nop 1
	v_subb_co_u32_e64 v3, s[0:1], 0, 0, s[0:1]
	s_cbranch_vccnz .LBB10_25
; %bb.6:
	s_movk_i32 s0, 0x100
	v_cmp_gt_u32_e64 s[0:1], s0, v0
	v_cmp_gt_u32_e64 s[2:3], 64, v0
	;; [unrolled: 1-line block ×4, first 2 shown]
	v_cmp_eq_u32_e64 s[8:9], 0, v0
	s_mov_b64 s[28:29], 0x100
	s_mov_b64 s[30:31], 0x800
	;; [unrolled: 1-line block ×3, first 2 shown]
	v_mov_b64_e32 v[0:1], s[22:23]
	s_mov_b64 s[36:37], s[20:21]
	s_branch .LBB10_8
.LBB10_7:                               ;   in Loop: Header=BB10_8 Depth=1
	s_or_b64 exec, exec, s[38:39]
	s_add_u32 s36, s36, 1
	s_addc_u32 s37, s37, 0
	v_cmp_ge_i64_e32 vcc, s[36:37], v[0:1]
	s_cbranch_vccnz .LBB10_25
.LBB10_8:                               ; =>This Loop Header: Depth=1
                                        ;     Child Loop BB10_10 Depth 2
	s_lshl_b64 s[38:39], s[36:37], 3
	s_add_u32 s38, s12, s38
	s_addc_u32 s39, s13, s39
	s_load_dwordx4 s[40:43], s[38:39], 0x0
	v_mov_b32_e32 v12, 0
	s_waitcnt lgkmcnt(0)
	s_sub_u32 s38, s42, s10
	v_lshl_add_u64 v[4:5], s[40:41], 0, v[2:3]
	s_subb_u32 s39, s43, 0
	v_cmp_gt_i64_e32 vcc, s[38:39], v[4:5]
	s_and_saveexec_b64 s[40:41], vcc
	s_cbranch_execz .LBB10_12
; %bb.9:                                ;   in Loop: Header=BB10_8 Depth=1
	v_lshl_add_u64 v[6:7], v[4:5], 3, s[14:15]
	v_lshl_add_u64 v[8:9], v[4:5], 2, s[16:17]
	v_mov_b32_e32 v12, 0
	s_mov_b64 s[42:43], 0
.LBB10_10:                              ;   Parent Loop BB10_8 Depth=1
                                        ; =>  This Inner Loop Header: Depth=2
	global_load_dwordx2 v[14:15], v[6:7], off
	global_load_dword v13, v[8:9], off
	v_lshl_add_u64 v[4:5], v[4:5], 0, s[28:29]
	v_lshl_add_u64 v[6:7], v[6:7], 0, s[30:31]
	v_lshl_add_u64 v[8:9], v[8:9], 0, s[34:35]
	s_waitcnt vmcnt(1)
	v_subrev_co_u32_e32 v14, vcc, s10, v14
	s_nop 1
	v_subbrev_co_u32_e32 v15, vcc, 0, v15, vcc
	v_lshl_add_u64 v[14:15], v[14:15], 2, s[18:19]
	global_load_dword v14, v[14:15], off
	v_cmp_le_i64_e32 vcc, s[38:39], v[4:5]
	s_or_b64 s[42:43], vcc, s[42:43]
	s_waitcnt vmcnt(0)
	v_fmac_f32_e32 v12, v13, v14
	s_andn2_b64 exec, exec, s[42:43]
	s_cbranch_execnz .LBB10_10
; %bb.11:                               ;   in Loop: Header=BB10_8 Depth=1
	s_or_b64 exec, exec, s[42:43]
.LBB10_12:                              ;   in Loop: Header=BB10_8 Depth=1
	s_or_b64 exec, exec, s[40:41]
	ds_write_b32 v10, v12
	s_waitcnt lgkmcnt(0)
	s_barrier
	s_and_saveexec_b64 s[38:39], s[0:1]
	s_cbranch_execz .LBB10_14
; %bb.13:                               ;   in Loop: Header=BB10_8 Depth=1
	ds_read2st64_b32 v[4:5], v10 offset1:4
	ds_read2st64_b32 v[6:7], v10 offset0:8 offset1:12
	s_waitcnt lgkmcnt(0)
	v_add_f32_e32 v5, v5, v6
	v_add_f32_e32 v5, v5, v7
	;; [unrolled: 1-line block ×3, first 2 shown]
	ds_write_b32 v10, v4
.LBB10_14:                              ;   in Loop: Header=BB10_8 Depth=1
	s_or_b64 exec, exec, s[38:39]
	s_waitcnt lgkmcnt(0)
	s_barrier
	s_and_saveexec_b64 s[38:39], s[2:3]
	s_cbranch_execz .LBB10_16
; %bb.15:                               ;   in Loop: Header=BB10_8 Depth=1
	ds_read2st64_b32 v[4:5], v10 offset1:1
	ds_read2st64_b32 v[6:7], v10 offset0:2 offset1:3
	s_waitcnt lgkmcnt(0)
	v_add_f32_e32 v5, v5, v6
	v_add_f32_e32 v5, v5, v7
	;; [unrolled: 1-line block ×3, first 2 shown]
	ds_write_b32 v10, v4
.LBB10_16:                              ;   in Loop: Header=BB10_8 Depth=1
	s_or_b64 exec, exec, s[38:39]
	s_waitcnt lgkmcnt(0)
	s_barrier
	s_and_saveexec_b64 s[38:39], s[4:5]
	s_cbranch_execz .LBB10_18
; %bb.17:                               ;   in Loop: Header=BB10_8 Depth=1
	ds_read2_b32 v[4:5], v10 offset1:16
	ds_read2_b32 v[6:7], v10 offset0:32 offset1:48
	s_waitcnt lgkmcnt(0)
	v_add_f32_e32 v5, v5, v6
	v_add_f32_e32 v5, v5, v7
	;; [unrolled: 1-line block ×3, first 2 shown]
	ds_write_b32 v10, v4
.LBB10_18:                              ;   in Loop: Header=BB10_8 Depth=1
	s_or_b64 exec, exec, s[38:39]
	s_waitcnt lgkmcnt(0)
	s_barrier
	s_and_saveexec_b64 s[38:39], s[6:7]
	s_cbranch_execz .LBB10_20
; %bb.19:                               ;   in Loop: Header=BB10_8 Depth=1
	ds_read2_b32 v[4:5], v10 offset1:4
	ds_read2_b32 v[6:7], v10 offset0:8 offset1:12
	s_waitcnt lgkmcnt(0)
	v_add_f32_e32 v5, v5, v6
	v_add_f32_e32 v5, v5, v7
	;; [unrolled: 1-line block ×3, first 2 shown]
	ds_write_b32 v10, v4
.LBB10_20:                              ;   in Loop: Header=BB10_8 Depth=1
	s_or_b64 exec, exec, s[38:39]
	s_waitcnt lgkmcnt(0)
	s_barrier
	s_and_saveexec_b64 s[38:39], s[8:9]
	s_cbranch_execz .LBB10_22
; %bb.21:                               ;   in Loop: Header=BB10_8 Depth=1
	ds_read2_b32 v[4:5], v11 offset0:1 offset1:2
	ds_read_b32 v6, v11 offset:12
	ds_read_b32 v7, v10
	s_waitcnt lgkmcnt(2)
	v_add_f32_e32 v4, v4, v5
	s_waitcnt lgkmcnt(1)
	v_add_f32_e32 v4, v4, v6
	;; [unrolled: 2-line block ×3, first 2 shown]
	ds_write_b32 v10, v4
.LBB10_22:                              ;   in Loop: Header=BB10_8 Depth=1
	s_or_b64 exec, exec, s[38:39]
	s_waitcnt lgkmcnt(0)
	s_barrier
	s_and_saveexec_b64 s[38:39], s[8:9]
	s_cbranch_execz .LBB10_7
; %bb.23:                               ;   in Loop: Header=BB10_8 Depth=1
	s_mov_b64 s[40:41], exec
	v_mbcnt_lo_u32_b32 v4, s40, 0
	v_mbcnt_hi_u32_b32 v4, s41, v4
	v_cmp_eq_u32_e32 vcc, 0, v4
	s_and_b64 s[42:43], exec, vcc
	s_mov_b64 exec, s[42:43]
	s_cbranch_execz .LBB10_7
; %bb.24:                               ;   in Loop: Header=BB10_8 Depth=1
	ds_read_b32 v4, v11
	s_lshl_b64 s[42:43], s[36:37], 2
	s_add_u32 s42, s26, s42
	s_addc_u32 s43, s27, s43
	s_bcnt1_i32_b64 s11, s[40:41]
	s_waitcnt lgkmcnt(0)
	v_mul_f32_e32 v4, s24, v4
	v_cvt_f32_ubyte0_e32 v5, s11
	v_mul_f32_e32 v4, v4, v5
	global_atomic_add_f32 v11, v4, s[42:43]
	s_branch .LBB10_7
.LBB10_25:
	s_lshl_b64 s[0:1], s[20:21], 3
	s_add_u32 s0, s12, s0
	s_addc_u32 s1, s13, s1
	s_lshl_b64 s[2:3], s[22:23], 3
	s_add_u32 s2, s12, s2
	s_addc_u32 s3, s13, s3
	s_load_dwordx2 s[4:5], s[2:3], 0x0
	s_load_dwordx2 s[6:7], s[0:1], 0x0
	s_waitcnt lgkmcnt(0)
	s_sub_u32 s4, s4, s10
	s_subb_u32 s5, s5, 0
	v_lshl_add_u64 v[0:1], s[6:7], 0, v[2:3]
	v_cmp_gt_i64_e32 vcc, s[4:5], v[0:1]
	s_and_saveexec_b64 s[0:1], vcc
	s_cbranch_execz .LBB10_34
; %bb.26:
	s_add_u32 s6, s22, -1
	s_addc_u32 s7, s23, -1
	s_add_u32 s0, s22, -2
	s_addc_u32 s1, s23, -1
	v_mov_b64_e32 v[2:3], s[6:7]
	s_cmp_lg_u64 s[20:21], s[0:1]
	v_cmp_lt_i64_e32 vcc, s[20:21], v[2:3]
	s_cselect_b64 s[0:1], -1, 0
	s_and_b64 s[0:1], vcc, s[0:1]
	v_cndmask_b32_e64 v2, 0, 1, s[0:1]
	s_mov_b64 s[8:9], 0
	v_cmp_ne_u32_e64 s[0:1], 1, v2
	v_mov_b32_e32 v3, 0
	s_mov_b64 s[22:23], 0x100
	s_branch .LBB10_28
.LBB10_27:                              ;   in Loop: Header=BB10_28 Depth=1
	s_or_b64 exec, exec, s[2:3]
	v_lshl_add_u64 v[0:1], v[0:1], 0, s[22:23]
	v_cmp_le_i64_e32 vcc, s[4:5], v[0:1]
	s_or_b64 s[8:9], vcc, s[8:9]
	s_andn2_b64 exec, exec, s[8:9]
	s_cbranch_execz .LBB10_34
.LBB10_28:                              ; =>This Loop Header: Depth=1
                                        ;     Child Loop BB10_30 Depth 2
	s_and_b64 vcc, exec, s[0:1]
	v_mov_b64_e32 v[4:5], s[20:21]
	v_mov_b64_e32 v[6:7], s[6:7]
	s_cbranch_vccnz .LBB10_32
; %bb.29:                               ;   in Loop: Header=BB10_28 Depth=1
	s_mov_b64 s[28:29], 0
	v_mov_b64_e32 v[4:5], s[20:21]
	v_mov_b64_e32 v[6:7], s[6:7]
.LBB10_30:                              ;   Parent Loop BB10_28 Depth=1
                                        ; =>  This Inner Loop Header: Depth=2
	v_lshl_add_u64 v[8:9], v[6:7], 0, v[4:5]
	v_lshrrev_b32_e32 v2, 31, v9
	v_lshl_add_u64 v[8:9], v[8:9], 0, v[2:3]
	v_ashrrev_i64 v[8:9], 1, v[8:9]
	v_lshl_add_u64 v[10:11], v[8:9], 3, s[12:13]
	global_load_dwordx2 v[10:11], v[10:11], off
	s_waitcnt vmcnt(0)
	v_subrev_co_u32_e32 v10, vcc, s10, v10
	s_nop 1
	v_subbrev_co_u32_e32 v11, vcc, 0, v11, vcc
	v_cmp_lt_i64_e32 vcc, v[0:1], v[10:11]
	s_nop 1
	v_cndmask_b32_e32 v7, v7, v9, vcc
	v_cndmask_b32_e32 v6, v6, v8, vcc
	;; [unrolled: 1-line block ×4, first 2 shown]
	v_lshl_add_u64 v[8:9], v[6:7], 0, -1
	v_cmp_ge_i64_e32 vcc, v[4:5], v[6:7]
	v_cmp_eq_u64_e64 s[2:3], v[4:5], v[8:9]
	s_or_b64 s[2:3], vcc, s[2:3]
	s_and_b64 s[2:3], exec, s[2:3]
	s_or_b64 s[28:29], s[2:3], s[28:29]
	s_andn2_b64 exec, exec, s[28:29]
	s_cbranch_execnz .LBB10_30
; %bb.31:                               ;   in Loop: Header=BB10_28 Depth=1
	s_or_b64 exec, exec, s[28:29]
.LBB10_32:                              ;   in Loop: Header=BB10_28 Depth=1
	v_lshl_add_u64 v[8:9], v[6:7], 3, s[12:13]
	global_load_dwordx2 v[8:9], v[8:9], off
	v_lshl_add_u64 v[10:11], v[0:1], 3, s[14:15]
	global_load_dwordx2 v[10:11], v[10:11], off
	s_waitcnt vmcnt(1)
	v_subrev_co_u32_e32 v8, vcc, s10, v8
	s_nop 1
	v_subbrev_co_u32_e32 v9, vcc, 0, v9, vcc
	v_cmp_lt_i64_e32 vcc, v[0:1], v[8:9]
	s_nop 1
	v_cndmask_b32_e32 v7, v7, v5, vcc
	v_cndmask_b32_e32 v6, v6, v4, vcc
	s_waitcnt vmcnt(0)
	v_subrev_co_u32_e32 v4, vcc, s10, v10
	s_nop 1
	v_subbrev_co_u32_e32 v5, vcc, 0, v11, vcc
	v_cmp_ne_u64_e32 vcc, v[4:5], v[6:7]
	s_and_saveexec_b64 s[2:3], vcc
	s_cbranch_execz .LBB10_27
; %bb.33:                               ;   in Loop: Header=BB10_28 Depth=1
	v_lshl_add_u64 v[8:9], v[0:1], 2, s[16:17]
	global_load_dword v2, v[8:9], off
	v_lshl_add_u64 v[6:7], v[6:7], 2, s[18:19]
	global_load_dword v6, v[6:7], off
	v_lshl_add_u64 v[4:5], v[4:5], 2, s[26:27]
	s_waitcnt vmcnt(1)
	v_mul_f32_e32 v2, s24, v2
	s_waitcnt vmcnt(0)
	v_mul_f32_e32 v2, v2, v6
	global_atomic_add_f32 v[4:5], v2, off
	s_branch .LBB10_27
.LBB10_34:
	s_endpgm
	.section	.rodata,"a",@progbits
	.p2align	6, 0x0
	.amdhsa_kernel _ZL33csrmvn_symm_large_adaptive_kernelIllffffEvbT_PKS0_N9rocsparse24const_host_device_scalarIT4_EES2_PKT0_PKT1_PKT2_S6_PT3_21rocsparse_index_base_b
		.amdhsa_group_segment_fixed_size 4096
		.amdhsa_private_segment_fixed_size 0
		.amdhsa_kernarg_size 88
		.amdhsa_user_sgpr_count 2
		.amdhsa_user_sgpr_dispatch_ptr 0
		.amdhsa_user_sgpr_queue_ptr 0
		.amdhsa_user_sgpr_kernarg_segment_ptr 1
		.amdhsa_user_sgpr_dispatch_id 0
		.amdhsa_user_sgpr_kernarg_preload_length 0
		.amdhsa_user_sgpr_kernarg_preload_offset 0
		.amdhsa_user_sgpr_private_segment_size 0
		.amdhsa_uses_dynamic_stack 0
		.amdhsa_enable_private_segment 0
		.amdhsa_system_sgpr_workgroup_id_x 1
		.amdhsa_system_sgpr_workgroup_id_y 0
		.amdhsa_system_sgpr_workgroup_id_z 0
		.amdhsa_system_sgpr_workgroup_info 0
		.amdhsa_system_vgpr_workitem_id 0
		.amdhsa_next_free_vgpr 16
		.amdhsa_next_free_sgpr 44
		.amdhsa_accum_offset 16
		.amdhsa_reserve_vcc 1
		.amdhsa_float_round_mode_32 0
		.amdhsa_float_round_mode_16_64 0
		.amdhsa_float_denorm_mode_32 3
		.amdhsa_float_denorm_mode_16_64 3
		.amdhsa_dx10_clamp 1
		.amdhsa_ieee_mode 1
		.amdhsa_fp16_overflow 0
		.amdhsa_tg_split 0
		.amdhsa_exception_fp_ieee_invalid_op 0
		.amdhsa_exception_fp_denorm_src 0
		.amdhsa_exception_fp_ieee_div_zero 0
		.amdhsa_exception_fp_ieee_overflow 0
		.amdhsa_exception_fp_ieee_underflow 0
		.amdhsa_exception_fp_ieee_inexact 0
		.amdhsa_exception_int_div_zero 0
	.end_amdhsa_kernel
	.section	.text._ZL33csrmvn_symm_large_adaptive_kernelIllffffEvbT_PKS0_N9rocsparse24const_host_device_scalarIT4_EES2_PKT0_PKT1_PKT2_S6_PT3_21rocsparse_index_base_b,"axG",@progbits,_ZL33csrmvn_symm_large_adaptive_kernelIllffffEvbT_PKS0_N9rocsparse24const_host_device_scalarIT4_EES2_PKT0_PKT1_PKT2_S6_PT3_21rocsparse_index_base_b,comdat
.Lfunc_end10:
	.size	_ZL33csrmvn_symm_large_adaptive_kernelIllffffEvbT_PKS0_N9rocsparse24const_host_device_scalarIT4_EES2_PKT0_PKT1_PKT2_S6_PT3_21rocsparse_index_base_b, .Lfunc_end10-_ZL33csrmvn_symm_large_adaptive_kernelIllffffEvbT_PKS0_N9rocsparse24const_host_device_scalarIT4_EES2_PKT0_PKT1_PKT2_S6_PT3_21rocsparse_index_base_b
                                        ; -- End function
	.set _ZL33csrmvn_symm_large_adaptive_kernelIllffffEvbT_PKS0_N9rocsparse24const_host_device_scalarIT4_EES2_PKT0_PKT1_PKT2_S6_PT3_21rocsparse_index_base_b.num_vgpr, 16
	.set _ZL33csrmvn_symm_large_adaptive_kernelIllffffEvbT_PKS0_N9rocsparse24const_host_device_scalarIT4_EES2_PKT0_PKT1_PKT2_S6_PT3_21rocsparse_index_base_b.num_agpr, 0
	.set _ZL33csrmvn_symm_large_adaptive_kernelIllffffEvbT_PKS0_N9rocsparse24const_host_device_scalarIT4_EES2_PKT0_PKT1_PKT2_S6_PT3_21rocsparse_index_base_b.numbered_sgpr, 44
	.set _ZL33csrmvn_symm_large_adaptive_kernelIllffffEvbT_PKS0_N9rocsparse24const_host_device_scalarIT4_EES2_PKT0_PKT1_PKT2_S6_PT3_21rocsparse_index_base_b.num_named_barrier, 0
	.set _ZL33csrmvn_symm_large_adaptive_kernelIllffffEvbT_PKS0_N9rocsparse24const_host_device_scalarIT4_EES2_PKT0_PKT1_PKT2_S6_PT3_21rocsparse_index_base_b.private_seg_size, 0
	.set _ZL33csrmvn_symm_large_adaptive_kernelIllffffEvbT_PKS0_N9rocsparse24const_host_device_scalarIT4_EES2_PKT0_PKT1_PKT2_S6_PT3_21rocsparse_index_base_b.uses_vcc, 1
	.set _ZL33csrmvn_symm_large_adaptive_kernelIllffffEvbT_PKS0_N9rocsparse24const_host_device_scalarIT4_EES2_PKT0_PKT1_PKT2_S6_PT3_21rocsparse_index_base_b.uses_flat_scratch, 0
	.set _ZL33csrmvn_symm_large_adaptive_kernelIllffffEvbT_PKS0_N9rocsparse24const_host_device_scalarIT4_EES2_PKT0_PKT1_PKT2_S6_PT3_21rocsparse_index_base_b.has_dyn_sized_stack, 0
	.set _ZL33csrmvn_symm_large_adaptive_kernelIllffffEvbT_PKS0_N9rocsparse24const_host_device_scalarIT4_EES2_PKT0_PKT1_PKT2_S6_PT3_21rocsparse_index_base_b.has_recursion, 0
	.set _ZL33csrmvn_symm_large_adaptive_kernelIllffffEvbT_PKS0_N9rocsparse24const_host_device_scalarIT4_EES2_PKT0_PKT1_PKT2_S6_PT3_21rocsparse_index_base_b.has_indirect_call, 0
	.section	.AMDGPU.csdata,"",@progbits
; Kernel info:
; codeLenInByte = 1428
; TotalNumSgprs: 50
; NumVgprs: 16
; NumAgprs: 0
; TotalNumVgprs: 16
; ScratchSize: 0
; MemoryBound: 0
; FloatMode: 240
; IeeeMode: 1
; LDSByteSize: 4096 bytes/workgroup (compile time only)
; SGPRBlocks: 6
; VGPRBlocks: 1
; NumSGPRsForWavesPerEU: 50
; NumVGPRsForWavesPerEU: 16
; AccumOffset: 16
; Occupancy: 8
; WaveLimiterHint : 1
; COMPUTE_PGM_RSRC2:SCRATCH_EN: 0
; COMPUTE_PGM_RSRC2:USER_SGPR: 2
; COMPUTE_PGM_RSRC2:TRAP_HANDLER: 0
; COMPUTE_PGM_RSRC2:TGID_X_EN: 1
; COMPUTE_PGM_RSRC2:TGID_Y_EN: 0
; COMPUTE_PGM_RSRC2:TGID_Z_EN: 0
; COMPUTE_PGM_RSRC2:TIDIG_COMP_CNT: 0
; COMPUTE_PGM_RSRC3_GFX90A:ACCUM_OFFSET: 3
; COMPUTE_PGM_RSRC3_GFX90A:TG_SPLIT: 0
	.section	.text._ZN9rocsparseL22csrmvn_adaptive_kernelIiiddddEEvbT_PKS1_PjPKT0_NS_24const_host_device_scalarIT4_EES3_S7_PKT1_PKT2_SA_PT3_21rocsparse_index_base_b,"axG",@progbits,_ZN9rocsparseL22csrmvn_adaptive_kernelIiiddddEEvbT_PKS1_PjPKT0_NS_24const_host_device_scalarIT4_EES3_S7_PKT1_PKT2_SA_PT3_21rocsparse_index_base_b,comdat
	.globl	_ZN9rocsparseL22csrmvn_adaptive_kernelIiiddddEEvbT_PKS1_PjPKT0_NS_24const_host_device_scalarIT4_EES3_S7_PKT1_PKT2_SA_PT3_21rocsparse_index_base_b ; -- Begin function _ZN9rocsparseL22csrmvn_adaptive_kernelIiiddddEEvbT_PKS1_PjPKT0_NS_24const_host_device_scalarIT4_EES3_S7_PKT1_PKT2_SA_PT3_21rocsparse_index_base_b
	.p2align	8
	.type	_ZN9rocsparseL22csrmvn_adaptive_kernelIiiddddEEvbT_PKS1_PjPKT0_NS_24const_host_device_scalarIT4_EES3_S7_PKT1_PKT2_SA_PT3_21rocsparse_index_base_b,@function
_ZN9rocsparseL22csrmvn_adaptive_kernelIiiddddEEvbT_PKS1_PjPKT0_NS_24const_host_device_scalarIT4_EES3_S7_PKT1_PKT2_SA_PT3_21rocsparse_index_base_b: ; @_ZN9rocsparseL22csrmvn_adaptive_kernelIiiddddEEvbT_PKS1_PjPKT0_NS_24const_host_device_scalarIT4_EES3_S7_PKT1_PKT2_SA_PT3_21rocsparse_index_base_b
; %bb.0:
	s_load_dwordx2 s[38:39], s[0:1], 0x58
	s_load_dwordx2 s[8:9], s[0:1], 0x20
	s_load_dwordx2 s[4:5], s[0:1], 0x48
	s_waitcnt lgkmcnt(0)
	s_bitcmp1_b32 s39, 0
	s_cselect_b64 s[10:11], -1, 0
	s_xor_b64 s[6:7], s[10:11], -1
	s_and_b64 vcc, exec, s[10:11]
	v_mov_b64_e32 v[4:5], s[8:9]
	s_cbranch_vccnz .LBB11_2
; %bb.1:
	v_mov_b64_e32 v[2:3], s[8:9]
	flat_load_dwordx2 v[4:5], v[2:3]
.LBB11_2:
	s_andn2_b64 vcc, exec, s[6:7]
	v_mov_b64_e32 v[2:3], s[4:5]
	s_cbranch_vccnz .LBB11_4
; %bb.3:
	v_mov_b64_e32 v[2:3], s[4:5]
	flat_load_dwordx2 v[2:3], v[2:3]
.LBB11_4:
	s_waitcnt vmcnt(0) lgkmcnt(0)
	v_cmp_neq_f64_e32 vcc, 0, v[4:5]
	v_cmp_neq_f64_e64 s[4:5], 1.0, v[2:3]
	s_or_b64 s[4:5], vcc, s[4:5]
	s_and_saveexec_b64 s[6:7], s[4:5]
	s_cbranch_execz .LBB11_114
; %bb.5:
	s_load_dwordx2 s[4:5], s[0:1], 0x8
	s_load_dwordx2 s[6:7], s[0:1], 0x18
	s_ashr_i32 s3, s2, 31
	s_lshl_b64 s[42:43], s[2:3], 2
	s_waitcnt lgkmcnt(0)
	s_add_u32 s4, s4, s42
	s_addc_u32 s5, s5, s43
	s_load_dwordx2 s[34:35], s[4:5], 0x0
	s_load_dwordx2 s[22:23], s[0:1], 0x50
	s_load_dwordx8 s[24:31], s[0:1], 0x28
	s_waitcnt lgkmcnt(0)
	s_sub_i32 s3, s35, s34
	s_add_u32 s4, s6, s42
	s_mov_b32 s40, s34
	s_addc_u32 s5, s7, s43
	s_ashr_i32 s41, s34, 31
	s_load_dword s33, s[4:5], 0x0
	s_lshl_b64 s[4:5], s[40:41], 2
	s_add_u32 s36, s24, s4
	s_addc_u32 s37, s25, s5
	s_load_dword s39, s[36:37], 0x0
	s_cmp_lt_i32 s3, 2
	s_mov_b64 s[4:5], -1
	s_cbranch_scc0 .LBB11_70
; %bb.6:
	s_cmp_lg_u32 s3, 1
	s_cselect_b64 s[4:5], -1, 0
	s_waitcnt lgkmcnt(0)
	s_cmp_lg_u32 s33, 0
	s_cselect_b64 s[6:7], -1, 0
	s_or_b64 s[4:5], s[4:5], s[6:7]
	s_mov_b64 s[18:19], -1
	s_and_b64 vcc, exec, s[4:5]
	v_cmp_gt_u32_e64 s[4:5], 64, v0
	v_cmp_gt_u32_e64 s[6:7], 32, v0
	;; [unrolled: 1-line block ×6, first 2 shown]
	v_cmp_eq_u32_e64 s[16:17], 0, v0
	s_cbranch_vccnz .LBB11_34
; %bb.7:
	s_movk_i32 s3, 0x80
	v_subrev_u32_e32 v1, s38, v0
	v_lshlrev_b32_e32 v14, 3, v0
	v_cmp_gt_u32_e32 vcc, s3, v0
	v_cmp_neq_f64_e64 s[18:19], 0, v[2:3]
	s_mov_b64 s[44:45], 0x800
	s_mov_b64 s[46:47], 0x400
	v_mov_b32_e32 v15, 0
	s_mov_b32 s48, s34
	s_branch .LBB11_10
.LBB11_8:                               ;   in Loop: Header=BB11_10 Depth=1
	s_or_b64 exec, exec, s[50:51]
	s_lshl_b64 s[50:51], s[48:49], 3
	s_add_u32 s50, s22, s50
	s_addc_u32 s51, s23, s51
	s_waitcnt lgkmcnt(0)
	global_store_dwordx2 v15, v[6:7], s[50:51]
.LBB11_9:                               ;   in Loop: Header=BB11_10 Depth=1
	s_or_b64 exec, exec, s[20:21]
	s_add_i32 s48, s48, 1
	s_cmp_ge_i32 s48, s35
	s_cbranch_scc1 .LBB11_33
.LBB11_10:                              ; =>This Loop Header: Depth=1
                                        ;     Child Loop BB11_12 Depth 2
	s_ashr_i32 s49, s48, 31
	s_lshl_b64 s[20:21], s[48:49], 2
	s_add_u32 s20, s24, s20
	s_addc_u32 s21, s25, s21
	s_load_dwordx2 s[50:51], s[20:21], 0x0
	v_mov_b64_e32 v[6:7], 0
	s_waitcnt lgkmcnt(0)
	s_sub_i32 s3, s51, s38
	v_add_u32_e32 v8, s50, v1
	v_cmp_gt_i32_e64 s[20:21], s3, v8
	s_and_saveexec_b64 s[50:51], s[20:21]
	s_cbranch_execz .LBB11_14
; %bb.11:                               ;   in Loop: Header=BB11_10 Depth=1
	v_ashrrev_i32_e32 v9, 31, v8
	v_lshl_add_u64 v[10:11], v[8:9], 3, s[28:29]
	v_lshl_add_u64 v[12:13], v[8:9], 2, s[26:27]
	v_mov_b64_e32 v[6:7], 0
	s_mov_b64 s[52:53], 0
.LBB11_12:                              ;   Parent Loop BB11_10 Depth=1
                                        ; =>  This Inner Loop Header: Depth=2
	global_load_dword v9, v[12:13], off
	global_load_dwordx2 v[16:17], v[10:11], off
	v_add_u32_e32 v8, 0x100, v8
	v_cmp_le_i32_e64 s[20:21], s3, v8
	v_lshl_add_u64 v[10:11], v[10:11], 0, s[44:45]
	v_lshl_add_u64 v[12:13], v[12:13], 0, s[46:47]
	s_or_b64 s[52:53], s[20:21], s[52:53]
	s_waitcnt vmcnt(1)
	v_subrev_u32_e32 v18, s38, v9
	v_ashrrev_i32_e32 v19, 31, v18
	v_lshl_add_u64 v[18:19], v[18:19], 3, s[30:31]
	global_load_dwordx2 v[18:19], v[18:19], off
	s_waitcnt vmcnt(1)
	v_mul_f64 v[16:17], v[4:5], v[16:17]
	s_waitcnt vmcnt(0)
	v_fmac_f64_e32 v[6:7], v[16:17], v[18:19]
	s_andn2_b64 exec, exec, s[52:53]
	s_cbranch_execnz .LBB11_12
; %bb.13:                               ;   in Loop: Header=BB11_10 Depth=1
	s_or_b64 exec, exec, s[52:53]
.LBB11_14:                              ;   in Loop: Header=BB11_10 Depth=1
	s_or_b64 exec, exec, s[50:51]
	ds_write_b64 v14, v[6:7]
	s_waitcnt lgkmcnt(0)
	s_barrier
	s_and_saveexec_b64 s[20:21], vcc
	s_cbranch_execz .LBB11_16
; %bb.15:                               ;   in Loop: Header=BB11_10 Depth=1
	ds_read2st64_b64 v[6:9], v14 offset1:2
	s_waitcnt lgkmcnt(0)
	v_add_f64 v[6:7], v[6:7], v[8:9]
	ds_write_b64 v14, v[6:7]
.LBB11_16:                              ;   in Loop: Header=BB11_10 Depth=1
	s_or_b64 exec, exec, s[20:21]
	s_waitcnt lgkmcnt(0)
	s_barrier
	s_and_saveexec_b64 s[20:21], s[4:5]
	s_cbranch_execz .LBB11_18
; %bb.17:                               ;   in Loop: Header=BB11_10 Depth=1
	ds_read2st64_b64 v[6:9], v14 offset1:1
	s_waitcnt lgkmcnt(0)
	v_add_f64 v[6:7], v[6:7], v[8:9]
	ds_write_b64 v14, v[6:7]
.LBB11_18:                              ;   in Loop: Header=BB11_10 Depth=1
	s_or_b64 exec, exec, s[20:21]
	s_waitcnt lgkmcnt(0)
	s_barrier
	s_and_saveexec_b64 s[20:21], s[6:7]
	s_cbranch_execz .LBB11_20
; %bb.19:                               ;   in Loop: Header=BB11_10 Depth=1
	ds_read2_b64 v[6:9], v14 offset1:32
	s_waitcnt lgkmcnt(0)
	v_add_f64 v[6:7], v[6:7], v[8:9]
	ds_write_b64 v14, v[6:7]
.LBB11_20:                              ;   in Loop: Header=BB11_10 Depth=1
	s_or_b64 exec, exec, s[20:21]
	s_waitcnt lgkmcnt(0)
	s_barrier
	s_and_saveexec_b64 s[20:21], s[8:9]
	s_cbranch_execz .LBB11_22
; %bb.21:                               ;   in Loop: Header=BB11_10 Depth=1
	ds_read2_b64 v[6:9], v14 offset1:16
	s_waitcnt lgkmcnt(0)
	v_add_f64 v[6:7], v[6:7], v[8:9]
	ds_write_b64 v14, v[6:7]
.LBB11_22:                              ;   in Loop: Header=BB11_10 Depth=1
	;; [unrolled: 11-line block ×5, first 2 shown]
	s_or_b64 exec, exec, s[20:21]
	s_waitcnt lgkmcnt(0)
	s_barrier
	s_and_saveexec_b64 s[20:21], s[16:17]
	s_cbranch_execz .LBB11_30
; %bb.29:                               ;   in Loop: Header=BB11_10 Depth=1
	ds_read_b128 v[6:9], v15
	s_waitcnt lgkmcnt(0)
	v_add_f64 v[6:7], v[6:7], v[8:9]
	ds_write_b64 v15, v[6:7]
.LBB11_30:                              ;   in Loop: Header=BB11_10 Depth=1
	s_or_b64 exec, exec, s[20:21]
	s_waitcnt lgkmcnt(0)
	s_barrier
	s_and_saveexec_b64 s[20:21], s[16:17]
	s_cbranch_execz .LBB11_9
; %bb.31:                               ;   in Loop: Header=BB11_10 Depth=1
	ds_read_b64 v[6:7], v15
	s_and_saveexec_b64 s[50:51], s[18:19]
	s_cbranch_execz .LBB11_8
; %bb.32:                               ;   in Loop: Header=BB11_10 Depth=1
	s_lshl_b64 s[52:53], s[48:49], 3
	s_add_u32 s52, s22, s52
	s_addc_u32 s53, s23, s53
	global_load_dwordx2 v[8:9], v15, s[52:53]
	s_waitcnt vmcnt(0) lgkmcnt(0)
	v_fmac_f64_e32 v[6:7], v[2:3], v[8:9]
	s_branch .LBB11_8
.LBB11_33:
	s_mov_b64 s[18:19], 0
.LBB11_34:
	s_and_b64 vcc, exec, s[18:19]
	s_cbranch_vccz .LBB11_69
; %bb.35:
	s_load_dwordx2 s[4:5], s[0:1], 0x10
	s_sub_i32 s6, s2, s33
	v_mov_b32_e32 v8, 0
	v_or_b32_e32 v6, s33, v0
	v_cmp_eq_u32_e32 vcc, 0, v6
	s_waitcnt lgkmcnt(0)
	s_add_u32 s2, s4, s42
	s_addc_u32 s3, s5, s43
	global_load_dword v1, v8, s[2:3]
	v_mov_b64_e32 v[6:7], 0
	s_and_saveexec_b64 s[8:9], vcc
	s_cbranch_execz .LBB11_39
; %bb.36:
	s_lshl_b64 s[12:13], s[40:41], 3
	s_add_u32 s12, s22, s12
	s_addc_u32 s13, s23, s13
	global_load_dwordx2 v[6:7], v8, s[12:13]
	s_mov_b64 s[10:11], exec
	v_mbcnt_lo_u32_b32 v10, s10, 0
	v_mbcnt_hi_u32_b32 v10, s11, v10
	v_add_f64 v[8:9], v[2:3], -1.0
	v_cmp_eq_u32_e32 vcc, 0, v10
	s_waitcnt vmcnt(0) expcnt(0) lgkmcnt(0)
	s_and_saveexec_b64 s[12:13], vcc
	s_cbranch_execz .LBB11_38
; %bb.37:
	s_ashr_i32 s7, s6, 31
	s_lshl_b64 s[14:15], s[6:7], 2
	s_add_u32 s14, s4, s14
	s_addc_u32 s15, s5, s15
	s_bcnt1_i32_b64 s7, s[10:11]
	s_and_b32 s7, s7, 1
	v_mov_b32_e32 v10, 0
	v_mov_b32_e32 v11, s7
	global_atomic_xor v10, v11, s[14:15]
.LBB11_38:
	s_or_b64 exec, exec, s[12:13]
	v_mul_f64 v[6:7], v[8:9], v[6:7]
.LBB11_39:
	s_or_b64 exec, exec, s[8:9]
	s_load_dword s8, s[36:37], 0x4
	s_mul_i32 s7, s33, 0xc00
	s_sub_i32 s9, s39, s38
	s_add_i32 s7, s9, s7
	v_add_u32_e32 v8, s7, v0
	s_waitcnt lgkmcnt(0)
	s_sub_i32 s10, s8, s38
	v_cmp_gt_i32_e32 vcc, s10, v8
	s_and_saveexec_b64 s[8:9], vcc
	s_cbranch_execz .LBB11_43
; %bb.40:
	s_addk_i32 s7, 0xc00
	v_ashrrev_i32_e32 v9, 31, v8
	s_min_i32 s7, s7, s10
	v_lshl_add_u64 v[10:11], v[8:9], 3, s[28:29]
	v_lshl_add_u64 v[12:13], v[8:9], 2, s[26:27]
	s_mov_b64 s[10:11], 0
	s_mov_b64 s[12:13], 0x800
	;; [unrolled: 1-line block ×3, first 2 shown]
.LBB11_41:                              ; =>This Inner Loop Header: Depth=1
	global_load_dword v9, v[12:13], off
	global_load_dwordx2 v[14:15], v[10:11], off
	v_add_u32_e32 v8, 0x100, v8
	v_cmp_le_i32_e32 vcc, s7, v8
	v_lshl_add_u64 v[10:11], v[10:11], 0, s[12:13]
	v_lshl_add_u64 v[12:13], v[12:13], 0, s[14:15]
	s_or_b64 s[10:11], vcc, s[10:11]
	s_waitcnt vmcnt(1)
	v_subrev_u32_e32 v16, s38, v9
	v_ashrrev_i32_e32 v17, 31, v16
	v_lshl_add_u64 v[16:17], v[16:17], 3, s[30:31]
	global_load_dwordx2 v[16:17], v[16:17], off
	s_waitcnt vmcnt(1)
	v_mul_f64 v[14:15], v[4:5], v[14:15]
	s_waitcnt vmcnt(0)
	v_fmac_f64_e32 v[6:7], v[14:15], v[16:17]
	s_andn2_b64 exec, exec, s[10:11]
	s_cbranch_execnz .LBB11_41
; %bb.42:
	s_or_b64 exec, exec, s[10:11]
.LBB11_43:
	s_or_b64 exec, exec, s[8:9]
	s_movk_i32 s7, 0x80
	v_lshlrev_b32_e32 v8, 3, v0
	v_cmp_gt_u32_e32 vcc, s7, v0
	ds_write_b64 v8, v[6:7]
	s_waitcnt lgkmcnt(0)
	s_barrier
	s_and_saveexec_b64 s[8:9], vcc
	s_cbranch_execz .LBB11_45
; %bb.44:
	ds_read2st64_b64 v[10:13], v8 offset1:2
	s_waitcnt lgkmcnt(0)
	v_add_f64 v[6:7], v[10:11], v[12:13]
	ds_write_b64 v8, v[6:7]
.LBB11_45:
	s_or_b64 exec, exec, s[8:9]
	v_cmp_gt_u32_e32 vcc, 64, v0
	s_waitcnt lgkmcnt(0)
	s_barrier
	s_and_saveexec_b64 s[8:9], vcc
	s_cbranch_execz .LBB11_47
; %bb.46:
	ds_read2st64_b64 v[10:13], v8 offset1:1
	s_waitcnt lgkmcnt(0)
	v_add_f64 v[6:7], v[10:11], v[12:13]
	ds_write_b64 v8, v[6:7]
.LBB11_47:
	s_or_b64 exec, exec, s[8:9]
	v_cmp_gt_u32_e32 vcc, 32, v0
	s_waitcnt lgkmcnt(0)
	s_barrier
	s_and_saveexec_b64 s[8:9], vcc
	s_cbranch_execz .LBB11_49
; %bb.48:
	ds_read2_b64 v[10:13], v8 offset1:32
	s_waitcnt lgkmcnt(0)
	v_add_f64 v[6:7], v[10:11], v[12:13]
	ds_write_b64 v8, v[6:7]
.LBB11_49:
	s_or_b64 exec, exec, s[8:9]
	v_cmp_gt_u32_e32 vcc, 16, v0
	s_waitcnt lgkmcnt(0)
	s_barrier
	s_and_saveexec_b64 s[8:9], vcc
	s_cbranch_execz .LBB11_51
; %bb.50:
	ds_read2_b64 v[10:13], v8 offset1:16
	s_waitcnt lgkmcnt(0)
	v_add_f64 v[6:7], v[10:11], v[12:13]
	ds_write_b64 v8, v[6:7]
.LBB11_51:
	;; [unrolled: 12-line block ×5, first 2 shown]
	s_or_b64 exec, exec, s[8:9]
	v_cmp_eq_u32_e32 vcc, 0, v0
	s_waitcnt lgkmcnt(0)
	s_barrier
	s_and_saveexec_b64 s[8:9], vcc
	s_cbranch_execz .LBB11_59
; %bb.58:
	v_mov_b32_e32 v10, 0
	ds_read_b128 v[6:9], v10
	s_waitcnt lgkmcnt(0)
	v_add_f64 v[6:7], v[6:7], v[8:9]
	ds_write_b64 v10, v[6:7]
.LBB11_59:
	s_or_b64 exec, exec, s[8:9]
	s_waitcnt lgkmcnt(0)
	s_barrier
	s_and_saveexec_b64 s[8:9], vcc
	s_cbranch_execz .LBB11_68
; %bb.60:
	s_cmp_eq_u32 s33, 0
	s_cbranch_scc1 .LBB11_66
; %bb.61:
	s_ashr_i32 s7, s6, 31
	s_lshl_b64 s[6:7], s[6:7], 2
	s_add_u32 s4, s4, s6
	s_addc_u32 s5, s5, s7
	v_mov_b32_e32 v6, 0
	s_branch .LBB11_63
.LBB11_62:                              ;   in Loop: Header=BB11_63 Depth=1
	s_or_b64 exec, exec, s[6:7]
	s_waitcnt vmcnt(0)
	v_readfirstlane_b32 s6, v7
	s_nop 1
	v_cmp_eq_u32_e32 vcc, s6, v1
	s_cbranch_vccz .LBB11_65
.LBB11_63:                              ; =>This Inner Loop Header: Depth=1
	v_mbcnt_lo_u32_b32 v7, exec_lo, 0
	v_mbcnt_hi_u32_b32 v7, exec_hi, v7
	v_cmp_eq_u32_e32 vcc, 0, v7
                                        ; implicit-def: $vgpr7
	s_and_saveexec_b64 s[6:7], vcc
	s_cbranch_execz .LBB11_62
; %bb.64:                               ;   in Loop: Header=BB11_63 Depth=1
	global_load_dword v7, v6, s[4:5] sc1
	s_branch .LBB11_62
.LBB11_65:
	v_mov_b32_e32 v1, 0
	global_load_ushort v6, v1, s[2:3]
	s_waitcnt vmcnt(0)
	v_xor_b32_e32 v6, 1, v6
	global_store_short v1, v6, s[2:3]
.LBB11_66:
	s_mov_b64 s[2:3], exec
	s_waitcnt vmcnt(0)
	v_mbcnt_lo_u32_b32 v1, s2, 0
	v_mbcnt_hi_u32_b32 v1, s3, v1
	v_cmp_eq_u32_e32 vcc, 0, v1
	s_and_b64 s[4:5], exec, vcc
	s_mov_b64 exec, s[4:5]
	s_cbranch_execz .LBB11_68
; %bb.67:
	v_mov_b32_e32 v1, 0
	ds_read_b64 v[6:7], v1
	s_lshl_b64 s[4:5], s[40:41], 3
	s_add_u32 s4, s22, s4
	s_addc_u32 s5, s23, s5
	s_bcnt1_i32_b64 s2, s[2:3]
	v_cvt_f64_u32_e32 v[8:9], s2
	s_waitcnt lgkmcnt(0)
	v_mul_f64 v[6:7], v[6:7], v[8:9]
	global_atomic_add_f64 v1, v[6:7], s[4:5]
.LBB11_68:
	s_or_b64 exec, exec, s[8:9]
.LBB11_69:
	s_mov_b64 s[4:5], 0
.LBB11_70:
	s_andn2_b64 vcc, exec, s[4:5]
	s_cbranch_vccnz .LBB11_114
; %bb.71:
	s_load_dword s0, s[0:1], 0x4
	s_waitcnt vmcnt(0)
	v_subrev_u32_e32 v1, s38, v0
	s_waitcnt lgkmcnt(0)
	v_add_u32_e32 v6, s39, v1
	v_add_u32_e32 v1, 0x300, v6
	v_cmp_le_i32_e32 vcc, s0, v1
	s_and_saveexec_b64 s[0:1], vcc
	s_xor_b64 s[0:1], exec, s[0:1]
	s_cbranch_execz .LBB11_76
; %bb.72:
	s_ashr_i32 s3, s35, 31
	s_mov_b32 s2, s35
	s_lshl_b64 s[2:3], s[2:3], 2
	s_add_u32 s2, s24, s2
	s_addc_u32 s3, s25, s3
	s_load_dword s2, s[2:3], 0x0
	s_waitcnt lgkmcnt(0)
	s_sub_i32 s6, s2, s38
	v_cmp_gt_i32_e32 vcc, s6, v6
	s_and_saveexec_b64 s[2:3], vcc
	s_cbranch_execz .LBB11_75
; %bb.73:
	v_lshlrev_b32_e32 v1, 3, v0
	s_mov_b64 s[4:5], 0
.LBB11_74:                              ; =>This Inner Loop Header: Depth=1
	v_ashrrev_i32_e32 v7, 31, v6
	v_lshl_add_u64 v[8:9], v[6:7], 2, s[26:27]
	global_load_dword v10, v[8:9], off
	v_lshl_add_u64 v[8:9], v[6:7], 3, s[28:29]
	global_load_dwordx2 v[8:9], v[8:9], off
	v_add_u32_e32 v6, 0x100, v6
	v_cmp_le_i32_e32 vcc, s6, v6
	s_or_b64 s[4:5], vcc, s[4:5]
	s_waitcnt vmcnt(1)
	v_subrev_u32_e32 v10, s38, v10
	v_ashrrev_i32_e32 v11, 31, v10
	v_lshl_add_u64 v[10:11], v[10:11], 3, s[30:31]
	global_load_dwordx2 v[10:11], v[10:11], off
	s_waitcnt vmcnt(1)
	v_mul_f64 v[8:9], v[4:5], v[8:9]
	s_waitcnt vmcnt(0)
	v_mul_f64 v[8:9], v[8:9], v[10:11]
	ds_write_b64 v1, v[8:9]
	v_add_u32_e32 v1, 0x800, v1
	s_andn2_b64 exec, exec, s[4:5]
	s_cbranch_execnz .LBB11_74
.LBB11_75:
	s_or_b64 exec, exec, s[2:3]
                                        ; implicit-def: $vgpr6
                                        ; implicit-def: $vgpr4_vgpr5
.LBB11_76:
	s_or_saveexec_b64 s[0:1], s[0:1]
	v_lshlrev_b32_e32 v10, 3, v0
	s_xor_b64 exec, exec, s[0:1]
	s_cbranch_execz .LBB11_78
; %bb.77:
	v_ashrrev_i32_e32 v7, 31, v6
	v_lshl_add_u64 v[8:9], v[6:7], 2, s[26:27]
	global_load_dword v1, v[8:9], off
	global_load_dword v11, v[8:9], off offset:1024
	global_load_dword v19, v[8:9], off offset:2048
	;; [unrolled: 1-line block ×3, first 2 shown]
	s_movk_i32 s2, 0x1000
	v_lshl_add_u64 v[6:7], v[6:7], 3, s[28:29]
	global_load_dwordx2 v[8:9], v[6:7], off
	global_load_dwordx2 v[12:13], v[6:7], off offset:2048
	v_add_co_u32_e32 v6, vcc, s2, v6
	s_waitcnt vmcnt(4)
	v_subrev_u32_e32 v18, s38, v11
	v_addc_co_u32_e32 v7, vcc, 0, v7, vcc
	global_load_dwordx2 v[14:15], v[6:7], off
	global_load_dwordx2 v[16:17], v[6:7], off offset:2048
	v_subrev_u32_e32 v6, s38, v1
	s_waitcnt vmcnt(5)
	v_subrev_u32_e32 v20, s38, v19
	s_waitcnt vmcnt(4)
	v_subrev_u32_e32 v22, s38, v21
	v_ashrrev_i32_e32 v7, 31, v6
	v_ashrrev_i32_e32 v19, 31, v18
	;; [unrolled: 1-line block ×4, first 2 shown]
	v_lshl_add_u64 v[6:7], v[6:7], 3, s[30:31]
	v_lshl_add_u64 v[18:19], v[18:19], 3, s[30:31]
	;; [unrolled: 1-line block ×4, first 2 shown]
	global_load_dwordx2 v[24:25], v[6:7], off
	global_load_dwordx2 v[26:27], v[18:19], off
	global_load_dwordx2 v[28:29], v[20:21], off
	global_load_dwordx2 v[30:31], v[22:23], off
	s_waitcnt vmcnt(7)
	v_mul_f64 v[6:7], v[4:5], v[8:9]
	s_waitcnt vmcnt(6)
	v_mul_f64 v[8:9], v[4:5], v[12:13]
	;; [unrolled: 2-line block ×8, first 2 shown]
	ds_write2st64_b64 v10, v[6:7], v[8:9] offset1:4
	ds_write2st64_b64 v10, v[12:13], v[4:5] offset0:8 offset1:12
.LBB11_78:
	s_or_b64 exec, exec, s[0:1]
	s_cmp_lt_i32 s33, 2
	s_mov_b64 s[0:1], -1
	s_waitcnt lgkmcnt(0)
	s_barrier
	s_cbranch_scc0 .LBB11_89
; %bb.79:
	v_add_u32_e32 v4, s34, v0
	v_cmp_gt_i32_e32 vcc, s35, v4
	s_and_saveexec_b64 s[2:3], vcc
	s_cbranch_execz .LBB11_88
; %bb.80:
	s_lshl_b32 s0, s39, 3
	s_mov_b64 s[4:5], 0
	v_cmp_neq_f64_e32 vcc, 0, v[2:3]
	s_sub_i32 s10, 0, s0
	s_branch .LBB11_82
.LBB11_81:                              ;   in Loop: Header=BB11_82 Depth=1
	s_or_b64 exec, exec, s[0:1]
	v_add_u32_e32 v4, 0x100, v4
	v_cmp_le_i32_e64 s[0:1], s35, v4
	s_or_b64 s[4:5], s[0:1], s[4:5]
	global_store_dwordx2 v[8:9], v[6:7], off
	s_andn2_b64 exec, exec, s[4:5]
	s_cbranch_execz .LBB11_88
.LBB11_82:                              ; =>This Loop Header: Depth=1
                                        ;     Child Loop BB11_84 Depth 2
	v_ashrrev_i32_e32 v5, 31, v4
	v_lshl_add_u64 v[6:7], v[4:5], 2, s[24:25]
	global_load_dwordx2 v[8:9], v[6:7], off
	v_mov_b64_e32 v[6:7], 0
	s_waitcnt vmcnt(0)
	v_cmp_lt_i32_e64 s[0:1], v8, v9
	s_and_saveexec_b64 s[6:7], s[0:1]
	s_cbranch_execz .LBB11_86
; %bb.83:                               ;   in Loop: Header=BB11_82 Depth=1
	v_subrev_u32_e32 v1, s39, v9
	v_subrev_u32_e32 v9, s39, v8
	v_lshl_add_u32 v8, v8, 3, s10
	v_mov_b64_e32 v[6:7], 0
	s_mov_b64 s[8:9], 0
.LBB11_84:                              ;   Parent Loop BB11_82 Depth=1
                                        ; =>  This Inner Loop Header: Depth=2
	ds_read_b64 v[12:13], v8
	v_add_u32_e32 v9, 1, v9
	v_cmp_ge_i32_e64 s[0:1], v9, v1
	v_add_u32_e32 v8, 8, v8
	s_or_b64 s[8:9], s[0:1], s[8:9]
	s_waitcnt lgkmcnt(0)
	v_add_f64 v[6:7], v[6:7], v[12:13]
	s_andn2_b64 exec, exec, s[8:9]
	s_cbranch_execnz .LBB11_84
; %bb.85:                               ;   in Loop: Header=BB11_82 Depth=1
	s_or_b64 exec, exec, s[8:9]
.LBB11_86:                              ;   in Loop: Header=BB11_82 Depth=1
	s_or_b64 exec, exec, s[6:7]
	v_lshl_add_u64 v[8:9], v[4:5], 3, s[22:23]
	s_and_saveexec_b64 s[0:1], vcc
	s_cbranch_execz .LBB11_81
; %bb.87:                               ;   in Loop: Header=BB11_82 Depth=1
	global_load_dwordx2 v[12:13], v[8:9], off
	s_waitcnt vmcnt(0)
	v_fmac_f64_e32 v[6:7], v[2:3], v[12:13]
	s_branch .LBB11_81
.LBB11_88:
	s_or_b64 exec, exec, s[2:3]
	s_mov_b64 s[0:1], 0
.LBB11_89:
	s_andn2_b64 vcc, exec, s[0:1]
	s_cbranch_vccnz .LBB11_114
; %bb.90:
	s_flbit_i32_b32 s0, s33
	s_xor_b32 s0, s0, 31
	v_lshrrev_b32_e32 v6, s0, v0
	v_add_u32_e32 v4, s34, v6
	s_add_i32 s0, s33, -1
	v_and_b32_e32 v5, s0, v0
	v_cmp_le_i32_e32 vcc, s35, v4
	v_cmp_gt_i32_e64 s[0:1], s35, v4
	v_mov_b64_e32 v[0:1], 0
	s_and_saveexec_b64 s[2:3], s[0:1]
	s_cbranch_execz .LBB11_96
; %bb.91:
	v_lshlrev_b32_e32 v0, 2, v6
	global_load_dwordx2 v[0:1], v0, s[36:37]
	v_subrev_u32_e32 v7, s39, v5
	s_waitcnt vmcnt(0)
	v_subrev_u32_e32 v6, s39, v1
	v_add_u32_e32 v7, v0, v7
	v_cmp_lt_i32_e64 s[0:1], v7, v6
	v_mov_b64_e32 v[0:1], 0
	s_and_saveexec_b64 s[4:5], s[0:1]
	s_cbranch_execz .LBB11_95
; %bb.92:
	v_lshlrev_b32_e32 v8, 3, v7
	s_lshl_b32 s8, s33, 3
	v_mov_b64_e32 v[0:1], 0
	s_mov_b64 s[6:7], 0
.LBB11_93:                              ; =>This Inner Loop Header: Depth=1
	ds_read_b64 v[12:13], v8
	v_add_u32_e32 v7, s33, v7
	v_cmp_ge_i32_e64 s[0:1], v7, v6
	v_add_u32_e32 v8, s8, v8
	s_or_b64 s[6:7], s[0:1], s[6:7]
	s_waitcnt lgkmcnt(0)
	v_add_f64 v[0:1], v[0:1], v[12:13]
	s_andn2_b64 exec, exec, s[6:7]
	s_cbranch_execnz .LBB11_93
; %bb.94:
	s_or_b64 exec, exec, s[6:7]
.LBB11_95:
	s_or_b64 exec, exec, s[4:5]
.LBB11_96:
	s_or_b64 exec, exec, s[2:3]
	s_cmpk_lt_u32 s33, 0x81
	s_barrier
	ds_write_b64 v10, v[0:1]
	s_waitcnt lgkmcnt(0)
	s_barrier
	s_cbranch_scc1 .LBB11_98
; %bb.97:
	ds_read_b64 v[6:7], v10 offset:1024
	s_waitcnt lgkmcnt(0)
	s_barrier
	v_add_f64 v[0:1], v[0:1], v[6:7]
	ds_write_b64 v10, v[0:1]
.LBB11_98:
	s_cmpk_lt_u32 s33, 0x41
	s_waitcnt lgkmcnt(0)
	s_barrier
	s_cbranch_scc1 .LBB11_100
; %bb.99:
	ds_read_b64 v[6:7], v10 offset:512
	s_waitcnt lgkmcnt(0)
	s_barrier
	v_add_f64 v[0:1], v[0:1], v[6:7]
	ds_write_b64 v10, v[0:1]
.LBB11_100:
	s_cmp_lt_u32 s33, 33
	s_waitcnt lgkmcnt(0)
	s_barrier
	s_cbranch_scc1 .LBB11_102
; %bb.101:
	ds_read_b64 v[6:7], v10 offset:256
	s_waitcnt lgkmcnt(0)
	s_barrier
	v_add_f64 v[0:1], v[0:1], v[6:7]
	ds_write_b64 v10, v[0:1]
.LBB11_102:
	s_cmp_lt_u32 s33, 17
	;; [unrolled: 11-line block ×4, first 2 shown]
	s_waitcnt lgkmcnt(0)
	s_barrier
	s_cbranch_scc1 .LBB11_108
; %bb.107:
	ds_read_b64 v[6:7], v10 offset:32
	s_waitcnt lgkmcnt(0)
	s_barrier
	v_add_f64 v[0:1], v[0:1], v[6:7]
	ds_write_b64 v10, v[0:1]
.LBB11_108:
	s_cmp_eq_u32 s33, 2
	s_waitcnt lgkmcnt(0)
	s_barrier
	s_cbranch_scc1 .LBB11_110
; %bb.109:
	ds_read_b64 v[6:7], v10 offset:16
	s_waitcnt lgkmcnt(0)
	s_barrier
	v_add_f64 v[0:1], v[0:1], v[6:7]
	ds_write_b64 v10, v[0:1]
.LBB11_110:
	s_waitcnt lgkmcnt(0)
	s_barrier
	ds_read_b64 v[6:7], v10 offset:8
	v_cmp_eq_u32_e64 s[0:1], 0, v5
	s_xor_b64 s[2:3], vcc, -1
	s_and_b64 s[0:1], s[0:1], s[2:3]
	s_waitcnt lgkmcnt(0)
	v_add_f64 v[0:1], v[0:1], v[6:7]
	s_barrier
	ds_write_b64 v10, v[0:1]
	s_and_b64 exec, exec, s[0:1]
	s_cbranch_execz .LBB11_114
; %bb.111:
	v_ashrrev_i32_e32 v5, 31, v4
	v_cmp_neq_f64_e32 vcc, 0, v[2:3]
	v_lshl_add_u64 v[4:5], v[4:5], 3, s[22:23]
	s_and_saveexec_b64 s[0:1], vcc
	s_cbranch_execz .LBB11_113
; %bb.112:
	global_load_dwordx2 v[6:7], v[4:5], off
	s_waitcnt vmcnt(0)
	v_fmac_f64_e32 v[0:1], v[2:3], v[6:7]
.LBB11_113:
	s_or_b64 exec, exec, s[0:1]
	global_store_dwordx2 v[4:5], v[0:1], off
.LBB11_114:
	s_endpgm
	.section	.rodata,"a",@progbits
	.p2align	6, 0x0
	.amdhsa_kernel _ZN9rocsparseL22csrmvn_adaptive_kernelIiiddddEEvbT_PKS1_PjPKT0_NS_24const_host_device_scalarIT4_EES3_S7_PKT1_PKT2_SA_PT3_21rocsparse_index_base_b
		.amdhsa_group_segment_fixed_size 8192
		.amdhsa_private_segment_fixed_size 0
		.amdhsa_kernarg_size 96
		.amdhsa_user_sgpr_count 2
		.amdhsa_user_sgpr_dispatch_ptr 0
		.amdhsa_user_sgpr_queue_ptr 0
		.amdhsa_user_sgpr_kernarg_segment_ptr 1
		.amdhsa_user_sgpr_dispatch_id 0
		.amdhsa_user_sgpr_kernarg_preload_length 0
		.amdhsa_user_sgpr_kernarg_preload_offset 0
		.amdhsa_user_sgpr_private_segment_size 0
		.amdhsa_uses_dynamic_stack 0
		.amdhsa_enable_private_segment 0
		.amdhsa_system_sgpr_workgroup_id_x 1
		.amdhsa_system_sgpr_workgroup_id_y 0
		.amdhsa_system_sgpr_workgroup_id_z 0
		.amdhsa_system_sgpr_workgroup_info 0
		.amdhsa_system_vgpr_workitem_id 0
		.amdhsa_next_free_vgpr 32
		.amdhsa_next_free_sgpr 54
		.amdhsa_accum_offset 32
		.amdhsa_reserve_vcc 1
		.amdhsa_float_round_mode_32 0
		.amdhsa_float_round_mode_16_64 0
		.amdhsa_float_denorm_mode_32 3
		.amdhsa_float_denorm_mode_16_64 3
		.amdhsa_dx10_clamp 1
		.amdhsa_ieee_mode 1
		.amdhsa_fp16_overflow 0
		.amdhsa_tg_split 0
		.amdhsa_exception_fp_ieee_invalid_op 0
		.amdhsa_exception_fp_denorm_src 0
		.amdhsa_exception_fp_ieee_div_zero 0
		.amdhsa_exception_fp_ieee_overflow 0
		.amdhsa_exception_fp_ieee_underflow 0
		.amdhsa_exception_fp_ieee_inexact 0
		.amdhsa_exception_int_div_zero 0
	.end_amdhsa_kernel
	.section	.text._ZN9rocsparseL22csrmvn_adaptive_kernelIiiddddEEvbT_PKS1_PjPKT0_NS_24const_host_device_scalarIT4_EES3_S7_PKT1_PKT2_SA_PT3_21rocsparse_index_base_b,"axG",@progbits,_ZN9rocsparseL22csrmvn_adaptive_kernelIiiddddEEvbT_PKS1_PjPKT0_NS_24const_host_device_scalarIT4_EES3_S7_PKT1_PKT2_SA_PT3_21rocsparse_index_base_b,comdat
.Lfunc_end11:
	.size	_ZN9rocsparseL22csrmvn_adaptive_kernelIiiddddEEvbT_PKS1_PjPKT0_NS_24const_host_device_scalarIT4_EES3_S7_PKT1_PKT2_SA_PT3_21rocsparse_index_base_b, .Lfunc_end11-_ZN9rocsparseL22csrmvn_adaptive_kernelIiiddddEEvbT_PKS1_PjPKT0_NS_24const_host_device_scalarIT4_EES3_S7_PKT1_PKT2_SA_PT3_21rocsparse_index_base_b
                                        ; -- End function
	.set _ZN9rocsparseL22csrmvn_adaptive_kernelIiiddddEEvbT_PKS1_PjPKT0_NS_24const_host_device_scalarIT4_EES3_S7_PKT1_PKT2_SA_PT3_21rocsparse_index_base_b.num_vgpr, 32
	.set _ZN9rocsparseL22csrmvn_adaptive_kernelIiiddddEEvbT_PKS1_PjPKT0_NS_24const_host_device_scalarIT4_EES3_S7_PKT1_PKT2_SA_PT3_21rocsparse_index_base_b.num_agpr, 0
	.set _ZN9rocsparseL22csrmvn_adaptive_kernelIiiddddEEvbT_PKS1_PjPKT0_NS_24const_host_device_scalarIT4_EES3_S7_PKT1_PKT2_SA_PT3_21rocsparse_index_base_b.numbered_sgpr, 54
	.set _ZN9rocsparseL22csrmvn_adaptive_kernelIiiddddEEvbT_PKS1_PjPKT0_NS_24const_host_device_scalarIT4_EES3_S7_PKT1_PKT2_SA_PT3_21rocsparse_index_base_b.num_named_barrier, 0
	.set _ZN9rocsparseL22csrmvn_adaptive_kernelIiiddddEEvbT_PKS1_PjPKT0_NS_24const_host_device_scalarIT4_EES3_S7_PKT1_PKT2_SA_PT3_21rocsparse_index_base_b.private_seg_size, 0
	.set _ZN9rocsparseL22csrmvn_adaptive_kernelIiiddddEEvbT_PKS1_PjPKT0_NS_24const_host_device_scalarIT4_EES3_S7_PKT1_PKT2_SA_PT3_21rocsparse_index_base_b.uses_vcc, 1
	.set _ZN9rocsparseL22csrmvn_adaptive_kernelIiiddddEEvbT_PKS1_PjPKT0_NS_24const_host_device_scalarIT4_EES3_S7_PKT1_PKT2_SA_PT3_21rocsparse_index_base_b.uses_flat_scratch, 0
	.set _ZN9rocsparseL22csrmvn_adaptive_kernelIiiddddEEvbT_PKS1_PjPKT0_NS_24const_host_device_scalarIT4_EES3_S7_PKT1_PKT2_SA_PT3_21rocsparse_index_base_b.has_dyn_sized_stack, 0
	.set _ZN9rocsparseL22csrmvn_adaptive_kernelIiiddddEEvbT_PKS1_PjPKT0_NS_24const_host_device_scalarIT4_EES3_S7_PKT1_PKT2_SA_PT3_21rocsparse_index_base_b.has_recursion, 0
	.set _ZN9rocsparseL22csrmvn_adaptive_kernelIiiddddEEvbT_PKS1_PjPKT0_NS_24const_host_device_scalarIT4_EES3_S7_PKT1_PKT2_SA_PT3_21rocsparse_index_base_b.has_indirect_call, 0
	.section	.AMDGPU.csdata,"",@progbits
; Kernel info:
; codeLenInByte = 3648
; TotalNumSgprs: 60
; NumVgprs: 32
; NumAgprs: 0
; TotalNumVgprs: 32
; ScratchSize: 0
; MemoryBound: 0
; FloatMode: 240
; IeeeMode: 1
; LDSByteSize: 8192 bytes/workgroup (compile time only)
; SGPRBlocks: 7
; VGPRBlocks: 3
; NumSGPRsForWavesPerEU: 60
; NumVGPRsForWavesPerEU: 32
; AccumOffset: 32
; Occupancy: 8
; WaveLimiterHint : 1
; COMPUTE_PGM_RSRC2:SCRATCH_EN: 0
; COMPUTE_PGM_RSRC2:USER_SGPR: 2
; COMPUTE_PGM_RSRC2:TRAP_HANDLER: 0
; COMPUTE_PGM_RSRC2:TGID_X_EN: 1
; COMPUTE_PGM_RSRC2:TGID_Y_EN: 0
; COMPUTE_PGM_RSRC2:TGID_Z_EN: 0
; COMPUTE_PGM_RSRC2:TIDIG_COMP_CNT: 0
; COMPUTE_PGM_RSRC3_GFX90A:ACCUM_OFFSET: 7
; COMPUTE_PGM_RSRC3_GFX90A:TG_SPLIT: 0
	.section	.text._ZN9rocsparseL22partial_scale_y_kernelIiddEEvT_S1_S1_NS_24const_host_device_scalarIT1_EEPT0_b,"axG",@progbits,_ZN9rocsparseL22partial_scale_y_kernelIiddEEvT_S1_S1_NS_24const_host_device_scalarIT1_EEPT0_b,comdat
	.globl	_ZN9rocsparseL22partial_scale_y_kernelIiddEEvT_S1_S1_NS_24const_host_device_scalarIT1_EEPT0_b ; -- Begin function _ZN9rocsparseL22partial_scale_y_kernelIiddEEvT_S1_S1_NS_24const_host_device_scalarIT1_EEPT0_b
	.p2align	8
	.type	_ZN9rocsparseL22partial_scale_y_kernelIiddEEvT_S1_S1_NS_24const_host_device_scalarIT1_EEPT0_b,@function
_ZN9rocsparseL22partial_scale_y_kernelIiddEEvT_S1_S1_NS_24const_host_device_scalarIT1_EEPT0_b: ; @_ZN9rocsparseL22partial_scale_y_kernelIiddEEvT_S1_S1_NS_24const_host_device_scalarIT1_EEPT0_b
; %bb.0:
	s_load_dword s3, s[0:1], 0x20
	s_load_dwordx2 s[4:5], s[0:1], 0x10
	s_waitcnt lgkmcnt(0)
	s_bitcmp1_b32 s3, 0
	s_cselect_b64 s[6:7], -1, 0
	s_and_b64 vcc, exec, s[6:7]
	v_mov_b64_e32 v[2:3], s[4:5]
	s_cbranch_vccnz .LBB12_2
; %bb.1:
	v_mov_b64_e32 v[2:3], s[4:5]
	flat_load_dwordx2 v[2:3], v[2:3]
.LBB12_2:
	s_waitcnt vmcnt(0) lgkmcnt(0)
	v_cmp_neq_f64_e32 vcc, 1.0, v[2:3]
	s_and_saveexec_b64 s[4:5], vcc
	s_cbranch_execz .LBB12_15
; %bb.3:
	s_load_dwordx4 s[4:7], s[0:1], 0x0
	v_lshl_or_b32 v0, s2, 8, v0
	s_waitcnt lgkmcnt(0)
	s_add_i32 s2, s5, s4
	s_sub_i32 s2, s2, s6
	v_cmp_gt_i32_e32 vcc, s2, v0
	s_and_b64 exec, exec, vcc
	s_cbranch_execz .LBB12_15
; %bb.4:
	s_load_dwordx2 s[2:3], s[0:1], 0x18
	v_cmp_le_i32_e64 s[0:1], s5, v0
	v_cmp_neq_f64_e32 vcc, 0, v[2:3]
	s_and_saveexec_b64 s[8:9], s[0:1]
	s_xor_b64 s[0:1], exec, s[8:9]
	s_cbranch_execz .LBB12_10
; %bb.5:
	v_subrev_u32_e32 v0, s5, v0
	v_add_u32_e32 v0, s6, v0
	v_ashrrev_i32_e32 v1, 31, v0
	s_waitcnt lgkmcnt(0)
	v_lshl_add_u64 v[0:1], v[0:1], 3, s[2:3]
	s_and_saveexec_b64 s[4:5], vcc
	s_xor_b64 s[4:5], exec, s[4:5]
	s_cbranch_execz .LBB12_7
; %bb.6:
	global_load_dwordx2 v[4:5], v[0:1], off
	s_waitcnt vmcnt(0)
	v_mul_f64 v[2:3], v[2:3], v[4:5]
	global_store_dwordx2 v[0:1], v[2:3], off
                                        ; implicit-def: $vgpr0_vgpr1
.LBB12_7:
	s_andn2_saveexec_b64 s[4:5], s[4:5]
	s_cbranch_execz .LBB12_9
; %bb.8:
	v_mov_b32_e32 v2, 0
	v_mov_b32_e32 v3, v2
	global_store_dwordx2 v[0:1], v[2:3], off
.LBB12_9:
	s_or_b64 exec, exec, s[4:5]
                                        ; implicit-def: $vgpr0
                                        ; implicit-def: $vgpr2_vgpr3
.LBB12_10:
	s_andn2_saveexec_b64 s[0:1], s[0:1]
	s_cbranch_execz .LBB12_15
; %bb.11:
	v_ashrrev_i32_e32 v1, 31, v0
	s_waitcnt lgkmcnt(0)
	v_lshl_add_u64 v[0:1], v[0:1], 3, s[2:3]
	s_and_saveexec_b64 s[0:1], vcc
	s_xor_b64 s[0:1], exec, s[0:1]
	s_cbranch_execz .LBB12_13
; %bb.12:
	global_load_dwordx2 v[4:5], v[0:1], off
	s_waitcnt vmcnt(0)
	v_mul_f64 v[2:3], v[2:3], v[4:5]
	global_store_dwordx2 v[0:1], v[2:3], off
                                        ; implicit-def: $vgpr0_vgpr1
.LBB12_13:
	s_andn2_saveexec_b64 s[0:1], s[0:1]
	s_cbranch_execz .LBB12_15
; %bb.14:
	v_mov_b32_e32 v2, 0
	v_mov_b32_e32 v3, v2
	global_store_dwordx2 v[0:1], v[2:3], off
.LBB12_15:
	s_endpgm
	.section	.rodata,"a",@progbits
	.p2align	6, 0x0
	.amdhsa_kernel _ZN9rocsparseL22partial_scale_y_kernelIiddEEvT_S1_S1_NS_24const_host_device_scalarIT1_EEPT0_b
		.amdhsa_group_segment_fixed_size 0
		.amdhsa_private_segment_fixed_size 0
		.amdhsa_kernarg_size 36
		.amdhsa_user_sgpr_count 2
		.amdhsa_user_sgpr_dispatch_ptr 0
		.amdhsa_user_sgpr_queue_ptr 0
		.amdhsa_user_sgpr_kernarg_segment_ptr 1
		.amdhsa_user_sgpr_dispatch_id 0
		.amdhsa_user_sgpr_kernarg_preload_length 0
		.amdhsa_user_sgpr_kernarg_preload_offset 0
		.amdhsa_user_sgpr_private_segment_size 0
		.amdhsa_uses_dynamic_stack 0
		.amdhsa_enable_private_segment 0
		.amdhsa_system_sgpr_workgroup_id_x 1
		.amdhsa_system_sgpr_workgroup_id_y 0
		.amdhsa_system_sgpr_workgroup_id_z 0
		.amdhsa_system_sgpr_workgroup_info 0
		.amdhsa_system_vgpr_workitem_id 0
		.amdhsa_next_free_vgpr 6
		.amdhsa_next_free_sgpr 10
		.amdhsa_accum_offset 8
		.amdhsa_reserve_vcc 1
		.amdhsa_float_round_mode_32 0
		.amdhsa_float_round_mode_16_64 0
		.amdhsa_float_denorm_mode_32 3
		.amdhsa_float_denorm_mode_16_64 3
		.amdhsa_dx10_clamp 1
		.amdhsa_ieee_mode 1
		.amdhsa_fp16_overflow 0
		.amdhsa_tg_split 0
		.amdhsa_exception_fp_ieee_invalid_op 0
		.amdhsa_exception_fp_denorm_src 0
		.amdhsa_exception_fp_ieee_div_zero 0
		.amdhsa_exception_fp_ieee_overflow 0
		.amdhsa_exception_fp_ieee_underflow 0
		.amdhsa_exception_fp_ieee_inexact 0
		.amdhsa_exception_int_div_zero 0
	.end_amdhsa_kernel
	.section	.text._ZN9rocsparseL22partial_scale_y_kernelIiddEEvT_S1_S1_NS_24const_host_device_scalarIT1_EEPT0_b,"axG",@progbits,_ZN9rocsparseL22partial_scale_y_kernelIiddEEvT_S1_S1_NS_24const_host_device_scalarIT1_EEPT0_b,comdat
.Lfunc_end12:
	.size	_ZN9rocsparseL22partial_scale_y_kernelIiddEEvT_S1_S1_NS_24const_host_device_scalarIT1_EEPT0_b, .Lfunc_end12-_ZN9rocsparseL22partial_scale_y_kernelIiddEEvT_S1_S1_NS_24const_host_device_scalarIT1_EEPT0_b
                                        ; -- End function
	.set _ZN9rocsparseL22partial_scale_y_kernelIiddEEvT_S1_S1_NS_24const_host_device_scalarIT1_EEPT0_b.num_vgpr, 6
	.set _ZN9rocsparseL22partial_scale_y_kernelIiddEEvT_S1_S1_NS_24const_host_device_scalarIT1_EEPT0_b.num_agpr, 0
	.set _ZN9rocsparseL22partial_scale_y_kernelIiddEEvT_S1_S1_NS_24const_host_device_scalarIT1_EEPT0_b.numbered_sgpr, 10
	.set _ZN9rocsparseL22partial_scale_y_kernelIiddEEvT_S1_S1_NS_24const_host_device_scalarIT1_EEPT0_b.num_named_barrier, 0
	.set _ZN9rocsparseL22partial_scale_y_kernelIiddEEvT_S1_S1_NS_24const_host_device_scalarIT1_EEPT0_b.private_seg_size, 0
	.set _ZN9rocsparseL22partial_scale_y_kernelIiddEEvT_S1_S1_NS_24const_host_device_scalarIT1_EEPT0_b.uses_vcc, 1
	.set _ZN9rocsparseL22partial_scale_y_kernelIiddEEvT_S1_S1_NS_24const_host_device_scalarIT1_EEPT0_b.uses_flat_scratch, 0
	.set _ZN9rocsparseL22partial_scale_y_kernelIiddEEvT_S1_S1_NS_24const_host_device_scalarIT1_EEPT0_b.has_dyn_sized_stack, 0
	.set _ZN9rocsparseL22partial_scale_y_kernelIiddEEvT_S1_S1_NS_24const_host_device_scalarIT1_EEPT0_b.has_recursion, 0
	.set _ZN9rocsparseL22partial_scale_y_kernelIiddEEvT_S1_S1_NS_24const_host_device_scalarIT1_EEPT0_b.has_indirect_call, 0
	.section	.AMDGPU.csdata,"",@progbits
; Kernel info:
; codeLenInByte = 324
; TotalNumSgprs: 16
; NumVgprs: 6
; NumAgprs: 0
; TotalNumVgprs: 6
; ScratchSize: 0
; MemoryBound: 0
; FloatMode: 240
; IeeeMode: 1
; LDSByteSize: 0 bytes/workgroup (compile time only)
; SGPRBlocks: 1
; VGPRBlocks: 0
; NumSGPRsForWavesPerEU: 16
; NumVGPRsForWavesPerEU: 6
; AccumOffset: 8
; Occupancy: 8
; WaveLimiterHint : 0
; COMPUTE_PGM_RSRC2:SCRATCH_EN: 0
; COMPUTE_PGM_RSRC2:USER_SGPR: 2
; COMPUTE_PGM_RSRC2:TRAP_HANDLER: 0
; COMPUTE_PGM_RSRC2:TGID_X_EN: 1
; COMPUTE_PGM_RSRC2:TGID_Y_EN: 0
; COMPUTE_PGM_RSRC2:TGID_Z_EN: 0
; COMPUTE_PGM_RSRC2:TIDIG_COMP_CNT: 0
; COMPUTE_PGM_RSRC3_GFX90A:ACCUM_OFFSET: 1
; COMPUTE_PGM_RSRC3_GFX90A:TG_SPLIT: 0
	.section	.text._ZN9rocsparseL27csrmvn_symm_adaptive_kernelIiiddddEEvbT_S1_PKS1_NS_24const_host_device_scalarIT4_EES3_PKT0_PKT1_PKT2_S6_PT3_21rocsparse_index_base_b,"axG",@progbits,_ZN9rocsparseL27csrmvn_symm_adaptive_kernelIiiddddEEvbT_S1_PKS1_NS_24const_host_device_scalarIT4_EES3_PKT0_PKT1_PKT2_S6_PT3_21rocsparse_index_base_b,comdat
	.globl	_ZN9rocsparseL27csrmvn_symm_adaptive_kernelIiiddddEEvbT_S1_PKS1_NS_24const_host_device_scalarIT4_EES3_PKT0_PKT1_PKT2_S6_PT3_21rocsparse_index_base_b ; -- Begin function _ZN9rocsparseL27csrmvn_symm_adaptive_kernelIiiddddEEvbT_S1_PKS1_NS_24const_host_device_scalarIT4_EES3_PKT0_PKT1_PKT2_S6_PT3_21rocsparse_index_base_b
	.p2align	8
	.type	_ZN9rocsparseL27csrmvn_symm_adaptive_kernelIiiddddEEvbT_S1_PKS1_NS_24const_host_device_scalarIT4_EES3_PKT0_PKT1_PKT2_S6_PT3_21rocsparse_index_base_b,@function
_ZN9rocsparseL27csrmvn_symm_adaptive_kernelIiiddddEEvbT_S1_PKS1_NS_24const_host_device_scalarIT4_EES3_PKT0_PKT1_PKT2_S6_PT3_21rocsparse_index_base_b: ; @_ZN9rocsparseL27csrmvn_symm_adaptive_kernelIiiddddEEvbT_S1_PKS1_NS_24const_host_device_scalarIT4_EES3_PKT0_PKT1_PKT2_S6_PT3_21rocsparse_index_base_b
; %bb.0:
	s_load_dwordx2 s[22:23], s[0:1], 0x50
	s_load_dwordx2 s[8:9], s[0:1], 0x18
	;; [unrolled: 1-line block ×3, first 2 shown]
	s_waitcnt lgkmcnt(0)
	s_bitcmp1_b32 s23, 0
	s_cselect_b64 s[10:11], -1, 0
	s_xor_b64 s[6:7], s[10:11], -1
	s_and_b64 vcc, exec, s[10:11]
	v_mov_b64_e32 v[4:5], s[8:9]
	s_cbranch_vccnz .LBB13_2
; %bb.1:
	v_mov_b64_e32 v[2:3], s[8:9]
	flat_load_dwordx2 v[4:5], v[2:3]
.LBB13_2:
	s_andn2_b64 vcc, exec, s[6:7]
	v_mov_b64_e32 v[2:3], s[4:5]
	s_cbranch_vccnz .LBB13_4
; %bb.3:
	v_mov_b64_e32 v[2:3], s[4:5]
	flat_load_dwordx2 v[2:3], v[2:3]
.LBB13_4:
	s_waitcnt vmcnt(0) lgkmcnt(0)
	v_cmp_neq_f64_e32 vcc, 0, v[4:5]
	v_cmp_neq_f64_e64 s[4:5], 1.0, v[2:3]
	s_or_b64 s[4:5], vcc, s[4:5]
	s_and_saveexec_b64 s[6:7], s[4:5]
	s_cbranch_execz .LBB13_143
; %bb.5:
	s_load_dwordx2 s[4:5], s[0:1], 0x10
	s_ashr_i32 s3, s2, 31
	s_mov_b32 s6, 0
	s_lshl_b64 s[2:3], s[2:3], 2
	s_mov_b32 s7, s6
	s_waitcnt lgkmcnt(0)
	s_add_u32 s2, s4, s2
	v_lshlrev_b32_e32 v1, 3, v0
	v_mov_b64_e32 v[2:3], s[6:7]
	s_addc_u32 s3, s5, s3
	ds_write2st64_b64 v1, v[2:3], v[2:3] offset1:4
	ds_write2st64_b64 v1, v[2:3], v[2:3] offset0:8 offset1:12
	s_waitcnt lgkmcnt(0)
	s_barrier
	s_load_dwordx2 s[20:21], s[2:3], 0x0
	s_load_dwordx8 s[12:19], s[0:1], 0x20
	s_load_dwordx2 s[10:11], s[0:1], 0x48
	s_mov_b64 s[2:3], -1
	v_subrev_u32_e32 v12, s22, v0
	s_waitcnt lgkmcnt(0)
	s_sub_i32 s23, s21, s20
	s_cmp_gt_i32 s23, 2
	s_cbranch_scc1 .LBB13_36
; %bb.6:
	s_cmp_le_i32 s21, s20
	s_cbranch_scc1 .LBB13_26
; %bb.7:
	v_cmp_gt_u32_e32 vcc, 64, v0
	v_cmp_gt_u32_e64 s[2:3], 16, v0
	v_cmp_gt_u32_e64 s[4:5], 4, v0
	v_cmp_eq_u32_e64 s[6:7], 0, v0
	s_mov_b64 s[24:25], 0x400
	s_mov_b64 s[26:27], 0x800
	v_mov_b32_e32 v13, 0
	s_mov_b32 s28, s20
	s_branch .LBB13_9
.LBB13_8:                               ;   in Loop: Header=BB13_9 Depth=1
	s_or_b64 exec, exec, s[30:31]
	s_add_i32 s28, s28, 1
	s_cmp_ge_i32 s28, s21
	s_cbranch_scc1 .LBB13_26
.LBB13_9:                               ; =>This Loop Header: Depth=1
                                        ;     Child Loop BB13_11 Depth 2
                                        ;     Child Loop BB13_23 Depth 2
	s_ashr_i32 s29, s28, 31
	s_lshl_b64 s[8:9], s[28:29], 2
	s_add_u32 s8, s12, s8
	s_addc_u32 s9, s13, s9
	s_load_dwordx2 s[30:31], s[8:9], 0x0
	v_mov_b64_e32 v[6:7], 0
	s_waitcnt lgkmcnt(0)
	v_add_u32_e32 v2, s30, v12
	s_sub_i32 s33, s31, s22
	v_cmp_gt_i32_e64 s[8:9], s33, v2
	s_and_saveexec_b64 s[30:31], s[8:9]
	s_cbranch_execz .LBB13_13
; %bb.10:                               ;   in Loop: Header=BB13_9 Depth=1
	v_ashrrev_i32_e32 v3, 31, v2
	v_lshl_add_u64 v[8:9], v[2:3], 2, s[14:15]
	v_lshl_add_u64 v[10:11], v[2:3], 3, s[16:17]
	v_mov_b64_e32 v[6:7], 0
	s_mov_b64 s[34:35], 0
.LBB13_11:                              ;   Parent Loop BB13_9 Depth=1
                                        ; =>  This Inner Loop Header: Depth=2
	global_load_dword v3, v[8:9], off
	global_load_dwordx2 v[14:15], v[10:11], off
	v_add_u32_e32 v2, 0x100, v2
	v_cmp_le_i32_e64 s[8:9], s33, v2
	v_lshl_add_u64 v[8:9], v[8:9], 0, s[24:25]
	v_lshl_add_u64 v[10:11], v[10:11], 0, s[26:27]
	s_or_b64 s[34:35], s[8:9], s[34:35]
	s_waitcnt vmcnt(1)
	v_subrev_u32_e32 v16, s22, v3
	v_ashrrev_i32_e32 v17, 31, v16
	v_lshl_add_u64 v[16:17], v[16:17], 3, s[18:19]
	global_load_dwordx2 v[16:17], v[16:17], off
	s_waitcnt vmcnt(0)
	v_fmac_f64_e32 v[6:7], v[14:15], v[16:17]
	s_andn2_b64 exec, exec, s[34:35]
	s_cbranch_execnz .LBB13_11
; %bb.12:                               ;   in Loop: Header=BB13_9 Depth=1
	s_or_b64 exec, exec, s[34:35]
.LBB13_13:                              ;   in Loop: Header=BB13_9 Depth=1
	s_or_b64 exec, exec, s[30:31]
	ds_write_b64 v1, v[6:7]
	s_waitcnt lgkmcnt(0)
	s_barrier
	ds_read2st64_b64 v[6:9], v1 offset1:4
	ds_read2st64_b64 v[14:17], v1 offset0:8 offset1:12
	s_waitcnt lgkmcnt(0)
	v_add_f64 v[2:3], v[8:9], v[14:15]
	v_add_f64 v[2:3], v[2:3], v[16:17]
	;; [unrolled: 1-line block ×3, first 2 shown]
	ds_write_b64 v1, v[2:3]
	s_waitcnt lgkmcnt(0)
	s_barrier
	s_and_saveexec_b64 s[8:9], vcc
	s_cbranch_execz .LBB13_15
; %bb.14:                               ;   in Loop: Header=BB13_9 Depth=1
	ds_read2st64_b64 v[6:9], v1 offset1:1
	ds_read2st64_b64 v[14:17], v1 offset0:2 offset1:3
	s_waitcnt lgkmcnt(0)
	v_add_f64 v[2:3], v[8:9], v[14:15]
	v_add_f64 v[2:3], v[2:3], v[16:17]
	;; [unrolled: 1-line block ×3, first 2 shown]
	ds_write_b64 v1, v[2:3]
.LBB13_15:                              ;   in Loop: Header=BB13_9 Depth=1
	s_or_b64 exec, exec, s[8:9]
	s_waitcnt lgkmcnt(0)
	s_barrier
	s_and_saveexec_b64 s[8:9], s[2:3]
	s_cbranch_execz .LBB13_17
; %bb.16:                               ;   in Loop: Header=BB13_9 Depth=1
	ds_read2_b64 v[6:9], v1 offset1:16
	ds_read2_b64 v[14:17], v1 offset0:32 offset1:48
	s_waitcnt lgkmcnt(0)
	v_add_f64 v[2:3], v[8:9], v[14:15]
	v_add_f64 v[2:3], v[2:3], v[16:17]
	v_add_f64 v[2:3], v[6:7], v[2:3]
	ds_write_b64 v1, v[2:3]
.LBB13_17:                              ;   in Loop: Header=BB13_9 Depth=1
	s_or_b64 exec, exec, s[8:9]
	s_waitcnt lgkmcnt(0)
	s_barrier
	s_and_saveexec_b64 s[8:9], s[4:5]
	s_cbranch_execz .LBB13_19
; %bb.18:                               ;   in Loop: Header=BB13_9 Depth=1
	ds_read2_b64 v[6:9], v1 offset1:4
	ds_read2_b64 v[14:17], v1 offset0:8 offset1:12
	s_waitcnt lgkmcnt(0)
	v_add_f64 v[2:3], v[8:9], v[14:15]
	v_add_f64 v[2:3], v[2:3], v[16:17]
	;; [unrolled: 1-line block ×3, first 2 shown]
	ds_write_b64 v1, v[2:3]
.LBB13_19:                              ;   in Loop: Header=BB13_9 Depth=1
	s_or_b64 exec, exec, s[8:9]
	s_waitcnt lgkmcnt(0)
	s_barrier
	s_and_saveexec_b64 s[8:9], s[6:7]
	s_cbranch_execz .LBB13_21
; %bb.20:                               ;   in Loop: Header=BB13_9 Depth=1
	ds_read2_b64 v[6:9], v13 offset0:1 offset1:2
	ds_read_b64 v[2:3], v13 offset:24
	ds_read_b64 v[10:11], v1
	s_waitcnt lgkmcnt(2)
	v_add_f64 v[6:7], v[6:7], v[8:9]
	s_waitcnt lgkmcnt(1)
	v_add_f64 v[2:3], v[6:7], v[2:3]
	;; [unrolled: 2-line block ×3, first 2 shown]
	ds_write_b64 v1, v[2:3]
.LBB13_21:                              ;   in Loop: Header=BB13_9 Depth=1
	s_or_b64 exec, exec, s[8:9]
	s_waitcnt lgkmcnt(0)
	s_barrier
	s_and_saveexec_b64 s[30:31], s[6:7]
	s_cbranch_execz .LBB13_8
; %bb.22:                               ;   in Loop: Header=BB13_9 Depth=1
	ds_read_b64 v[2:3], v13
	s_mov_b64 s[8:9], exec
	s_waitcnt lgkmcnt(0)
	v_mul_f64 v[6:7], v[4:5], v[2:3]
	v_mov_b32_e32 v2, 0
	v_bfrev_b32_e32 v3, 1
.LBB13_23:                              ;   Parent Loop BB13_9 Depth=1
                                        ; =>  This Inner Loop Header: Depth=2
	s_ff1_i32_b64 s33, s[8:9]
	s_lshl_b64 s[36:37], 1, s33
	v_readlane_b32 s35, v7, s33
	v_readlane_b32 s34, v6, s33
	s_andn2_b64 s[8:9], s[8:9], s[36:37]
	s_cmp_lg_u64 s[8:9], 0
	v_add_f64 v[2:3], v[2:3], s[34:35]
	s_cbranch_scc1 .LBB13_23
; %bb.24:                               ;   in Loop: Header=BB13_9 Depth=1
	v_mbcnt_lo_u32_b32 v6, exec_lo, 0
	v_mbcnt_hi_u32_b32 v6, exec_hi, v6
	v_cmp_eq_u32_e64 s[8:9], 0, v6
	s_and_saveexec_b64 s[34:35], s[8:9]
	s_xor_b64 s[34:35], exec, s[34:35]
	s_cbranch_execz .LBB13_8
; %bb.25:                               ;   in Loop: Header=BB13_9 Depth=1
	s_lshl_b64 s[8:9], s[28:29], 3
	s_add_u32 s8, s10, s8
	s_addc_u32 s9, s11, s9
	global_atomic_add_f64 v13, v[2:3], s[8:9]
	s_branch .LBB13_8
.LBB13_26:
	s_ashr_i32 s3, s20, 31
	s_mov_b32 s2, s20
	s_lshl_b64 s[2:3], s[2:3], 2
	s_add_u32 s2, s12, s2
	s_addc_u32 s3, s13, s3
	s_ashr_i32 s5, s21, 31
	s_mov_b32 s4, s21
	s_lshl_b64 s[4:5], s[4:5], 2
	s_add_u32 s4, s12, s4
	s_addc_u32 s5, s13, s5
	s_load_dword s6, s[4:5], 0x0
	s_load_dword s7, s[2:3], 0x0
	s_waitcnt lgkmcnt(0)
	s_sub_i32 s26, s6, s22
	v_add_u32_e32 v2, s7, v12
	v_cmp_gt_i32_e32 vcc, s26, v2
	s_and_saveexec_b64 s[6:7], vcc
	s_cbranch_execz .LBB13_35
; %bb.27:
	s_add_i32 s27, s21, -1
	s_cmp_lt_i32 s20, s27
	s_cselect_b64 s[2:3], -1, 0
	s_add_i32 s4, s21, -2
	s_cmp_lg_u32 s20, s4
	s_cselect_b64 s[4:5], -1, 0
	s_and_b64 s[2:3], s[2:3], s[4:5]
	v_cndmask_b32_e64 v3, 0, 1, s[2:3]
	s_mov_b64 s[8:9], 0
	v_cmp_ne_u32_e64 s[2:3], 1, v3
	s_branch .LBB13_29
.LBB13_28:                              ;   in Loop: Header=BB13_29 Depth=1
	s_or_b64 exec, exec, s[4:5]
	v_add_u32_e32 v2, 0x100, v2
	v_cmp_le_i32_e32 vcc, s26, v2
	s_or_b64 s[8:9], vcc, s[8:9]
	s_andn2_b64 exec, exec, s[8:9]
	s_cbranch_execz .LBB13_35
.LBB13_29:                              ; =>This Loop Header: Depth=1
                                        ;     Child Loop BB13_31 Depth 2
	s_and_b64 vcc, exec, s[2:3]
	v_mov_b32_e32 v8, s20
	v_mov_b32_e32 v6, s27
	s_cbranch_vccnz .LBB13_33
; %bb.30:                               ;   in Loop: Header=BB13_29 Depth=1
	s_mov_b64 s[24:25], 0
	v_mov_b32_e32 v8, s20
	v_mov_b32_e32 v6, s27
.LBB13_31:                              ;   Parent Loop BB13_29 Depth=1
                                        ; =>  This Inner Loop Header: Depth=2
	v_add_u32_e32 v3, v6, v8
	v_lshrrev_b32_e32 v7, 31, v3
	v_add_u32_e32 v3, v3, v7
	v_ashrrev_i32_e32 v10, 1, v3
	v_ashrrev_i32_e32 v11, 31, v10
	v_lshl_add_u64 v[14:15], v[10:11], 2, s[12:13]
	global_load_dword v3, v[14:15], off
	s_waitcnt vmcnt(0)
	v_subrev_u32_e32 v3, s22, v3
	v_cmp_lt_i32_e32 vcc, v2, v3
	s_nop 1
	v_cndmask_b32_e32 v6, v6, v10, vcc
	v_cndmask_b32_e32 v8, v10, v8, vcc
	v_add_u32_e32 v3, -1, v6
	v_cmp_ge_i32_e32 vcc, v8, v6
	v_cmp_eq_u32_e64 s[4:5], v8, v3
	s_or_b64 s[4:5], vcc, s[4:5]
	s_and_b64 s[4:5], exec, s[4:5]
	s_or_b64 s[24:25], s[4:5], s[24:25]
	s_andn2_b64 exec, exec, s[24:25]
	s_cbranch_execnz .LBB13_31
; %bb.32:                               ;   in Loop: Header=BB13_29 Depth=1
	s_or_b64 exec, exec, s[24:25]
.LBB13_33:                              ;   in Loop: Header=BB13_29 Depth=1
	v_ashrrev_i32_e32 v7, 31, v6
	v_lshl_add_u64 v[10:11], v[6:7], 2, s[12:13]
	global_load_dword v7, v[10:11], off
	v_ashrrev_i32_e32 v3, 31, v2
	v_lshl_add_u64 v[10:11], v[2:3], 2, s[14:15]
	global_load_dword v9, v[10:11], off
	s_waitcnt vmcnt(1)
	v_subrev_u32_e32 v7, s22, v7
	v_cmp_lt_i32_e32 vcc, v2, v7
	s_nop 1
	v_cndmask_b32_e32 v8, v6, v8, vcc
	s_waitcnt vmcnt(0)
	v_subrev_u32_e32 v6, s22, v9
	v_cmp_ne_u32_e32 vcc, v6, v8
	s_and_saveexec_b64 s[4:5], vcc
	s_cbranch_execz .LBB13_28
; %bb.34:                               ;   in Loop: Header=BB13_29 Depth=1
	v_lshl_add_u64 v[10:11], v[2:3], 3, s[16:17]
	v_ashrrev_i32_e32 v9, 31, v8
	global_load_dwordx2 v[10:11], v[10:11], off
	v_lshl_add_u64 v[8:9], v[8:9], 3, s[18:19]
	global_load_dwordx2 v[8:9], v[8:9], off
	v_ashrrev_i32_e32 v7, 31, v6
	v_lshl_add_u64 v[6:7], v[6:7], 3, s[10:11]
	s_waitcnt vmcnt(1)
	v_mul_f64 v[10:11], v[4:5], v[10:11]
	s_waitcnt vmcnt(0)
	v_mul_f64 v[8:9], v[10:11], v[8:9]
	global_atomic_add_f64 v[6:7], v[8:9], off
	s_branch .LBB13_28
.LBB13_35:
	s_or_b64 exec, exec, s[6:7]
	s_mov_b64 s[2:3], 0
.LBB13_36:
	s_and_b64 vcc, exec, s[2:3]
	s_cbranch_vccz .LBB13_143
; %bb.37:
	v_cvt_f32_u32_e32 v2, s23
	s_ashr_i32 s3, s20, 31
	s_mov_b32 s2, s20
	s_sub_i32 s8, 0, s23
	v_rcp_iflag_f32_e32 v2, v2
	s_lshl_b64 s[2:3], s[2:3], 2
	s_add_u32 s4, s12, s2
	s_addc_u32 s5, s13, s3
	v_mul_f32_e32 v2, 0x4f7ffffe, v2
	v_cvt_u32_f32_e32 v2, v2
	s_load_dword s28, s[4:5], 0x0
	s_load_dwordx2 s[6:7], s[0:1], 0x4
	s_load_dword s26, s[0:1], 0x64
	v_readfirstlane_b32 s27, v2
	s_waitcnt lgkmcnt(0)
	v_add_u32_e32 v2, s28, v12
	s_mul_i32 s8, s8, s27
	v_add_u32_e32 v12, 0x300, v2
	s_mul_hi_u32 s30, s27, s8
	v_cmp_le_i32_e64 s[0:1], s6, v12
	s_and_saveexec_b64 s[2:3], s[0:1]
	s_xor_b64 s[2:3], exec, s[2:3]
	s_cbranch_execz .LBB13_42
; %bb.38:
	s_ashr_i32 s9, s21, 31
	s_mov_b32 s8, s21
	s_lshl_b64 s[8:9], s[8:9], 2
	s_add_u32 s8, s12, s8
	s_addc_u32 s9, s13, s9
	s_load_dword s6, s[8:9], 0x0
	s_waitcnt lgkmcnt(0)
	s_sub_i32 s6, s6, s28
	v_cmp_gt_i32_e32 vcc, s6, v0
	s_and_saveexec_b64 s[8:9], vcc
	s_cbranch_execz .LBB13_41
; %bb.39:
	s_sub_i32 s29, s28, s22
	s_mov_b64 s[24:25], 0
	v_mov_b32_e32 v3, v1
	v_mov_b32_e32 v6, v0
.LBB13_40:                              ; =>This Inner Loop Header: Depth=1
	v_add_u32_e32 v8, s29, v6
	v_ashrrev_i32_e32 v9, 31, v8
	v_lshl_add_u64 v[8:9], v[8:9], 3, s[16:17]
	global_load_dwordx2 v[8:9], v[8:9], off
	v_add_u32_e32 v6, 0x100, v6
	v_cmp_le_i32_e32 vcc, s6, v6
	s_or_b64 s[24:25], vcc, s[24:25]
	s_waitcnt vmcnt(0)
	v_mul_f64 v[8:9], v[4:5], v[8:9]
	ds_write_b64 v3, v[8:9]
	v_add_u32_e32 v3, 0x800, v3
	s_andn2_b64 exec, exec, s[24:25]
	s_cbranch_execnz .LBB13_40
.LBB13_41:
	s_or_b64 exec, exec, s[8:9]
                                        ; implicit-def: $vgpr4_vgpr5
.LBB13_42:
	s_or_saveexec_b64 s[2:3], s[2:3]
	s_and_b32 s29, s26, 0xffff
	s_add_i32 s27, s27, s30
	v_ashrrev_i32_e32 v3, 31, v2
	s_xor_b64 exec, exec, s[2:3]
	s_cbranch_execz .LBB13_44
; %bb.43:
	v_lshl_add_u64 v[6:7], v[2:3], 3, s[16:17]
	global_load_dwordx2 v[8:9], v[6:7], off
	global_load_dwordx2 v[10:11], v[6:7], off offset:2048
	v_add_co_u32_e32 v6, vcc, 0x1000, v6
	s_nop 1
	v_addc_co_u32_e32 v7, vcc, 0, v7, vcc
	global_load_dwordx2 v[14:15], v[6:7], off
	global_load_dwordx2 v[16:17], v[6:7], off offset:2048
	s_waitcnt vmcnt(3)
	v_mul_f64 v[6:7], v[4:5], v[8:9]
	s_waitcnt vmcnt(2)
	v_mul_f64 v[8:9], v[4:5], v[10:11]
	ds_write2st64_b64 v1, v[6:7], v[8:9] offset1:4
	s_waitcnt vmcnt(1)
	v_mul_f64 v[6:7], v[4:5], v[14:15]
	s_waitcnt vmcnt(0)
	v_mul_f64 v[4:5], v[4:5], v[16:17]
	ds_write2st64_b64 v1, v[6:7], v[4:5] offset0:8 offset1:12
.LBB13_44:
	s_or_b64 exec, exec, s[2:3]
	s_mul_hi_u32 s6, s29, s27
	v_cmp_gt_i32_e32 vcc, s7, v0
	s_and_saveexec_b64 s[2:3], vcc
	s_cbranch_execz .LBB13_47
; %bb.45:
	v_mov_b32_e32 v4, 0x2000
	v_mov_b32_e32 v6, 0
	v_lshl_add_u32 v4, v0, 3, v4
	s_mov_b64 s[8:9], 0
	v_mov_b32_e32 v7, v6
	v_mov_b32_e32 v5, v0
.LBB13_46:                              ; =>This Inner Loop Header: Depth=1
	v_add_u32_e32 v5, 0x100, v5
	v_cmp_le_i32_e32 vcc, s7, v5
	ds_write_b64 v4, v[6:7]
	s_or_b64 s[8:9], vcc, s[8:9]
	v_add_u32_e32 v4, 0x800, v4
	s_andn2_b64 exec, exec, s[8:9]
	s_cbranch_execnz .LBB13_46
.LBB13_47:
	s_or_b64 exec, exec, s[2:3]
	s_sub_i32 s2, s21, s7
	s_cmp_ge_i32 s21, s7
	s_cselect_b32 s30, s2, 0
	s_waitcnt lgkmcnt(0)
	s_barrier
	s_and_saveexec_b64 s[2:3], s[0:1]
	s_xor_b64 s[8:9], exec, s[2:3]
	s_cbranch_execz .LBB13_64
; %bb.48:
	s_ashr_i32 s1, s21, 31
	s_mov_b32 s0, s21
	s_lshl_b64 s[0:1], s[0:1], 2
	s_add_u32 s0, s12, s0
	s_addc_u32 s1, s13, s1
	s_load_dword s0, s[0:1], 0x0
	s_waitcnt lgkmcnt(0)
	s_sub_i32 s31, s0, s28
	v_cmp_gt_i32_e32 vcc, s31, v0
	s_and_saveexec_b64 s[16:17], vcc
	s_cbranch_execz .LBB13_63
; %bb.49:
	s_add_i32 s33, s21, -1
	s_add_i32 s1, s21, -2
	s_cmp_lg_u32 s20, s1
	s_cselect_b64 s[2:3], -1, 0
	v_cndmask_b32_e64 v3, 0, 1, s[2:3]
	s_sub_i32 s34, s0, s22
	s_mov_b32 s35, 0
	s_mov_b64 s[24:25], 0
	v_cmp_ne_u32_e64 s[0:1], 1, v3
	v_mov_b32_e32 v3, 0x2000
	s_branch .LBB13_52
.LBB13_50:                              ;   in Loop: Header=BB13_52 Depth=1
	s_or_b64 exec, exec, s[2:3]
.LBB13_51:                              ;   in Loop: Header=BB13_52 Depth=1
	s_or_b64 exec, exec, s[26:27]
	v_ashrrev_i32_e32 v5, 31, v4
	v_lshl_add_u64 v[4:5], v[4:5], 3, s[18:19]
	global_load_dwordx2 v[4:5], v[4:5], off
	s_addk_i32 s35, 0x100
	v_add_u32_e32 v8, s35, v0
	v_cmp_le_i32_e32 vcc, s31, v8
	s_or_b64 s[24:25], vcc, s[24:25]
	s_waitcnt vmcnt(0) lgkmcnt(0)
	v_mul_f64 v[4:5], v[4:5], v[6:7]
	ds_write_b64 v10, v[4:5]
	s_andn2_b64 exec, exec, s[24:25]
	s_cbranch_execz .LBB13_63
.LBB13_52:                              ; =>This Loop Header: Depth=1
                                        ;     Child Loop BB13_54 Depth 2
	v_add_u32_e32 v6, s35, v2
	s_and_b64 vcc, exec, s[0:1]
	v_mov_b32_e32 v5, s20
	v_mov_b32_e32 v8, s33
	s_cbranch_vccnz .LBB13_56
; %bb.53:                               ;   in Loop: Header=BB13_52 Depth=1
	s_mov_b64 s[26:27], 0
	v_mov_b32_e32 v5, s20
	v_mov_b32_e32 v8, s33
.LBB13_54:                              ;   Parent Loop BB13_52 Depth=1
                                        ; =>  This Inner Loop Header: Depth=2
	v_add_u32_e32 v4, v8, v5
	v_lshrrev_b32_e32 v7, 31, v4
	v_add_u32_e32 v4, v4, v7
	v_ashrrev_i32_e32 v10, 1, v4
	v_ashrrev_i32_e32 v11, 31, v10
	v_lshl_add_u64 v[12:13], v[10:11], 2, s[12:13]
	global_load_dword v4, v[12:13], off
	s_waitcnt vmcnt(0)
	v_subrev_u32_e32 v4, s22, v4
	v_cmp_lt_i32_e32 vcc, v6, v4
	s_nop 1
	v_cndmask_b32_e32 v8, v8, v10, vcc
	v_cndmask_b32_e32 v5, v10, v5, vcc
	v_add_u32_e32 v4, -1, v8
	v_cmp_ge_i32_e32 vcc, v5, v8
	v_cmp_eq_u32_e64 s[2:3], v5, v4
	s_or_b64 s[2:3], vcc, s[2:3]
	s_and_b64 s[2:3], exec, s[2:3]
	s_or_b64 s[26:27], s[2:3], s[26:27]
	s_andn2_b64 exec, exec, s[26:27]
	s_cbranch_execnz .LBB13_54
; %bb.55:                               ;   in Loop: Header=BB13_52 Depth=1
	s_or_b64 exec, exec, s[26:27]
.LBB13_56:                              ;   in Loop: Header=BB13_52 Depth=1
	v_ashrrev_i32_e32 v9, 31, v8
	v_lshl_add_u64 v[10:11], v[8:9], 2, s[12:13]
	global_load_dword v4, v[10:11], off
	v_ashrrev_i32_e32 v7, 31, v6
	v_lshl_add_u64 v[10:11], v[6:7], 2, s[14:15]
	global_load_dword v7, v[10:11], off
	v_cmp_le_i32_e32 vcc, s34, v6
	v_lshl_add_u32 v10, s35, 3, v1
	s_waitcnt vmcnt(1)
	v_subrev_u32_e32 v9, s22, v4
	v_cmp_lt_i32_e64 s[2:3], v6, v9
	s_waitcnt vmcnt(0)
	v_subrev_u32_e32 v4, s22, v7
	v_cndmask_b32_e64 v8, v8, v5, s[2:3]
	v_cmp_eq_u32_e64 s[2:3], v4, v8
	s_or_b64 s[2:3], s[2:3], vcc
                                        ; implicit-def: $vgpr6_vgpr7
	s_and_saveexec_b64 s[26:27], s[2:3]
	s_xor_b64 s[2:3], exec, s[26:27]
; %bb.57:                               ;   in Loop: Header=BB13_52 Depth=1
	ds_read_b64 v[6:7], v10
                                        ; implicit-def: $vgpr8
; %bb.58:                               ;   in Loop: Header=BB13_52 Depth=1
	s_andn2_saveexec_b64 s[26:27], s[2:3]
	s_cbranch_execz .LBB13_51
; %bb.59:                               ;   in Loop: Header=BB13_52 Depth=1
	v_ashrrev_i32_e32 v9, 31, v8
	s_waitcnt lgkmcnt(0)
	v_lshl_add_u64 v[6:7], v[8:9], 3, s[18:19]
	global_load_dwordx2 v[8:9], v[6:7], off
	ds_read_b64 v[6:7], v10
	v_cmp_gt_i32_e32 vcc, s30, v4
	v_cmp_le_i32_e64 s[2:3], s21, v4
	s_or_b64 s[2:3], vcc, s[2:3]
	s_waitcnt vmcnt(0) lgkmcnt(0)
	v_mul_f64 v[8:9], v[6:7], v[8:9]
	s_and_saveexec_b64 s[36:37], s[2:3]
	s_xor_b64 s[2:3], exec, s[36:37]
	s_cbranch_execz .LBB13_61
; %bb.60:                               ;   in Loop: Header=BB13_52 Depth=1
	v_ashrrev_i32_e32 v5, 31, v4
	v_lshl_add_u64 v[12:13], v[4:5], 3, s[10:11]
	global_atomic_add_f64 v[12:13], v[8:9], off
                                        ; implicit-def: $vgpr8_vgpr9
.LBB13_61:                              ;   in Loop: Header=BB13_52 Depth=1
	s_andn2_saveexec_b64 s[2:3], s[2:3]
	s_cbranch_execz .LBB13_50
; %bb.62:                               ;   in Loop: Header=BB13_52 Depth=1
	v_subrev_u32_e32 v5, s30, v4
	v_lshl_add_u32 v5, v5, 3, v3
	ds_add_f64 v5, v[8:9]
	s_branch .LBB13_50
.LBB13_63:
	s_or_b64 exec, exec, s[16:17]
                                        ; implicit-def: $vgpr12
                                        ; implicit-def: $vgpr2
.LBB13_64:
	s_andn2_saveexec_b64 s[8:9], s[8:9]
	s_cbranch_execz .LBB13_118
; %bb.65:
	s_add_i32 s26, s21, -1
	s_add_i32 s0, s21, -2
	s_cmp_lg_u32 s20, s0
	s_cselect_b64 s[2:3], -1, 0
	s_cmp_eq_u32 s20, s0
	v_mov_b32_e32 v8, s20
	v_mov_b32_e32 v6, s26
	s_cbranch_scc1 .LBB13_69
; %bb.66:
	s_mov_b64 s[16:17], 0
	v_mov_b32_e32 v8, s20
	v_mov_b32_e32 v6, s26
.LBB13_67:                              ; =>This Inner Loop Header: Depth=1
	v_add_u32_e32 v4, v6, v8
	v_lshrrev_b32_e32 v5, 31, v4
	v_add_u32_e32 v4, v4, v5
	v_ashrrev_i32_e32 v4, 1, v4
	v_ashrrev_i32_e32 v5, 31, v4
	v_lshl_add_u64 v[10:11], v[4:5], 2, s[12:13]
	global_load_dword v5, v[10:11], off
	s_waitcnt vmcnt(0)
	v_subrev_u32_e32 v5, s22, v5
	v_cmp_lt_i32_e32 vcc, v2, v5
	s_nop 1
	v_cndmask_b32_e32 v6, v6, v4, vcc
	v_cndmask_b32_e32 v8, v4, v8, vcc
	v_add_u32_e32 v4, -1, v6
	v_cmp_ge_i32_e32 vcc, v8, v6
	v_cmp_eq_u32_e64 s[0:1], v8, v4
	s_or_b64 s[0:1], vcc, s[0:1]
	s_and_b64 s[0:1], exec, s[0:1]
	s_or_b64 s[16:17], s[0:1], s[16:17]
	s_andn2_b64 exec, exec, s[16:17]
	s_cbranch_execnz .LBB13_67
; %bb.68:
	s_or_b64 exec, exec, s[16:17]
.LBB13_69:
	v_ashrrev_i32_e32 v7, 31, v6
	v_lshl_add_u64 v[4:5], v[6:7], 2, s[12:13]
	global_load_dword v7, v[4:5], off
	v_lshl_add_u64 v[4:5], v[2:3], 2, s[14:15]
	global_load_dword v3, v[4:5], off
	s_ashr_i32 s1, s21, 31
	s_mov_b32 s0, s21
	s_lshl_b64 s[0:1], s[0:1], 2
	s_add_u32 s14, s12, s0
	s_addc_u32 s15, s13, s1
	s_waitcnt vmcnt(1)
	v_subrev_u32_e32 v7, s22, v7
	v_cmp_lt_i32_e32 vcc, v2, v7
	s_nop 1
	v_cndmask_b32_e32 v10, v6, v8, vcc
	s_waitcnt vmcnt(0)
	v_subrev_u32_e32 v8, s22, v3
	v_cmp_ne_u32_e32 vcc, v8, v10
                                        ; implicit-def: $vgpr6_vgpr7
	s_and_saveexec_b64 s[0:1], vcc
	s_xor_b64 s[16:17], exec, s[0:1]
	s_cbranch_execz .LBB13_76
; %bb.70:
	s_load_dword s0, s[14:15], 0x0
	ds_read_b64 v[6:7], v1
	s_waitcnt lgkmcnt(0)
	s_sub_i32 s0, s0, s22
	v_cmp_gt_i32_e32 vcc, s0, v2
	s_and_saveexec_b64 s[24:25], vcc
	s_cbranch_execz .LBB13_75
; %bb.71:
	v_ashrrev_i32_e32 v11, 31, v10
	v_lshl_add_u64 v[10:11], v[10:11], 3, s[18:19]
	global_load_dwordx2 v[10:11], v[10:11], off
	v_cmp_gt_i32_e32 vcc, s30, v8
	v_cmp_le_i32_e64 s[0:1], s21, v8
	s_or_b64 s[0:1], vcc, s[0:1]
	s_waitcnt vmcnt(0)
	v_mul_f64 v[10:11], v[6:7], v[10:11]
	s_and_saveexec_b64 s[34:35], s[0:1]
	s_xor_b64 s[0:1], exec, s[34:35]
	s_cbranch_execz .LBB13_73
; %bb.72:
	v_ashrrev_i32_e32 v9, 31, v8
	v_lshl_add_u64 v[14:15], v[8:9], 3, s[10:11]
	global_atomic_add_f64 v[14:15], v[10:11], off
                                        ; implicit-def: $vgpr10_vgpr11
.LBB13_73:
	s_andn2_saveexec_b64 s[0:1], s[0:1]
; %bb.74:
	v_subrev_u32_e32 v3, s30, v8
	v_mov_b32_e32 v9, 0x2000
	v_lshl_add_u32 v3, v3, 3, v9
	ds_add_f64 v3, v[10:11]
.LBB13_75:
	s_or_b64 exec, exec, s[24:25]
.LBB13_76:
	s_andn2_saveexec_b64 s[0:1], s[16:17]
; %bb.77:
	ds_read_b64 v[6:7], v1
; %bb.78:
	s_or_b64 exec, exec, s[0:1]
	v_ashrrev_i32_e32 v9, 31, v8
	v_lshl_add_u64 v[8:9], v[8:9], 3, s[18:19]
	global_load_dwordx2 v[10:11], v[8:9], off
	v_cndmask_b32_e64 v9, 0, 1, s[2:3]
	v_add_u32_e32 v3, 0x100, v2
	v_mov_b32_e32 v8, s20
	v_cmp_ne_u32_e64 s[0:1], 1, v9
	s_andn2_b64 vcc, exec, s[2:3]
	s_waitcnt vmcnt(0) lgkmcnt(0)
	v_mul_f64 v[6:7], v[10:11], v[6:7]
	ds_write_b64 v1, v[6:7]
	v_mov_b32_e32 v6, s26
	s_cbranch_vccnz .LBB13_82
; %bb.79:
	s_mov_b64 s[16:17], 0
	v_mov_b32_e32 v8, s20
	v_mov_b32_e32 v6, s26
.LBB13_80:                              ; =>This Inner Loop Header: Depth=1
	v_add_u32_e32 v7, v6, v8
	v_lshrrev_b32_e32 v9, 31, v7
	v_add_u32_e32 v7, v7, v9
	v_ashrrev_i32_e32 v10, 1, v7
	v_ashrrev_i32_e32 v11, 31, v10
	v_lshl_add_u64 v[14:15], v[10:11], 2, s[12:13]
	global_load_dword v7, v[14:15], off
	s_waitcnt vmcnt(0)
	v_subrev_u32_e32 v7, s22, v7
	v_cmp_lt_i32_e32 vcc, v3, v7
	s_nop 1
	v_cndmask_b32_e32 v6, v6, v10, vcc
	v_cndmask_b32_e32 v8, v10, v8, vcc
	v_add_u32_e32 v7, -1, v6
	v_cmp_ge_i32_e32 vcc, v8, v6
	v_cmp_eq_u32_e64 s[2:3], v8, v7
	s_or_b64 s[2:3], vcc, s[2:3]
	s_and_b64 s[2:3], exec, s[2:3]
	s_or_b64 s[16:17], s[2:3], s[16:17]
	s_andn2_b64 exec, exec, s[16:17]
	s_cbranch_execnz .LBB13_80
; %bb.81:
	s_or_b64 exec, exec, s[16:17]
.LBB13_82:
	v_ashrrev_i32_e32 v7, 31, v6
	v_lshl_add_u64 v[10:11], v[6:7], 2, s[12:13]
	global_load_dword v7, v[10:11], off
	global_load_dword v9, v[4:5], off offset:1024
	s_waitcnt vmcnt(1)
	v_subrev_u32_e32 v7, s22, v7
	v_cmp_lt_i32_e32 vcc, v3, v7
	s_nop 1
	v_cndmask_b32_e32 v10, v6, v8, vcc
	s_waitcnt vmcnt(0)
	v_subrev_u32_e32 v6, s22, v9
	v_cmp_ne_u32_e32 vcc, v6, v10
                                        ; implicit-def: $vgpr8_vgpr9
	s_and_saveexec_b64 s[2:3], vcc
	s_xor_b64 s[16:17], exec, s[2:3]
	s_cbranch_execz .LBB13_89
; %bb.83:
	s_load_dword s2, s[14:15], 0x0
	ds_read_b64 v[8:9], v1 offset:2048
	s_waitcnt lgkmcnt(0)
	s_sub_i32 s2, s2, s22
	v_cmp_gt_i32_e32 vcc, s2, v3
	s_and_saveexec_b64 s[24:25], vcc
	s_cbranch_execz .LBB13_88
; %bb.84:
	v_ashrrev_i32_e32 v11, 31, v10
	v_lshl_add_u64 v[10:11], v[10:11], 3, s[18:19]
	global_load_dwordx2 v[10:11], v[10:11], off
	v_cmp_gt_i32_e32 vcc, s30, v6
	v_cmp_le_i32_e64 s[2:3], s21, v6
	s_or_b64 s[2:3], vcc, s[2:3]
	s_waitcnt vmcnt(0)
	v_mul_f64 v[10:11], v[8:9], v[10:11]
	s_and_saveexec_b64 s[34:35], s[2:3]
	s_xor_b64 s[2:3], exec, s[34:35]
	s_cbranch_execz .LBB13_86
; %bb.85:
	v_ashrrev_i32_e32 v7, 31, v6
	v_lshl_add_u64 v[14:15], v[6:7], 3, s[10:11]
	global_atomic_add_f64 v[14:15], v[10:11], off
                                        ; implicit-def: $vgpr10_vgpr11
.LBB13_86:
	s_andn2_saveexec_b64 s[2:3], s[2:3]
; %bb.87:
	v_subrev_u32_e32 v3, s30, v6
	v_mov_b32_e32 v7, 0x2000
	v_lshl_add_u32 v3, v3, 3, v7
	ds_add_f64 v3, v[10:11]
.LBB13_88:
	s_or_b64 exec, exec, s[24:25]
.LBB13_89:
	s_andn2_saveexec_b64 s[2:3], s[16:17]
; %bb.90:
	ds_read_b64 v[8:9], v1 offset:2048
; %bb.91:
	s_or_b64 exec, exec, s[2:3]
	v_ashrrev_i32_e32 v7, 31, v6
	v_lshl_add_u64 v[6:7], v[6:7], 3, s[18:19]
	global_load_dwordx2 v[14:15], v[6:7], off
	v_add_u32_e32 v10, 0x200, v2
	s_and_b64 vcc, exec, s[0:1]
	v_mov_b32_e32 v6, s20
	s_waitcnt vmcnt(0) lgkmcnt(0)
	v_mul_f64 v[2:3], v[14:15], v[8:9]
	ds_write_b64 v1, v[2:3] offset:2048
	v_mov_b32_e32 v2, s26
	s_cbranch_vccnz .LBB13_95
; %bb.92:
	s_mov_b64 s[16:17], 0
	v_mov_b32_e32 v6, s20
	v_mov_b32_e32 v2, s26
.LBB13_93:                              ; =>This Inner Loop Header: Depth=1
	v_add_u32_e32 v3, v2, v6
	v_lshrrev_b32_e32 v7, 31, v3
	v_add_u32_e32 v3, v3, v7
	v_ashrrev_i32_e32 v8, 1, v3
	v_ashrrev_i32_e32 v9, 31, v8
	v_lshl_add_u64 v[14:15], v[8:9], 2, s[12:13]
	global_load_dword v3, v[14:15], off
	s_waitcnt vmcnt(0)
	v_subrev_u32_e32 v3, s22, v3
	v_cmp_lt_i32_e32 vcc, v10, v3
	s_nop 1
	v_cndmask_b32_e32 v2, v2, v8, vcc
	v_cndmask_b32_e32 v6, v8, v6, vcc
	v_add_u32_e32 v3, -1, v2
	v_cmp_ge_i32_e32 vcc, v6, v2
	v_cmp_eq_u32_e64 s[2:3], v6, v3
	s_or_b64 s[2:3], vcc, s[2:3]
	s_and_b64 s[2:3], exec, s[2:3]
	s_or_b64 s[16:17], s[2:3], s[16:17]
	s_andn2_b64 exec, exec, s[16:17]
	s_cbranch_execnz .LBB13_93
; %bb.94:
	s_or_b64 exec, exec, s[16:17]
.LBB13_95:
	v_ashrrev_i32_e32 v3, 31, v2
	v_lshl_add_u64 v[8:9], v[2:3], 2, s[12:13]
	global_load_dword v3, v[8:9], off
	global_load_dword v7, v[4:5], off offset:2048
	s_waitcnt vmcnt(1)
	v_subrev_u32_e32 v3, s22, v3
	v_cmp_lt_i32_e32 vcc, v10, v3
	s_nop 1
	v_cndmask_b32_e32 v8, v2, v6, vcc
	s_waitcnt vmcnt(0)
	v_subrev_u32_e32 v2, s22, v7
	v_cmp_ne_u32_e32 vcc, v2, v8
                                        ; implicit-def: $vgpr6_vgpr7
	s_and_saveexec_b64 s[2:3], vcc
	s_xor_b64 s[16:17], exec, s[2:3]
	s_cbranch_execz .LBB13_102
; %bb.96:
	s_load_dword s2, s[14:15], 0x0
	ds_read_b64 v[6:7], v1 offset:4096
	s_waitcnt lgkmcnt(0)
	s_sub_i32 s2, s2, s22
	v_cmp_gt_i32_e32 vcc, s2, v10
	s_and_saveexec_b64 s[24:25], vcc
	s_cbranch_execz .LBB13_101
; %bb.97:
	v_ashrrev_i32_e32 v9, 31, v8
	v_lshl_add_u64 v[8:9], v[8:9], 3, s[18:19]
	global_load_dwordx2 v[8:9], v[8:9], off
	v_cmp_gt_i32_e32 vcc, s30, v2
	v_cmp_le_i32_e64 s[2:3], s21, v2
	s_or_b64 s[2:3], vcc, s[2:3]
	s_waitcnt vmcnt(0)
	v_mul_f64 v[8:9], v[6:7], v[8:9]
	s_and_saveexec_b64 s[34:35], s[2:3]
	s_xor_b64 s[2:3], exec, s[34:35]
	s_cbranch_execz .LBB13_99
; %bb.98:
	v_ashrrev_i32_e32 v3, 31, v2
	v_lshl_add_u64 v[10:11], v[2:3], 3, s[10:11]
	global_atomic_add_f64 v[10:11], v[8:9], off
                                        ; implicit-def: $vgpr8_vgpr9
.LBB13_99:
	s_andn2_saveexec_b64 s[2:3], s[2:3]
; %bb.100:
	v_subrev_u32_e32 v3, s30, v2
	v_mov_b32_e32 v10, 0x2000
	v_lshl_add_u32 v3, v3, 3, v10
	ds_add_f64 v3, v[8:9]
.LBB13_101:
	s_or_b64 exec, exec, s[24:25]
.LBB13_102:
	s_andn2_saveexec_b64 s[2:3], s[16:17]
; %bb.103:
	ds_read_b64 v[6:7], v1 offset:4096
; %bb.104:
	s_or_b64 exec, exec, s[2:3]
	v_ashrrev_i32_e32 v3, 31, v2
	v_lshl_add_u64 v[2:3], v[2:3], 3, s[18:19]
	global_load_dwordx2 v[2:3], v[2:3], off
	s_and_b64 vcc, exec, s[0:1]
	v_mov_b32_e32 v8, s20
	s_waitcnt vmcnt(0) lgkmcnt(0)
	v_mul_f64 v[2:3], v[2:3], v[6:7]
	ds_write_b64 v1, v[2:3] offset:4096
	v_mov_b32_e32 v2, s26
	s_cbranch_vccnz .LBB13_108
; %bb.105:
	s_mov_b64 s[2:3], 0
	v_mov_b32_e32 v8, s20
	v_mov_b32_e32 v2, s26
.LBB13_106:                             ; =>This Inner Loop Header: Depth=1
	v_add_u32_e32 v3, v2, v8
	v_lshrrev_b32_e32 v6, 31, v3
	v_add_u32_e32 v3, v3, v6
	v_ashrrev_i32_e32 v6, 1, v3
	v_ashrrev_i32_e32 v7, 31, v6
	v_lshl_add_u64 v[10:11], v[6:7], 2, s[12:13]
	global_load_dword v3, v[10:11], off
	s_waitcnt vmcnt(0)
	v_subrev_u32_e32 v3, s22, v3
	v_cmp_lt_i32_e32 vcc, v12, v3
	s_nop 1
	v_cndmask_b32_e32 v2, v2, v6, vcc
	v_cndmask_b32_e32 v8, v6, v8, vcc
	v_add_u32_e32 v3, -1, v2
	v_cmp_ge_i32_e32 vcc, v8, v2
	v_cmp_eq_u32_e64 s[0:1], v8, v3
	s_or_b64 s[0:1], vcc, s[0:1]
	s_and_b64 s[0:1], exec, s[0:1]
	s_or_b64 s[2:3], s[0:1], s[2:3]
	s_andn2_b64 exec, exec, s[2:3]
	s_cbranch_execnz .LBB13_106
; %bb.107:
	s_or_b64 exec, exec, s[2:3]
.LBB13_108:
	v_ashrrev_i32_e32 v3, 31, v2
	v_lshl_add_u64 v[6:7], v[2:3], 2, s[12:13]
	global_load_dword v3, v[6:7], off
	global_load_dword v9, v[4:5], off offset:3072
                                        ; implicit-def: $vgpr4_vgpr5
	s_waitcnt vmcnt(1)
	v_subrev_u32_e32 v3, s22, v3
	v_cmp_lt_i32_e32 vcc, v12, v3
	s_nop 1
	v_cndmask_b32_e32 v6, v2, v8, vcc
	s_waitcnt vmcnt(0)
	v_subrev_u32_e32 v2, s22, v9
	v_cmp_ne_u32_e32 vcc, v2, v6
	s_and_saveexec_b64 s[0:1], vcc
	s_xor_b64 s[2:3], exec, s[0:1]
	s_cbranch_execz .LBB13_115
; %bb.109:
	s_load_dword s0, s[14:15], 0x0
	ds_read_b64 v[4:5], v1 offset:6144
	s_waitcnt lgkmcnt(0)
	s_sub_i32 s0, s0, s22
	v_cmp_gt_i32_e32 vcc, s0, v12
	s_and_saveexec_b64 s[14:15], vcc
	s_cbranch_execz .LBB13_114
; %bb.110:
	v_ashrrev_i32_e32 v7, 31, v6
	v_lshl_add_u64 v[6:7], v[6:7], 3, s[18:19]
	global_load_dwordx2 v[6:7], v[6:7], off
	v_cmp_gt_i32_e32 vcc, s30, v2
	v_cmp_le_i32_e64 s[0:1], s21, v2
	s_or_b64 s[0:1], vcc, s[0:1]
	s_waitcnt vmcnt(0)
	v_mul_f64 v[6:7], v[4:5], v[6:7]
	s_and_saveexec_b64 s[16:17], s[0:1]
	s_xor_b64 s[0:1], exec, s[16:17]
	s_cbranch_execz .LBB13_112
; %bb.111:
	v_ashrrev_i32_e32 v3, 31, v2
	v_lshl_add_u64 v[8:9], v[2:3], 3, s[10:11]
	global_atomic_add_f64 v[8:9], v[6:7], off
                                        ; implicit-def: $vgpr6_vgpr7
.LBB13_112:
	s_andn2_saveexec_b64 s[0:1], s[0:1]
; %bb.113:
	v_subrev_u32_e32 v3, s30, v2
	v_mov_b32_e32 v8, 0x2000
	v_lshl_add_u32 v3, v3, 3, v8
	ds_add_f64 v3, v[6:7]
.LBB13_114:
	s_or_b64 exec, exec, s[14:15]
.LBB13_115:
	s_andn2_saveexec_b64 s[0:1], s[2:3]
; %bb.116:
	ds_read_b64 v[4:5], v1 offset:6144
; %bb.117:
	s_or_b64 exec, exec, s[0:1]
	v_ashrrev_i32_e32 v3, 31, v2
	v_lshl_add_u64 v[2:3], v[2:3], 3, s[18:19]
	global_load_dwordx2 v[2:3], v[2:3], off
	s_waitcnt vmcnt(0) lgkmcnt(0)
	v_mul_f64 v[2:3], v[2:3], v[4:5]
	ds_write_b64 v1, v[2:3] offset:6144
.LBB13_118:
	s_or_b64 exec, exec, s[8:9]
	s_min_i32 s7, s21, s7
	s_sub_i32 s14, s7, s23
	v_cmp_gt_i32_e32 vcc, s14, v0
	s_waitcnt lgkmcnt(0)
	s_barrier
	s_and_saveexec_b64 s[0:1], vcc
	s_cbranch_execz .LBB13_121
; %bb.119:
	v_mov_b32_e32 v2, 0x2000
	v_lshl_add_u32 v2, v0, 3, v2
	s_mov_b64 s[2:3], 0
	v_mov_b32_e32 v3, v0
.LBB13_120:                             ; =>This Inner Loop Header: Depth=1
	ds_read_b64 v[4:5], v2
	v_add_u32_e32 v6, s30, v3
	v_ashrrev_i32_e32 v7, 31, v6
	v_lshl_add_u64 v[6:7], v[6:7], 3, s[10:11]
	v_add_u32_e32 v3, 0x100, v3
	s_waitcnt lgkmcnt(0)
	global_atomic_add_f64 v[6:7], v[4:5], off
	v_cmp_le_i32_e32 vcc, s14, v3
	s_or_b64 s[2:3], vcc, s[2:3]
	v_add_u32_e32 v2, 0x800, v2
	s_andn2_b64 exec, exec, s[2:3]
	s_cbranch_execnz .LBB13_120
.LBB13_121:
	s_or_b64 exec, exec, s[0:1]
	s_mul_i32 s0, s6, s23
	s_sub_i32 s0, s29, s0
	s_add_i32 s1, s6, 1
	s_sub_i32 s2, s0, s23
	s_cmp_ge_u32 s0, s23
	s_cselect_b32 s1, s1, s6
	s_cselect_b32 s0, s2, s0
	s_add_i32 s2, s1, 1
	s_cmp_ge_u32 s0, s23
	s_cselect_b32 s0, s2, s1
	s_add_i32 s0, s0, -1
	s_ashr_i32 s1, s0, 1
	s_or_b32 s0, s1, s0
	s_ashr_i32 s1, s0, 2
	s_or_b32 s0, s1, s0
	;; [unrolled: 2-line block ×5, first 2 shown]
	s_add_i32 s0, s0, 1
	s_ashr_i32 s15, s0, 1
	v_add_u32_e32 v2, s20, v0
	s_cmp_gt_i32 s15, 1
	s_mov_b64 s[0:1], -1
	s_barrier
	s_cbranch_scc1 .LBB13_130
; %bb.122:
	v_cmp_gt_i32_e32 vcc, s21, v2
	s_and_saveexec_b64 s[0:1], vcc
	s_cbranch_execz .LBB13_129
; %bb.123:
	s_sub_i32 s2, s7, s21
	s_lshl_b32 s2, s2, 3
	s_add_i32 s16, s2, 0x2000
	s_lshl_b32 s2, s28, 3
	s_sub_i32 s17, 0, s2
	s_mov_b64 s[2:3], 0
	v_mov_b32_e32 v4, v2
	s_branch .LBB13_125
.LBB13_124:                             ;   in Loop: Header=BB13_125 Depth=1
	s_or_b64 exec, exec, s[6:7]
	v_lshl_add_u32 v3, v4, 3, s16
	ds_read_b64 v[8:9], v3
	s_waitcnt lgkmcnt(0)
	v_add_f64 v[6:7], v[6:7], v[8:9]
	v_lshl_add_u64 v[8:9], v[4:5], 3, s[10:11]
	global_atomic_add_f64 v[8:9], v[6:7], off
	v_add_u32_e32 v4, s29, v4
	v_cmp_le_i32_e32 vcc, s21, v4
	s_or_b64 s[2:3], vcc, s[2:3]
	s_andn2_b64 exec, exec, s[2:3]
	s_cbranch_execz .LBB13_129
.LBB13_125:                             ; =>This Loop Header: Depth=1
                                        ;     Child Loop BB13_127 Depth 2
	v_ashrrev_i32_e32 v5, 31, v4
	v_lshl_add_u64 v[6:7], v[4:5], 2, s[12:13]
	global_load_dwordx2 v[8:9], v[6:7], off
	v_mov_b64_e32 v[6:7], 0
	s_waitcnt vmcnt(0)
	v_cmp_lt_i32_e32 vcc, v8, v9
	s_and_saveexec_b64 s[6:7], vcc
	s_cbranch_execz .LBB13_124
; %bb.126:                              ;   in Loop: Header=BB13_125 Depth=1
	v_subrev_u32_e32 v3, s28, v9
	v_subrev_u32_e32 v9, s28, v8
	v_lshl_add_u32 v8, v8, 3, s17
	v_mov_b64_e32 v[6:7], 0
	s_mov_b64 s[8:9], 0
.LBB13_127:                             ;   Parent Loop BB13_125 Depth=1
                                        ; =>  This Inner Loop Header: Depth=2
	ds_read_b64 v[10:11], v8
	v_add_u32_e32 v9, 1, v9
	v_cmp_ge_i32_e32 vcc, v9, v3
	v_add_u32_e32 v8, 8, v8
	s_or_b64 s[8:9], vcc, s[8:9]
	s_waitcnt lgkmcnt(0)
	v_add_f64 v[6:7], v[6:7], v[10:11]
	s_andn2_b64 exec, exec, s[8:9]
	s_cbranch_execnz .LBB13_127
; %bb.128:                              ;   in Loop: Header=BB13_125 Depth=1
	s_or_b64 exec, exec, s[8:9]
	s_branch .LBB13_124
.LBB13_129:
	s_or_b64 exec, exec, s[0:1]
	s_mov_b64 s[0:1], 0
.LBB13_130:
	s_andn2_b64 vcc, exec, s[0:1]
	s_cbranch_vccnz .LBB13_143
; %bb.131:
	v_cvt_f32_u32_e32 v3, s15
	s_sub_i32 s0, 0, s15
	v_mov_b64_e32 v[6:7], 0
	v_rcp_iflag_f32_e32 v3, v3
	s_nop 0
	v_mul_f32_e32 v3, 0x4f7ffffe, v3
	v_cvt_u32_f32_e32 v3, v3
	v_mul_lo_u32 v4, s0, v3
	v_mul_hi_u32 v4, v3, v4
	v_add_u32_e32 v3, v3, v4
	v_mul_hi_u32 v3, v0, v3
	v_mul_lo_u32 v4, v3, s15
	v_sub_u32_e32 v4, v0, v4
	v_add_u32_e32 v5, 1, v3
	v_cmp_le_u32_e32 vcc, s15, v4
	s_nop 1
	v_cndmask_b32_e32 v3, v3, v5, vcc
	v_subrev_u32_e32 v5, s15, v4
	v_cndmask_b32_e32 v4, v4, v5, vcc
	v_add_u32_e32 v5, 1, v3
	v_cmp_le_u32_e32 vcc, s15, v4
	s_nop 1
	v_cndmask_b32_e32 v3, v3, v5, vcc
	v_lshlrev_b32_e32 v4, 2, v3
	global_load_dwordx2 v[4:5], v4, s[4:5]
	v_cmp_gt_i32_e32 vcc, s23, v3
	s_and_saveexec_b64 s[0:1], vcc
	s_cbranch_execz .LBB13_139
; %bb.132:
	s_abs_i32 s4, s15
	v_cvt_f32_u32_e32 v6, s4
	s_waitcnt vmcnt(0)
	v_subrev_u32_e32 v3, s28, v5
	v_subrev_u32_e32 v4, s28, v4
	s_sub_i32 s2, 0, s4
	v_rcp_iflag_f32_e32 v5, v6
	v_sub_u32_e32 v6, v3, v4
	v_sub_u32_e32 v7, 0, v6
	v_ashrrev_i32_e32 v8, 31, v6
	v_mul_f32_e32 v5, 0x4f7ffffe, v5
	v_cvt_u32_f32_e32 v5, v5
	v_max_i32_e32 v9, v6, v7
	s_ashr_i32 s5, s15, 31
	v_mul_lo_u32 v6, s2, v5
	v_mul_hi_u32 v6, v5, v6
	v_add_u32_e32 v5, v5, v6
	v_mad_u64_u32 v[6:7], s[2:3], v9, v5, 0
	v_mul_lo_u32 v6, v7, s4
	v_sub_u32_e32 v6, v9, v6
	v_xor_b32_e32 v5, s5, v8
	v_add_u32_e32 v8, 1, v7
	v_cmp_le_u32_e32 vcc, s4, v6
	s_add_i32 s2, s15, -1
	v_and_b32_e32 v9, s2, v0
	v_cndmask_b32_e32 v7, v7, v8, vcc
	v_subrev_u32_e32 v8, s4, v6
	v_cndmask_b32_e32 v6, v6, v8, vcc
	v_add_u32_e32 v8, 1, v7
	v_cmp_le_u32_e32 vcc, s4, v6
	s_nop 1
	v_cndmask_b32_e32 v6, v7, v8, vcc
	v_xor_b32_e32 v6, v6, v5
	v_sub_u32_e32 v5, v6, v5
	v_cmp_lt_i32_e32 vcc, 0, v5
	v_mov_b64_e32 v[6:7], 0
	v_lshlrev_b32_e32 v8, 3, v9
	s_and_saveexec_b64 s[2:3], vcc
	s_cbranch_execz .LBB13_136
; %bb.133:
	v_lshl_add_u32 v10, v4, 3, v8
	s_lshl_b32 s6, s15, 3
	v_mov_b64_e32 v[6:7], 0
	s_mov_b64 s[4:5], 0
	v_mov_b32_e32 v11, v5
.LBB13_134:                             ; =>This Inner Loop Header: Depth=1
	ds_read_b64 v[12:13], v10
	v_add_u32_e32 v11, -1, v11
	v_cmp_eq_u32_e32 vcc, 0, v11
	v_add_u32_e32 v10, s6, v10
	s_or_b64 s[4:5], vcc, s[4:5]
	s_waitcnt lgkmcnt(0)
	v_add_f64 v[6:7], v[6:7], v[12:13]
	s_andn2_b64 exec, exec, s[4:5]
	s_cbranch_execnz .LBB13_134
; %bb.135:
	s_or_b64 exec, exec, s[4:5]
.LBB13_136:
	s_or_b64 exec, exec, s[2:3]
	v_mad_u64_u32 v[4:5], s[2:3], v5, s15, v[4:5]
	v_sub_u32_e32 v3, v3, v4
	v_cmp_lt_i32_e32 vcc, v9, v3
	s_and_saveexec_b64 s[2:3], vcc
	s_cbranch_execz .LBB13_138
; %bb.137:
	v_lshl_add_u32 v3, v4, 3, v8
	ds_read_b64 v[4:5], v3
	s_waitcnt lgkmcnt(0)
	v_add_f64 v[6:7], v[6:7], v[4:5]
.LBB13_138:
	s_or_b64 exec, exec, s[2:3]
.LBB13_139:
	s_or_b64 exec, exec, s[0:1]
	v_cmp_gt_i32_e32 vcc, s23, v0
	s_barrier
	ds_write_b64 v1, v[6:7]
	s_waitcnt lgkmcnt(0)
	s_barrier
	s_and_b64 exec, exec, vcc
	s_cbranch_execz .LBB13_143
; %bb.140:
	v_mul_lo_u32 v1, s15, v0
	v_lshlrev_b32_e32 v1, 3, v1
	s_waitcnt vmcnt(0)
	v_mov_b64_e32 v[4:5], 0
.LBB13_141:                             ; =>This Inner Loop Header: Depth=1
	ds_read_b64 v[6:7], v1
	s_add_i32 s15, s15, -1
	v_add_u32_e32 v1, 8, v1
	s_cmp_eq_u32 s15, 0
	s_waitcnt lgkmcnt(0)
	v_add_f64 v[4:5], v[4:5], v[6:7]
	s_cbranch_scc0 .LBB13_141
; %bb.142:
	s_lshl_b32 s0, s14, 3
	s_addk_i32 s0, 0x2000
	v_lshl_add_u32 v0, v0, 3, s0
	ds_read_b64 v[0:1], v0
	v_ashrrev_i32_e32 v3, 31, v2
	v_lshl_add_u64 v[2:3], v[2:3], 3, s[10:11]
	s_waitcnt lgkmcnt(0)
	v_add_f64 v[0:1], v[4:5], v[0:1]
	global_atomic_add_f64 v[2:3], v[0:1], off
.LBB13_143:
	s_endpgm
	.section	.rodata,"a",@progbits
	.p2align	6, 0x0
	.amdhsa_kernel _ZN9rocsparseL27csrmvn_symm_adaptive_kernelIiiddddEEvbT_S1_PKS1_NS_24const_host_device_scalarIT4_EES3_PKT0_PKT1_PKT2_S6_PT3_21rocsparse_index_base_b
		.amdhsa_group_segment_fixed_size 8192
		.amdhsa_private_segment_fixed_size 0
		.amdhsa_kernarg_size 344
		.amdhsa_user_sgpr_count 2
		.amdhsa_user_sgpr_dispatch_ptr 0
		.amdhsa_user_sgpr_queue_ptr 0
		.amdhsa_user_sgpr_kernarg_segment_ptr 1
		.amdhsa_user_sgpr_dispatch_id 0
		.amdhsa_user_sgpr_kernarg_preload_length 0
		.amdhsa_user_sgpr_kernarg_preload_offset 0
		.amdhsa_user_sgpr_private_segment_size 0
		.amdhsa_uses_dynamic_stack 0
		.amdhsa_enable_private_segment 0
		.amdhsa_system_sgpr_workgroup_id_x 1
		.amdhsa_system_sgpr_workgroup_id_y 0
		.amdhsa_system_sgpr_workgroup_id_z 0
		.amdhsa_system_sgpr_workgroup_info 0
		.amdhsa_system_vgpr_workitem_id 0
		.amdhsa_next_free_vgpr 18
		.amdhsa_next_free_sgpr 38
		.amdhsa_accum_offset 20
		.amdhsa_reserve_vcc 1
		.amdhsa_float_round_mode_32 0
		.amdhsa_float_round_mode_16_64 0
		.amdhsa_float_denorm_mode_32 3
		.amdhsa_float_denorm_mode_16_64 3
		.amdhsa_dx10_clamp 1
		.amdhsa_ieee_mode 1
		.amdhsa_fp16_overflow 0
		.amdhsa_tg_split 0
		.amdhsa_exception_fp_ieee_invalid_op 0
		.amdhsa_exception_fp_denorm_src 0
		.amdhsa_exception_fp_ieee_div_zero 0
		.amdhsa_exception_fp_ieee_overflow 0
		.amdhsa_exception_fp_ieee_underflow 0
		.amdhsa_exception_fp_ieee_inexact 0
		.amdhsa_exception_int_div_zero 0
	.end_amdhsa_kernel
	.section	.text._ZN9rocsparseL27csrmvn_symm_adaptive_kernelIiiddddEEvbT_S1_PKS1_NS_24const_host_device_scalarIT4_EES3_PKT0_PKT1_PKT2_S6_PT3_21rocsparse_index_base_b,"axG",@progbits,_ZN9rocsparseL27csrmvn_symm_adaptive_kernelIiiddddEEvbT_S1_PKS1_NS_24const_host_device_scalarIT4_EES3_PKT0_PKT1_PKT2_S6_PT3_21rocsparse_index_base_b,comdat
.Lfunc_end13:
	.size	_ZN9rocsparseL27csrmvn_symm_adaptive_kernelIiiddddEEvbT_S1_PKS1_NS_24const_host_device_scalarIT4_EES3_PKT0_PKT1_PKT2_S6_PT3_21rocsparse_index_base_b, .Lfunc_end13-_ZN9rocsparseL27csrmvn_symm_adaptive_kernelIiiddddEEvbT_S1_PKS1_NS_24const_host_device_scalarIT4_EES3_PKT0_PKT1_PKT2_S6_PT3_21rocsparse_index_base_b
                                        ; -- End function
	.set _ZN9rocsparseL27csrmvn_symm_adaptive_kernelIiiddddEEvbT_S1_PKS1_NS_24const_host_device_scalarIT4_EES3_PKT0_PKT1_PKT2_S6_PT3_21rocsparse_index_base_b.num_vgpr, 18
	.set _ZN9rocsparseL27csrmvn_symm_adaptive_kernelIiiddddEEvbT_S1_PKS1_NS_24const_host_device_scalarIT4_EES3_PKT0_PKT1_PKT2_S6_PT3_21rocsparse_index_base_b.num_agpr, 0
	.set _ZN9rocsparseL27csrmvn_symm_adaptive_kernelIiiddddEEvbT_S1_PKS1_NS_24const_host_device_scalarIT4_EES3_PKT0_PKT1_PKT2_S6_PT3_21rocsparse_index_base_b.numbered_sgpr, 38
	.set _ZN9rocsparseL27csrmvn_symm_adaptive_kernelIiiddddEEvbT_S1_PKS1_NS_24const_host_device_scalarIT4_EES3_PKT0_PKT1_PKT2_S6_PT3_21rocsparse_index_base_b.num_named_barrier, 0
	.set _ZN9rocsparseL27csrmvn_symm_adaptive_kernelIiiddddEEvbT_S1_PKS1_NS_24const_host_device_scalarIT4_EES3_PKT0_PKT1_PKT2_S6_PT3_21rocsparse_index_base_b.private_seg_size, 0
	.set _ZN9rocsparseL27csrmvn_symm_adaptive_kernelIiiddddEEvbT_S1_PKS1_NS_24const_host_device_scalarIT4_EES3_PKT0_PKT1_PKT2_S6_PT3_21rocsparse_index_base_b.uses_vcc, 1
	.set _ZN9rocsparseL27csrmvn_symm_adaptive_kernelIiiddddEEvbT_S1_PKS1_NS_24const_host_device_scalarIT4_EES3_PKT0_PKT1_PKT2_S6_PT3_21rocsparse_index_base_b.uses_flat_scratch, 0
	.set _ZN9rocsparseL27csrmvn_symm_adaptive_kernelIiiddddEEvbT_S1_PKS1_NS_24const_host_device_scalarIT4_EES3_PKT0_PKT1_PKT2_S6_PT3_21rocsparse_index_base_b.has_dyn_sized_stack, 0
	.set _ZN9rocsparseL27csrmvn_symm_adaptive_kernelIiiddddEEvbT_S1_PKS1_NS_24const_host_device_scalarIT4_EES3_PKT0_PKT1_PKT2_S6_PT3_21rocsparse_index_base_b.has_recursion, 0
	.set _ZN9rocsparseL27csrmvn_symm_adaptive_kernelIiiddddEEvbT_S1_PKS1_NS_24const_host_device_scalarIT4_EES3_PKT0_PKT1_PKT2_S6_PT3_21rocsparse_index_base_b.has_indirect_call, 0
	.section	.AMDGPU.csdata,"",@progbits
; Kernel info:
; codeLenInByte = 5384
; TotalNumSgprs: 44
; NumVgprs: 18
; NumAgprs: 0
; TotalNumVgprs: 18
; ScratchSize: 0
; MemoryBound: 0
; FloatMode: 240
; IeeeMode: 1
; LDSByteSize: 8192 bytes/workgroup (compile time only)
; SGPRBlocks: 5
; VGPRBlocks: 2
; NumSGPRsForWavesPerEU: 44
; NumVGPRsForWavesPerEU: 18
; AccumOffset: 20
; Occupancy: 8
; WaveLimiterHint : 1
; COMPUTE_PGM_RSRC2:SCRATCH_EN: 0
; COMPUTE_PGM_RSRC2:USER_SGPR: 2
; COMPUTE_PGM_RSRC2:TRAP_HANDLER: 0
; COMPUTE_PGM_RSRC2:TGID_X_EN: 1
; COMPUTE_PGM_RSRC2:TGID_Y_EN: 0
; COMPUTE_PGM_RSRC2:TGID_Z_EN: 0
; COMPUTE_PGM_RSRC2:TIDIG_COMP_CNT: 0
; COMPUTE_PGM_RSRC3_GFX90A:ACCUM_OFFSET: 4
; COMPUTE_PGM_RSRC3_GFX90A:TG_SPLIT: 0
	.section	.text._ZL33csrmvn_symm_large_adaptive_kernelIiiddddEvbT_PKS0_N9rocsparse24const_host_device_scalarIT4_EES2_PKT0_PKT1_PKT2_S6_PT3_21rocsparse_index_base_b,"axG",@progbits,_ZL33csrmvn_symm_large_adaptive_kernelIiiddddEvbT_PKS0_N9rocsparse24const_host_device_scalarIT4_EES2_PKT0_PKT1_PKT2_S6_PT3_21rocsparse_index_base_b,comdat
	.globl	_ZL33csrmvn_symm_large_adaptive_kernelIiiddddEvbT_PKS0_N9rocsparse24const_host_device_scalarIT4_EES2_PKT0_PKT1_PKT2_S6_PT3_21rocsparse_index_base_b ; -- Begin function _ZL33csrmvn_symm_large_adaptive_kernelIiiddddEvbT_PKS0_N9rocsparse24const_host_device_scalarIT4_EES2_PKT0_PKT1_PKT2_S6_PT3_21rocsparse_index_base_b
	.p2align	8
	.type	_ZL33csrmvn_symm_large_adaptive_kernelIiiddddEvbT_PKS0_N9rocsparse24const_host_device_scalarIT4_EES2_PKT0_PKT1_PKT2_S6_PT3_21rocsparse_index_base_b,@function
_ZL33csrmvn_symm_large_adaptive_kernelIiiddddEvbT_PKS0_N9rocsparse24const_host_device_scalarIT4_EES2_PKT0_PKT1_PKT2_S6_PT3_21rocsparse_index_base_b: ; @_ZL33csrmvn_symm_large_adaptive_kernelIiiddddEvbT_PKS0_N9rocsparse24const_host_device_scalarIT4_EES2_PKT0_PKT1_PKT2_S6_PT3_21rocsparse_index_base_b
; %bb.0:
	s_load_dwordx2 s[16:17], s[0:1], 0x48
	s_load_dwordx2 s[8:9], s[0:1], 0x10
	;; [unrolled: 1-line block ×3, first 2 shown]
	s_waitcnt lgkmcnt(0)
	s_bitcmp1_b32 s17, 0
	s_cselect_b64 s[10:11], -1, 0
	s_xor_b64 s[6:7], s[10:11], -1
	s_and_b64 vcc, exec, s[10:11]
	v_mov_b64_e32 v[2:3], s[8:9]
	s_cbranch_vccnz .LBB14_2
; %bb.1:
	v_mov_b64_e32 v[2:3], s[8:9]
	flat_load_dwordx2 v[2:3], v[2:3]
.LBB14_2:
	s_andn2_b64 vcc, exec, s[6:7]
	v_mov_b64_e32 v[4:5], s[4:5]
	s_cbranch_vccnz .LBB14_4
; %bb.3:
	v_mov_b64_e32 v[4:5], s[4:5]
	flat_load_dwordx2 v[4:5], v[4:5]
.LBB14_4:
	s_waitcnt vmcnt(0) lgkmcnt(0)
	v_cmp_neq_f64_e32 vcc, 0, v[2:3]
	v_cmp_neq_f64_e64 s[4:5], 1.0, v[4:5]
	s_or_b64 s[4:5], vcc, s[4:5]
	s_and_saveexec_b64 s[6:7], s[4:5]
	s_cbranch_execz .LBB14_34
; %bb.5:
	s_load_dwordx2 s[4:5], s[0:1], 0x8
	s_ashr_i32 s3, s2, 31
	s_mov_b32 s6, 0
	s_lshl_b64 s[2:3], s[2:3], 2
	s_mov_b32 s7, s6
	s_waitcnt lgkmcnt(0)
	s_add_u32 s2, s4, s2
	v_lshlrev_b32_e32 v10, 3, v0
	v_mov_b64_e32 v[4:5], s[6:7]
	s_addc_u32 s3, s5, s3
	ds_write2st64_b64 v10, v[4:5], v[4:5] offset1:4
	ds_write2st64_b64 v10, v[4:5], v[4:5] offset0:8 offset1:12
	s_waitcnt lgkmcnt(0)
	s_barrier
	s_load_dwordx2 s[18:19], s[2:3], 0x0
	s_load_dwordx8 s[8:15], s[0:1], 0x18
	s_load_dwordx2 s[20:21], s[0:1], 0x40
	v_subrev_u32_e32 v11, s16, v0
	s_waitcnt lgkmcnt(0)
	s_cmp_ge_i32 s18, s19
	s_cbranch_scc1 .LBB14_25
; %bb.6:
	v_cmp_gt_u32_e32 vcc, 64, v0
	v_cmp_gt_u32_e64 s[0:1], 16, v0
	v_cmp_gt_u32_e64 s[2:3], 4, v0
	v_cmp_eq_u32_e64 s[4:5], 0, v0
	s_mov_b64 s[22:23], 0x400
	s_mov_b64 s[24:25], 0x800
	v_mov_b32_e32 v12, 0
	s_mov_b32 s26, s18
	s_branch .LBB14_8
.LBB14_7:                               ;   in Loop: Header=BB14_8 Depth=1
	s_or_b64 exec, exec, s[28:29]
	s_add_i32 s26, s26, 1
	s_cmp_ge_i32 s26, s19
	s_cbranch_scc1 .LBB14_25
.LBB14_8:                               ; =>This Loop Header: Depth=1
                                        ;     Child Loop BB14_10 Depth 2
                                        ;     Child Loop BB14_22 Depth 2
	s_ashr_i32 s27, s26, 31
	s_lshl_b64 s[6:7], s[26:27], 2
	s_add_u32 s6, s8, s6
	s_addc_u32 s7, s9, s7
	s_load_dwordx2 s[28:29], s[6:7], 0x0
	v_mov_b64_e32 v[4:5], 0
	s_waitcnt lgkmcnt(0)
	v_add_u32_e32 v0, s28, v11
	s_sub_i32 s17, s29, s16
	v_cmp_gt_i32_e64 s[6:7], s17, v0
	s_and_saveexec_b64 s[28:29], s[6:7]
	s_cbranch_execz .LBB14_12
; %bb.9:                                ;   in Loop: Header=BB14_8 Depth=1
	v_ashrrev_i32_e32 v1, 31, v0
	v_lshl_add_u64 v[6:7], v[0:1], 2, s[10:11]
	v_lshl_add_u64 v[8:9], v[0:1], 3, s[12:13]
	v_mov_b64_e32 v[4:5], 0
	s_mov_b64 s[30:31], 0
.LBB14_10:                              ;   Parent Loop BB14_8 Depth=1
                                        ; =>  This Inner Loop Header: Depth=2
	global_load_dword v1, v[6:7], off
	global_load_dwordx2 v[14:15], v[8:9], off
	v_add_u32_e32 v0, 0x100, v0
	v_cmp_le_i32_e64 s[6:7], s17, v0
	v_lshl_add_u64 v[6:7], v[6:7], 0, s[22:23]
	v_lshl_add_u64 v[8:9], v[8:9], 0, s[24:25]
	s_or_b64 s[30:31], s[6:7], s[30:31]
	s_waitcnt vmcnt(1)
	v_subrev_u32_e32 v16, s16, v1
	v_ashrrev_i32_e32 v17, 31, v16
	v_lshl_add_u64 v[16:17], v[16:17], 3, s[14:15]
	global_load_dwordx2 v[16:17], v[16:17], off
	s_waitcnt vmcnt(0)
	v_fmac_f64_e32 v[4:5], v[14:15], v[16:17]
	s_andn2_b64 exec, exec, s[30:31]
	s_cbranch_execnz .LBB14_10
; %bb.11:                               ;   in Loop: Header=BB14_8 Depth=1
	s_or_b64 exec, exec, s[30:31]
.LBB14_12:                              ;   in Loop: Header=BB14_8 Depth=1
	s_or_b64 exec, exec, s[28:29]
	ds_write_b64 v10, v[4:5]
	s_waitcnt lgkmcnt(0)
	s_barrier
	ds_read2st64_b64 v[4:7], v10 offset1:4
	ds_read2st64_b64 v[14:17], v10 offset0:8 offset1:12
	s_waitcnt lgkmcnt(0)
	v_add_f64 v[0:1], v[6:7], v[14:15]
	v_add_f64 v[0:1], v[0:1], v[16:17]
	;; [unrolled: 1-line block ×3, first 2 shown]
	ds_write_b64 v10, v[0:1]
	s_waitcnt lgkmcnt(0)
	s_barrier
	s_and_saveexec_b64 s[6:7], vcc
	s_cbranch_execz .LBB14_14
; %bb.13:                               ;   in Loop: Header=BB14_8 Depth=1
	ds_read2st64_b64 v[4:7], v10 offset1:1
	ds_read2st64_b64 v[14:17], v10 offset0:2 offset1:3
	s_waitcnt lgkmcnt(0)
	v_add_f64 v[0:1], v[6:7], v[14:15]
	v_add_f64 v[0:1], v[0:1], v[16:17]
	v_add_f64 v[0:1], v[4:5], v[0:1]
	ds_write_b64 v10, v[0:1]
.LBB14_14:                              ;   in Loop: Header=BB14_8 Depth=1
	s_or_b64 exec, exec, s[6:7]
	s_waitcnt lgkmcnt(0)
	s_barrier
	s_and_saveexec_b64 s[6:7], s[0:1]
	s_cbranch_execz .LBB14_16
; %bb.15:                               ;   in Loop: Header=BB14_8 Depth=1
	ds_read2_b64 v[4:7], v10 offset1:16
	ds_read2_b64 v[14:17], v10 offset0:32 offset1:48
	s_waitcnt lgkmcnt(0)
	v_add_f64 v[0:1], v[6:7], v[14:15]
	v_add_f64 v[0:1], v[0:1], v[16:17]
	;; [unrolled: 1-line block ×3, first 2 shown]
	ds_write_b64 v10, v[0:1]
.LBB14_16:                              ;   in Loop: Header=BB14_8 Depth=1
	s_or_b64 exec, exec, s[6:7]
	s_waitcnt lgkmcnt(0)
	s_barrier
	s_and_saveexec_b64 s[6:7], s[2:3]
	s_cbranch_execz .LBB14_18
; %bb.17:                               ;   in Loop: Header=BB14_8 Depth=1
	ds_read2_b64 v[4:7], v10 offset1:4
	ds_read2_b64 v[14:17], v10 offset0:8 offset1:12
	s_waitcnt lgkmcnt(0)
	v_add_f64 v[0:1], v[6:7], v[14:15]
	v_add_f64 v[0:1], v[0:1], v[16:17]
	;; [unrolled: 1-line block ×3, first 2 shown]
	ds_write_b64 v10, v[0:1]
.LBB14_18:                              ;   in Loop: Header=BB14_8 Depth=1
	s_or_b64 exec, exec, s[6:7]
	s_waitcnt lgkmcnt(0)
	s_barrier
	s_and_saveexec_b64 s[6:7], s[4:5]
	s_cbranch_execz .LBB14_20
; %bb.19:                               ;   in Loop: Header=BB14_8 Depth=1
	ds_read2_b64 v[4:7], v12 offset0:1 offset1:2
	ds_read_b64 v[0:1], v12 offset:24
	ds_read_b64 v[8:9], v10
	s_waitcnt lgkmcnt(2)
	v_add_f64 v[4:5], v[4:5], v[6:7]
	s_waitcnt lgkmcnt(1)
	v_add_f64 v[0:1], v[4:5], v[0:1]
	;; [unrolled: 2-line block ×3, first 2 shown]
	ds_write_b64 v10, v[0:1]
.LBB14_20:                              ;   in Loop: Header=BB14_8 Depth=1
	s_or_b64 exec, exec, s[6:7]
	s_waitcnt lgkmcnt(0)
	s_barrier
	s_and_saveexec_b64 s[28:29], s[4:5]
	s_cbranch_execz .LBB14_7
; %bb.21:                               ;   in Loop: Header=BB14_8 Depth=1
	ds_read_b64 v[0:1], v12
	s_mov_b64 s[6:7], exec
	s_waitcnt lgkmcnt(0)
	v_mul_f64 v[4:5], v[2:3], v[0:1]
	v_mov_b32_e32 v0, 0
	v_bfrev_b32_e32 v1, 1
.LBB14_22:                              ;   Parent Loop BB14_8 Depth=1
                                        ; =>  This Inner Loop Header: Depth=2
	s_ff1_i32_b64 s17, s[6:7]
	s_lshl_b64 s[34:35], 1, s17
	v_readlane_b32 s31, v5, s17
	v_readlane_b32 s30, v4, s17
	s_andn2_b64 s[6:7], s[6:7], s[34:35]
	s_cmp_lg_u64 s[6:7], 0
	v_add_f64 v[0:1], v[0:1], s[30:31]
	s_cbranch_scc1 .LBB14_22
; %bb.23:                               ;   in Loop: Header=BB14_8 Depth=1
	v_mbcnt_lo_u32_b32 v4, exec_lo, 0
	v_mbcnt_hi_u32_b32 v4, exec_hi, v4
	v_cmp_eq_u32_e64 s[6:7], 0, v4
	s_and_saveexec_b64 s[30:31], s[6:7]
	s_xor_b64 s[30:31], exec, s[30:31]
	s_cbranch_execz .LBB14_7
; %bb.24:                               ;   in Loop: Header=BB14_8 Depth=1
	s_lshl_b64 s[6:7], s[26:27], 3
	s_add_u32 s6, s20, s6
	s_addc_u32 s7, s21, s7
	global_atomic_add_f64 v12, v[0:1], s[6:7]
	s_branch .LBB14_7
.LBB14_25:
	s_ashr_i32 s1, s18, 31
	s_mov_b32 s0, s18
	s_lshl_b64 s[0:1], s[0:1], 2
	s_add_u32 s0, s8, s0
	s_addc_u32 s1, s9, s1
	s_ashr_i32 s3, s19, 31
	s_mov_b32 s2, s19
	s_lshl_b64 s[2:3], s[2:3], 2
	s_add_u32 s2, s8, s2
	s_addc_u32 s3, s9, s3
	s_load_dword s4, s[2:3], 0x0
	s_load_dword s5, s[0:1], 0x0
	s_waitcnt lgkmcnt(0)
	s_sub_i32 s17, s4, s16
	v_add_u32_e32 v0, s5, v11
	v_cmp_gt_i32_e32 vcc, s17, v0
	s_and_b64 exec, exec, vcc
	s_cbranch_execz .LBB14_34
; %bb.26:
	s_add_i32 s22, s19, -1
	s_cmp_lt_i32 s18, s22
	s_cselect_b64 s[0:1], -1, 0
	s_add_i32 s2, s19, -2
	s_cmp_lg_u32 s18, s2
	s_cselect_b64 s[2:3], -1, 0
	s_and_b64 s[0:1], s[0:1], s[2:3]
	v_cndmask_b32_e64 v1, 0, 1, s[0:1]
	s_mov_b64 s[4:5], 0
	v_cmp_ne_u32_e64 s[0:1], 1, v1
	s_branch .LBB14_28
.LBB14_27:                              ;   in Loop: Header=BB14_28 Depth=1
	s_or_b64 exec, exec, s[2:3]
	v_add_u32_e32 v0, 0x100, v0
	v_cmp_le_i32_e32 vcc, s17, v0
	s_or_b64 s[4:5], vcc, s[4:5]
	s_andn2_b64 exec, exec, s[4:5]
	s_cbranch_execz .LBB14_34
.LBB14_28:                              ; =>This Loop Header: Depth=1
                                        ;     Child Loop BB14_30 Depth 2
	s_and_b64 vcc, exec, s[0:1]
	v_mov_b32_e32 v6, s18
	v_mov_b32_e32 v4, s22
	s_cbranch_vccnz .LBB14_32
; %bb.29:                               ;   in Loop: Header=BB14_28 Depth=1
	s_mov_b64 s[6:7], 0
	v_mov_b32_e32 v6, s18
	v_mov_b32_e32 v4, s22
.LBB14_30:                              ;   Parent Loop BB14_28 Depth=1
                                        ; =>  This Inner Loop Header: Depth=2
	v_add_u32_e32 v1, v4, v6
	v_lshrrev_b32_e32 v5, 31, v1
	v_add_u32_e32 v1, v1, v5
	v_ashrrev_i32_e32 v8, 1, v1
	v_ashrrev_i32_e32 v9, 31, v8
	v_lshl_add_u64 v[10:11], v[8:9], 2, s[8:9]
	global_load_dword v1, v[10:11], off
	s_waitcnt vmcnt(0)
	v_subrev_u32_e32 v1, s16, v1
	v_cmp_lt_i32_e32 vcc, v0, v1
	s_nop 1
	v_cndmask_b32_e32 v4, v4, v8, vcc
	v_cndmask_b32_e32 v6, v8, v6, vcc
	v_add_u32_e32 v1, -1, v4
	v_cmp_ge_i32_e32 vcc, v6, v4
	v_cmp_eq_u32_e64 s[2:3], v6, v1
	s_or_b64 s[2:3], vcc, s[2:3]
	s_and_b64 s[2:3], exec, s[2:3]
	s_or_b64 s[6:7], s[2:3], s[6:7]
	s_andn2_b64 exec, exec, s[6:7]
	s_cbranch_execnz .LBB14_30
; %bb.31:                               ;   in Loop: Header=BB14_28 Depth=1
	s_or_b64 exec, exec, s[6:7]
.LBB14_32:                              ;   in Loop: Header=BB14_28 Depth=1
	v_ashrrev_i32_e32 v5, 31, v4
	v_lshl_add_u64 v[8:9], v[4:5], 2, s[8:9]
	global_load_dword v5, v[8:9], off
	v_ashrrev_i32_e32 v1, 31, v0
	v_lshl_add_u64 v[8:9], v[0:1], 2, s[10:11]
	global_load_dword v7, v[8:9], off
	s_waitcnt vmcnt(1)
	v_subrev_u32_e32 v5, s16, v5
	v_cmp_lt_i32_e32 vcc, v0, v5
	s_nop 1
	v_cndmask_b32_e32 v6, v4, v6, vcc
	s_waitcnt vmcnt(0)
	v_subrev_u32_e32 v4, s16, v7
	v_cmp_ne_u32_e32 vcc, v4, v6
	s_and_saveexec_b64 s[2:3], vcc
	s_cbranch_execz .LBB14_27
; %bb.33:                               ;   in Loop: Header=BB14_28 Depth=1
	v_lshl_add_u64 v[8:9], v[0:1], 3, s[12:13]
	v_ashrrev_i32_e32 v7, 31, v6
	global_load_dwordx2 v[8:9], v[8:9], off
	v_lshl_add_u64 v[6:7], v[6:7], 3, s[14:15]
	global_load_dwordx2 v[6:7], v[6:7], off
	v_ashrrev_i32_e32 v5, 31, v4
	v_lshl_add_u64 v[4:5], v[4:5], 3, s[20:21]
	s_waitcnt vmcnt(1)
	v_mul_f64 v[8:9], v[2:3], v[8:9]
	s_waitcnt vmcnt(0)
	v_mul_f64 v[6:7], v[8:9], v[6:7]
	global_atomic_add_f64 v[4:5], v[6:7], off
	s_branch .LBB14_27
.LBB14_34:
	s_endpgm
	.section	.rodata,"a",@progbits
	.p2align	6, 0x0
	.amdhsa_kernel _ZL33csrmvn_symm_large_adaptive_kernelIiiddddEvbT_PKS0_N9rocsparse24const_host_device_scalarIT4_EES2_PKT0_PKT1_PKT2_S6_PT3_21rocsparse_index_base_b
		.amdhsa_group_segment_fixed_size 8192
		.amdhsa_private_segment_fixed_size 0
		.amdhsa_kernarg_size 80
		.amdhsa_user_sgpr_count 2
		.amdhsa_user_sgpr_dispatch_ptr 0
		.amdhsa_user_sgpr_queue_ptr 0
		.amdhsa_user_sgpr_kernarg_segment_ptr 1
		.amdhsa_user_sgpr_dispatch_id 0
		.amdhsa_user_sgpr_kernarg_preload_length 0
		.amdhsa_user_sgpr_kernarg_preload_offset 0
		.amdhsa_user_sgpr_private_segment_size 0
		.amdhsa_uses_dynamic_stack 0
		.amdhsa_enable_private_segment 0
		.amdhsa_system_sgpr_workgroup_id_x 1
		.amdhsa_system_sgpr_workgroup_id_y 0
		.amdhsa_system_sgpr_workgroup_id_z 0
		.amdhsa_system_sgpr_workgroup_info 0
		.amdhsa_system_vgpr_workitem_id 0
		.amdhsa_next_free_vgpr 18
		.amdhsa_next_free_sgpr 36
		.amdhsa_accum_offset 20
		.amdhsa_reserve_vcc 1
		.amdhsa_float_round_mode_32 0
		.amdhsa_float_round_mode_16_64 0
		.amdhsa_float_denorm_mode_32 3
		.amdhsa_float_denorm_mode_16_64 3
		.amdhsa_dx10_clamp 1
		.amdhsa_ieee_mode 1
		.amdhsa_fp16_overflow 0
		.amdhsa_tg_split 0
		.amdhsa_exception_fp_ieee_invalid_op 0
		.amdhsa_exception_fp_denorm_src 0
		.amdhsa_exception_fp_ieee_div_zero 0
		.amdhsa_exception_fp_ieee_overflow 0
		.amdhsa_exception_fp_ieee_underflow 0
		.amdhsa_exception_fp_ieee_inexact 0
		.amdhsa_exception_int_div_zero 0
	.end_amdhsa_kernel
	.section	.text._ZL33csrmvn_symm_large_adaptive_kernelIiiddddEvbT_PKS0_N9rocsparse24const_host_device_scalarIT4_EES2_PKT0_PKT1_PKT2_S6_PT3_21rocsparse_index_base_b,"axG",@progbits,_ZL33csrmvn_symm_large_adaptive_kernelIiiddddEvbT_PKS0_N9rocsparse24const_host_device_scalarIT4_EES2_PKT0_PKT1_PKT2_S6_PT3_21rocsparse_index_base_b,comdat
.Lfunc_end14:
	.size	_ZL33csrmvn_symm_large_adaptive_kernelIiiddddEvbT_PKS0_N9rocsparse24const_host_device_scalarIT4_EES2_PKT0_PKT1_PKT2_S6_PT3_21rocsparse_index_base_b, .Lfunc_end14-_ZL33csrmvn_symm_large_adaptive_kernelIiiddddEvbT_PKS0_N9rocsparse24const_host_device_scalarIT4_EES2_PKT0_PKT1_PKT2_S6_PT3_21rocsparse_index_base_b
                                        ; -- End function
	.set _ZL33csrmvn_symm_large_adaptive_kernelIiiddddEvbT_PKS0_N9rocsparse24const_host_device_scalarIT4_EES2_PKT0_PKT1_PKT2_S6_PT3_21rocsparse_index_base_b.num_vgpr, 18
	.set _ZL33csrmvn_symm_large_adaptive_kernelIiiddddEvbT_PKS0_N9rocsparse24const_host_device_scalarIT4_EES2_PKT0_PKT1_PKT2_S6_PT3_21rocsparse_index_base_b.num_agpr, 0
	.set _ZL33csrmvn_symm_large_adaptive_kernelIiiddddEvbT_PKS0_N9rocsparse24const_host_device_scalarIT4_EES2_PKT0_PKT1_PKT2_S6_PT3_21rocsparse_index_base_b.numbered_sgpr, 36
	.set _ZL33csrmvn_symm_large_adaptive_kernelIiiddddEvbT_PKS0_N9rocsparse24const_host_device_scalarIT4_EES2_PKT0_PKT1_PKT2_S6_PT3_21rocsparse_index_base_b.num_named_barrier, 0
	.set _ZL33csrmvn_symm_large_adaptive_kernelIiiddddEvbT_PKS0_N9rocsparse24const_host_device_scalarIT4_EES2_PKT0_PKT1_PKT2_S6_PT3_21rocsparse_index_base_b.private_seg_size, 0
	.set _ZL33csrmvn_symm_large_adaptive_kernelIiiddddEvbT_PKS0_N9rocsparse24const_host_device_scalarIT4_EES2_PKT0_PKT1_PKT2_S6_PT3_21rocsparse_index_base_b.uses_vcc, 1
	.set _ZL33csrmvn_symm_large_adaptive_kernelIiiddddEvbT_PKS0_N9rocsparse24const_host_device_scalarIT4_EES2_PKT0_PKT1_PKT2_S6_PT3_21rocsparse_index_base_b.uses_flat_scratch, 0
	.set _ZL33csrmvn_symm_large_adaptive_kernelIiiddddEvbT_PKS0_N9rocsparse24const_host_device_scalarIT4_EES2_PKT0_PKT1_PKT2_S6_PT3_21rocsparse_index_base_b.has_dyn_sized_stack, 0
	.set _ZL33csrmvn_symm_large_adaptive_kernelIiiddddEvbT_PKS0_N9rocsparse24const_host_device_scalarIT4_EES2_PKT0_PKT1_PKT2_S6_PT3_21rocsparse_index_base_b.has_recursion, 0
	.set _ZL33csrmvn_symm_large_adaptive_kernelIiiddddEvbT_PKS0_N9rocsparse24const_host_device_scalarIT4_EES2_PKT0_PKT1_PKT2_S6_PT3_21rocsparse_index_base_b.has_indirect_call, 0
	.section	.AMDGPU.csdata,"",@progbits
; Kernel info:
; codeLenInByte = 1464
; TotalNumSgprs: 42
; NumVgprs: 18
; NumAgprs: 0
; TotalNumVgprs: 18
; ScratchSize: 0
; MemoryBound: 0
; FloatMode: 240
; IeeeMode: 1
; LDSByteSize: 8192 bytes/workgroup (compile time only)
; SGPRBlocks: 5
; VGPRBlocks: 2
; NumSGPRsForWavesPerEU: 42
; NumVGPRsForWavesPerEU: 18
; AccumOffset: 20
; Occupancy: 8
; WaveLimiterHint : 1
; COMPUTE_PGM_RSRC2:SCRATCH_EN: 0
; COMPUTE_PGM_RSRC2:USER_SGPR: 2
; COMPUTE_PGM_RSRC2:TRAP_HANDLER: 0
; COMPUTE_PGM_RSRC2:TGID_X_EN: 1
; COMPUTE_PGM_RSRC2:TGID_Y_EN: 0
; COMPUTE_PGM_RSRC2:TGID_Z_EN: 0
; COMPUTE_PGM_RSRC2:TIDIG_COMP_CNT: 0
; COMPUTE_PGM_RSRC3_GFX90A:ACCUM_OFFSET: 4
; COMPUTE_PGM_RSRC3_GFX90A:TG_SPLIT: 0
	.section	.text._ZN9rocsparseL22csrmvn_adaptive_kernelIliddddEEvbT_PKS1_PjPKT0_NS_24const_host_device_scalarIT4_EES3_S7_PKT1_PKT2_SA_PT3_21rocsparse_index_base_b,"axG",@progbits,_ZN9rocsparseL22csrmvn_adaptive_kernelIliddddEEvbT_PKS1_PjPKT0_NS_24const_host_device_scalarIT4_EES3_S7_PKT1_PKT2_SA_PT3_21rocsparse_index_base_b,comdat
	.globl	_ZN9rocsparseL22csrmvn_adaptive_kernelIliddddEEvbT_PKS1_PjPKT0_NS_24const_host_device_scalarIT4_EES3_S7_PKT1_PKT2_SA_PT3_21rocsparse_index_base_b ; -- Begin function _ZN9rocsparseL22csrmvn_adaptive_kernelIliddddEEvbT_PKS1_PjPKT0_NS_24const_host_device_scalarIT4_EES3_S7_PKT1_PKT2_SA_PT3_21rocsparse_index_base_b
	.p2align	8
	.type	_ZN9rocsparseL22csrmvn_adaptive_kernelIliddddEEvbT_PKS1_PjPKT0_NS_24const_host_device_scalarIT4_EES3_S7_PKT1_PKT2_SA_PT3_21rocsparse_index_base_b,@function
_ZN9rocsparseL22csrmvn_adaptive_kernelIliddddEEvbT_PKS1_PjPKT0_NS_24const_host_device_scalarIT4_EES3_S7_PKT1_PKT2_SA_PT3_21rocsparse_index_base_b: ; @_ZN9rocsparseL22csrmvn_adaptive_kernelIliddddEEvbT_PKS1_PjPKT0_NS_24const_host_device_scalarIT4_EES3_S7_PKT1_PKT2_SA_PT3_21rocsparse_index_base_b
; %bb.0:
	s_load_dwordx2 s[42:43], s[0:1], 0x60
	s_load_dwordx2 s[8:9], s[0:1], 0x28
	;; [unrolled: 1-line block ×3, first 2 shown]
	s_waitcnt lgkmcnt(0)
	s_bitcmp1_b32 s43, 0
	s_cselect_b64 s[10:11], -1, 0
	s_xor_b64 s[6:7], s[10:11], -1
	s_and_b64 vcc, exec, s[10:11]
	v_mov_b64_e32 v[2:3], s[8:9]
	s_cbranch_vccnz .LBB15_2
; %bb.1:
	v_mov_b64_e32 v[2:3], s[8:9]
	flat_load_dwordx2 v[2:3], v[2:3]
.LBB15_2:
	s_andn2_b64 vcc, exec, s[6:7]
	v_mov_b64_e32 v[6:7], s[4:5]
	s_cbranch_vccnz .LBB15_4
; %bb.3:
	v_mov_b64_e32 v[4:5], s[4:5]
	flat_load_dwordx2 v[6:7], v[4:5]
.LBB15_4:
	s_waitcnt vmcnt(0) lgkmcnt(0)
	v_cmp_neq_f64_e32 vcc, 0, v[2:3]
	v_cmp_neq_f64_e64 s[4:5], 1.0, v[6:7]
	s_or_b64 s[4:5], vcc, s[4:5]
	s_and_saveexec_b64 s[6:7], s[4:5]
	s_cbranch_execz .LBB15_115
; %bb.5:
	s_load_dwordx2 s[4:5], s[0:1], 0x10
	s_load_dwordx2 s[6:7], s[0:1], 0x20
	s_ashr_i32 s3, s2, 31
	s_lshl_b64 s[8:9], s[2:3], 3
	s_waitcnt lgkmcnt(0)
	s_add_u32 s4, s4, s8
	s_addc_u32 s5, s5, s9
	s_load_dwordx4 s[36:39], s[4:5], 0x0
	s_load_dwordx2 s[22:23], s[0:1], 0x58
	s_load_dwordx8 s[24:31], s[0:1], 0x30
	s_lshl_b64 s[46:47], s[2:3], 2
	s_waitcnt lgkmcnt(0)
	s_sub_i32 s3, s38, s36
	s_add_u32 s4, s6, s46
	s_addc_u32 s5, s7, s47
	s_lshl_b64 s[44:45], s[36:37], 3
	s_add_u32 s34, s24, s44
	s_addc_u32 s35, s25, s45
	s_load_dword s33, s[4:5], 0x0
	s_load_dwordx2 s[40:41], s[34:35], 0x0
	s_cmp_lt_i32 s3, 2
	s_mov_b64 s[4:5], -1
	s_cbranch_scc0 .LBB15_71
; %bb.6:
	s_cmp_lg_u32 s3, 1
	s_cselect_b64 s[4:5], -1, 0
	s_waitcnt lgkmcnt(0)
	s_cmp_lg_u32 s33, 0
	s_cselect_b64 s[6:7], -1, 0
	s_or_b64 s[6:7], s[4:5], s[6:7]
	s_mov_b64 s[4:5], -1
	s_and_b64 vcc, exec, s[6:7]
	s_cbranch_vccnz .LBB15_35
; %bb.7:
	v_mov_b64_e32 v[4:5], s[36:37]
	v_cmp_le_i64_e32 vcc, s[38:39], v[4:5]
	s_cbranch_vccnz .LBB15_34
; %bb.8:
	v_subrev_co_u32_e32 v4, vcc, s42, v0
	s_movk_i32 s3, 0x80
	s_nop 0
	v_subb_co_u32_e64 v5, s[4:5], 0, 0, vcc
	v_mov_b32_e32 v1, 0
	v_lshlrev_b32_e32 v18, 3, v0
	v_cmp_gt_u32_e64 s[4:5], s3, v0
	v_cmp_gt_u32_e64 s[6:7], 64, v0
	;; [unrolled: 1-line block ×7, first 2 shown]
	v_cmp_eq_u32_e64 s[18:19], 0, v0
	v_cmp_neq_f64_e64 s[20:21], 0, v[6:7]
	s_mov_b64 s[48:49], 0x100
	s_mov_b64 s[50:51], 0x800
	s_mov_b64 s[52:53], 0x400
	v_mov_b64_e32 v[8:9], s[38:39]
	s_mov_b64 s[54:55], s[36:37]
	s_branch .LBB15_11
.LBB15_9:                               ;   in Loop: Header=BB15_11 Depth=1
	s_or_b64 exec, exec, s[60:61]
	s_add_u32 s56, s22, s56
	s_addc_u32 s57, s23, s57
	s_waitcnt lgkmcnt(0)
	global_store_dwordx2 v1, v[10:11], s[56:57]
.LBB15_10:                              ;   in Loop: Header=BB15_11 Depth=1
	s_or_b64 exec, exec, s[58:59]
	s_add_u32 s54, s54, 1
	s_addc_u32 s55, s55, 0
	v_cmp_ge_i64_e32 vcc, s[54:55], v[8:9]
	s_cbranch_vccnz .LBB15_34
.LBB15_11:                              ; =>This Loop Header: Depth=1
                                        ;     Child Loop BB15_13 Depth 2
	s_lshl_b64 s[56:57], s[54:55], 3
	s_add_u32 s58, s24, s56
	s_addc_u32 s59, s25, s57
	s_load_dwordx4 s[60:63], s[58:59], 0x0
	v_mov_b64_e32 v[10:11], 0
	s_waitcnt lgkmcnt(0)
	s_sub_u32 s58, s62, s42
	v_lshl_add_u64 v[12:13], s[60:61], 0, v[4:5]
	s_subb_u32 s59, s63, 0
	v_cmp_gt_i64_e32 vcc, s[58:59], v[12:13]
	s_and_saveexec_b64 s[60:61], vcc
	s_cbranch_execz .LBB15_15
; %bb.12:                               ;   in Loop: Header=BB15_11 Depth=1
	v_lshl_add_u64 v[14:15], v[12:13], 3, s[28:29]
	v_lshl_add_u64 v[16:17], v[12:13], 2, s[26:27]
	v_mov_b64_e32 v[10:11], 0
	s_mov_b64 s[62:63], 0
.LBB15_13:                              ;   Parent Loop BB15_11 Depth=1
                                        ; =>  This Inner Loop Header: Depth=2
	global_load_dword v19, v[16:17], off
	global_load_dwordx2 v[20:21], v[14:15], off
	v_lshl_add_u64 v[12:13], v[12:13], 0, s[48:49]
	v_cmp_le_i64_e32 vcc, s[58:59], v[12:13]
	v_lshl_add_u64 v[14:15], v[14:15], 0, s[50:51]
	v_lshl_add_u64 v[16:17], v[16:17], 0, s[52:53]
	s_or_b64 s[62:63], vcc, s[62:63]
	s_waitcnt vmcnt(1)
	v_subrev_u32_e32 v22, s42, v19
	v_ashrrev_i32_e32 v23, 31, v22
	v_lshl_add_u64 v[22:23], v[22:23], 3, s[30:31]
	global_load_dwordx2 v[22:23], v[22:23], off
	s_waitcnt vmcnt(1)
	v_mul_f64 v[20:21], v[2:3], v[20:21]
	s_waitcnt vmcnt(0)
	v_fmac_f64_e32 v[10:11], v[20:21], v[22:23]
	s_andn2_b64 exec, exec, s[62:63]
	s_cbranch_execnz .LBB15_13
; %bb.14:                               ;   in Loop: Header=BB15_11 Depth=1
	s_or_b64 exec, exec, s[62:63]
.LBB15_15:                              ;   in Loop: Header=BB15_11 Depth=1
	s_or_b64 exec, exec, s[60:61]
	ds_write_b64 v18, v[10:11]
	s_waitcnt lgkmcnt(0)
	s_barrier
	s_and_saveexec_b64 s[58:59], s[4:5]
	s_cbranch_execz .LBB15_17
; %bb.16:                               ;   in Loop: Header=BB15_11 Depth=1
	ds_read2st64_b64 v[10:13], v18 offset1:2
	s_waitcnt lgkmcnt(0)
	v_add_f64 v[10:11], v[10:11], v[12:13]
	ds_write_b64 v18, v[10:11]
.LBB15_17:                              ;   in Loop: Header=BB15_11 Depth=1
	s_or_b64 exec, exec, s[58:59]
	s_waitcnt lgkmcnt(0)
	s_barrier
	s_and_saveexec_b64 s[58:59], s[6:7]
	s_cbranch_execz .LBB15_19
; %bb.18:                               ;   in Loop: Header=BB15_11 Depth=1
	ds_read2st64_b64 v[10:13], v18 offset1:1
	s_waitcnt lgkmcnt(0)
	v_add_f64 v[10:11], v[10:11], v[12:13]
	ds_write_b64 v18, v[10:11]
.LBB15_19:                              ;   in Loop: Header=BB15_11 Depth=1
	s_or_b64 exec, exec, s[58:59]
	s_waitcnt lgkmcnt(0)
	s_barrier
	s_and_saveexec_b64 s[58:59], s[8:9]
	s_cbranch_execz .LBB15_21
; %bb.20:                               ;   in Loop: Header=BB15_11 Depth=1
	ds_read2_b64 v[10:13], v18 offset1:32
	s_waitcnt lgkmcnt(0)
	v_add_f64 v[10:11], v[10:11], v[12:13]
	ds_write_b64 v18, v[10:11]
.LBB15_21:                              ;   in Loop: Header=BB15_11 Depth=1
	s_or_b64 exec, exec, s[58:59]
	s_waitcnt lgkmcnt(0)
	s_barrier
	s_and_saveexec_b64 s[58:59], s[10:11]
	s_cbranch_execz .LBB15_23
; %bb.22:                               ;   in Loop: Header=BB15_11 Depth=1
	ds_read2_b64 v[10:13], v18 offset1:16
	s_waitcnt lgkmcnt(0)
	v_add_f64 v[10:11], v[10:11], v[12:13]
	ds_write_b64 v18, v[10:11]
.LBB15_23:                              ;   in Loop: Header=BB15_11 Depth=1
	;; [unrolled: 11-line block ×5, first 2 shown]
	s_or_b64 exec, exec, s[58:59]
	s_waitcnt lgkmcnt(0)
	s_barrier
	s_and_saveexec_b64 s[58:59], s[18:19]
	s_cbranch_execz .LBB15_31
; %bb.30:                               ;   in Loop: Header=BB15_11 Depth=1
	ds_read_b128 v[10:13], v1
	s_waitcnt lgkmcnt(0)
	v_add_f64 v[10:11], v[10:11], v[12:13]
	ds_write_b64 v1, v[10:11]
.LBB15_31:                              ;   in Loop: Header=BB15_11 Depth=1
	s_or_b64 exec, exec, s[58:59]
	s_waitcnt lgkmcnt(0)
	s_barrier
	s_and_saveexec_b64 s[58:59], s[18:19]
	s_cbranch_execz .LBB15_10
; %bb.32:                               ;   in Loop: Header=BB15_11 Depth=1
	ds_read_b64 v[10:11], v1
	s_and_saveexec_b64 s[60:61], s[20:21]
	s_cbranch_execz .LBB15_9
; %bb.33:                               ;   in Loop: Header=BB15_11 Depth=1
	s_add_u32 s62, s22, s56
	s_addc_u32 s63, s23, s57
	global_load_dwordx2 v[12:13], v1, s[62:63]
	s_waitcnt vmcnt(0) lgkmcnt(0)
	v_fmac_f64_e32 v[10:11], v[6:7], v[12:13]
	s_branch .LBB15_9
.LBB15_34:
	s_mov_b64 s[4:5], 0
.LBB15_35:
	s_andn2_b64 vcc, exec, s[4:5]
	s_cbranch_vccnz .LBB15_70
; %bb.36:
	s_load_dwordx2 s[4:5], s[0:1], 0x18
	s_sub_i32 s6, s2, s33
	v_mov_b32_e32 v1, 0
	v_or_b32_e32 v4, s33, v0
	v_cmp_eq_u32_e32 vcc, 0, v4
	s_waitcnt lgkmcnt(0)
	s_add_u32 s2, s4, s46
	s_addc_u32 s3, s5, s47
	global_load_dword v14, v1, s[2:3]
	v_mov_b64_e32 v[4:5], 0
	s_and_saveexec_b64 s[8:9], vcc
	s_cbranch_execz .LBB15_40
; %bb.37:
	s_add_u32 s12, s22, s44
	s_addc_u32 s13, s23, s45
	global_load_dwordx2 v[4:5], v1, s[12:13]
	s_mov_b64 s[10:11], exec
	v_mbcnt_lo_u32_b32 v10, s10, 0
	v_mbcnt_hi_u32_b32 v10, s11, v10
	v_add_f64 v[8:9], v[6:7], -1.0
	v_cmp_eq_u32_e32 vcc, 0, v10
	s_waitcnt vmcnt(0) expcnt(0) lgkmcnt(0)
	s_and_saveexec_b64 s[12:13], vcc
	s_cbranch_execz .LBB15_39
; %bb.38:
	s_ashr_i32 s7, s6, 31
	s_lshl_b64 s[14:15], s[6:7], 2
	s_add_u32 s14, s4, s14
	s_addc_u32 s15, s5, s15
	s_bcnt1_i32_b64 s7, s[10:11]
	s_and_b32 s7, s7, 1
	v_mov_b32_e32 v10, 0
	v_mov_b32_e32 v11, s7
	global_atomic_xor v10, v11, s[14:15]
.LBB15_39:
	s_or_b64 exec, exec, s[12:13]
	v_mul_f64 v[4:5], v[8:9], v[4:5]
.LBB15_40:
	s_or_b64 exec, exec, s[8:9]
	s_load_dwordx2 s[8:9], s[34:35], 0x8
	s_sub_u32 s11, s40, s42
	s_mul_i32 s10, s33, 0xc00
	s_subb_u32 s13, s41, 0
	s_mul_hi_i32 s7, s33, 0xc00
	s_add_u32 s12, s11, s10
	s_addc_u32 s13, s13, s7
	s_waitcnt lgkmcnt(0)
	s_sub_u32 s10, s8, s42
	s_subb_u32 s11, s9, 0
	v_lshl_add_u64 v[8:9], s[12:13], 0, v[0:1]
	v_cmp_gt_i64_e32 vcc, s[10:11], v[8:9]
	s_and_saveexec_b64 s[8:9], vcc
	s_cbranch_execz .LBB15_44
; %bb.41:
	s_add_u32 s12, s12, 0xc00
	s_addc_u32 s13, s13, 0
	v_mov_b64_e32 v[10:11], s[10:11]
	v_cmp_lt_i64_e32 vcc, s[12:13], v[10:11]
	s_and_b64 s[14:15], vcc, exec
	s_cselect_b32 s11, s13, s11
	s_cselect_b32 s10, s12, s10
	v_lshl_add_u64 v[10:11], v[8:9], 3, s[28:29]
	v_lshl_add_u64 v[12:13], v[8:9], 2, s[26:27]
	s_mov_b64 s[12:13], 0
	s_mov_b64 s[14:15], 0x100
	s_mov_b64 s[16:17], 0x800
	s_mov_b64 s[18:19], 0x400
.LBB15_42:                              ; =>This Inner Loop Header: Depth=1
	global_load_dword v1, v[12:13], off
	global_load_dwordx2 v[16:17], v[10:11], off
	v_lshl_add_u64 v[8:9], v[8:9], 0, s[14:15]
	v_cmp_le_i64_e32 vcc, s[10:11], v[8:9]
	v_lshl_add_u64 v[10:11], v[10:11], 0, s[16:17]
	v_lshl_add_u64 v[12:13], v[12:13], 0, s[18:19]
	s_or_b64 s[12:13], vcc, s[12:13]
	s_waitcnt vmcnt(1)
	v_subrev_u32_e32 v18, s42, v1
	v_ashrrev_i32_e32 v19, 31, v18
	v_lshl_add_u64 v[18:19], v[18:19], 3, s[30:31]
	global_load_dwordx2 v[18:19], v[18:19], off
	s_waitcnt vmcnt(1)
	v_mul_f64 v[16:17], v[2:3], v[16:17]
	s_waitcnt vmcnt(0)
	v_fmac_f64_e32 v[4:5], v[16:17], v[18:19]
	s_andn2_b64 exec, exec, s[12:13]
	s_cbranch_execnz .LBB15_42
; %bb.43:
	s_or_b64 exec, exec, s[12:13]
.LBB15_44:
	s_or_b64 exec, exec, s[8:9]
	s_movk_i32 s7, 0x80
	v_lshlrev_b32_e32 v1, 3, v0
	v_cmp_gt_u32_e32 vcc, s7, v0
	ds_write_b64 v1, v[4:5]
	s_waitcnt lgkmcnt(0)
	s_barrier
	s_and_saveexec_b64 s[8:9], vcc
	s_cbranch_execz .LBB15_46
; %bb.45:
	ds_read2st64_b64 v[8:11], v1 offset1:2
	s_waitcnt lgkmcnt(0)
	v_add_f64 v[4:5], v[8:9], v[10:11]
	ds_write_b64 v1, v[4:5]
.LBB15_46:
	s_or_b64 exec, exec, s[8:9]
	v_cmp_gt_u32_e32 vcc, 64, v0
	s_waitcnt lgkmcnt(0)
	s_barrier
	s_and_saveexec_b64 s[8:9], vcc
	s_cbranch_execz .LBB15_48
; %bb.47:
	ds_read2st64_b64 v[8:11], v1 offset1:1
	s_waitcnt lgkmcnt(0)
	v_add_f64 v[4:5], v[8:9], v[10:11]
	ds_write_b64 v1, v[4:5]
.LBB15_48:
	s_or_b64 exec, exec, s[8:9]
	v_cmp_gt_u32_e32 vcc, 32, v0
	s_waitcnt lgkmcnt(0)
	s_barrier
	s_and_saveexec_b64 s[8:9], vcc
	s_cbranch_execz .LBB15_50
; %bb.49:
	ds_read2_b64 v[8:11], v1 offset1:32
	s_waitcnt lgkmcnt(0)
	v_add_f64 v[4:5], v[8:9], v[10:11]
	ds_write_b64 v1, v[4:5]
.LBB15_50:
	s_or_b64 exec, exec, s[8:9]
	v_cmp_gt_u32_e32 vcc, 16, v0
	s_waitcnt lgkmcnt(0)
	s_barrier
	s_and_saveexec_b64 s[8:9], vcc
	s_cbranch_execz .LBB15_52
; %bb.51:
	ds_read2_b64 v[8:11], v1 offset1:16
	s_waitcnt lgkmcnt(0)
	v_add_f64 v[4:5], v[8:9], v[10:11]
	ds_write_b64 v1, v[4:5]
.LBB15_52:
	;; [unrolled: 12-line block ×5, first 2 shown]
	s_or_b64 exec, exec, s[8:9]
	v_cmp_eq_u32_e32 vcc, 0, v0
	s_waitcnt lgkmcnt(0)
	s_barrier
	s_and_saveexec_b64 s[8:9], vcc
	s_cbranch_execz .LBB15_60
; %bb.59:
	v_mov_b32_e32 v1, 0
	ds_read_b128 v[8:11], v1
	s_waitcnt lgkmcnt(0)
	v_add_f64 v[4:5], v[8:9], v[10:11]
	ds_write_b64 v1, v[4:5]
.LBB15_60:
	s_or_b64 exec, exec, s[8:9]
	s_waitcnt lgkmcnt(0)
	s_barrier
	s_and_saveexec_b64 s[8:9], vcc
	s_cbranch_execz .LBB15_69
; %bb.61:
	s_cmp_eq_u32 s33, 0
	s_cbranch_scc1 .LBB15_67
; %bb.62:
	s_ashr_i32 s7, s6, 31
	s_lshl_b64 s[6:7], s[6:7], 2
	s_add_u32 s4, s4, s6
	s_addc_u32 s5, s5, s7
	v_mov_b32_e32 v1, 0
	s_branch .LBB15_64
.LBB15_63:                              ;   in Loop: Header=BB15_64 Depth=1
	s_or_b64 exec, exec, s[6:7]
	s_waitcnt vmcnt(0)
	v_readfirstlane_b32 s6, v4
	s_nop 1
	v_cmp_eq_u32_e32 vcc, s6, v14
	s_cbranch_vccz .LBB15_66
.LBB15_64:                              ; =>This Inner Loop Header: Depth=1
	v_mbcnt_lo_u32_b32 v4, exec_lo, 0
	v_mbcnt_hi_u32_b32 v4, exec_hi, v4
	v_cmp_eq_u32_e32 vcc, 0, v4
                                        ; implicit-def: $vgpr4
	s_and_saveexec_b64 s[6:7], vcc
	s_cbranch_execz .LBB15_63
; %bb.65:                               ;   in Loop: Header=BB15_64 Depth=1
	global_load_dword v4, v1, s[4:5] sc1
	s_branch .LBB15_63
.LBB15_66:
	v_mov_b32_e32 v1, 0
	global_load_ushort v4, v1, s[2:3]
	s_waitcnt vmcnt(0)
	v_xor_b32_e32 v4, 1, v4
	global_store_short v1, v4, s[2:3]
.LBB15_67:
	s_mov_b64 s[2:3], exec
	v_mbcnt_lo_u32_b32 v1, s2, 0
	v_mbcnt_hi_u32_b32 v1, s3, v1
	v_cmp_eq_u32_e32 vcc, 0, v1
	s_and_b64 s[4:5], exec, vcc
	s_mov_b64 exec, s[4:5]
	s_cbranch_execz .LBB15_69
; %bb.68:
	v_mov_b32_e32 v1, 0
	ds_read_b64 v[4:5], v1
	s_add_u32 s4, s22, s44
	s_addc_u32 s5, s23, s45
	s_bcnt1_i32_b64 s2, s[2:3]
	v_cvt_f64_u32_e32 v[8:9], s2
	s_waitcnt lgkmcnt(0)
	v_mul_f64 v[4:5], v[4:5], v[8:9]
	global_atomic_add_f64 v1, v[4:5], s[4:5]
.LBB15_69:
	s_or_b64 exec, exec, s[8:9]
.LBB15_70:
	s_mov_b64 s[4:5], 0
.LBB15_71:
	s_andn2_b64 vcc, exec, s[4:5]
	s_cbranch_vccnz .LBB15_115
; %bb.72:
	s_load_dwordx2 s[0:1], s[0:1], 0x8
	v_subrev_co_u32_e32 v4, vcc, s42, v0
	v_mov_b32_e32 v1, 0
	s_nop 0
	v_subb_co_u32_e64 v5, s[2:3], 0, 0, vcc
	s_waitcnt lgkmcnt(0)
	v_lshl_add_u64 v[4:5], s[40:41], 0, v[4:5]
	s_mov_b64 s[2:3], 0x300
	v_lshl_add_u64 v[8:9], v[4:5], 0, s[2:3]
	v_cmp_le_i64_e32 vcc, s[0:1], v[8:9]
	s_and_saveexec_b64 s[0:1], vcc
	s_xor_b64 s[0:1], exec, s[0:1]
	s_cbranch_execz .LBB15_77
; %bb.73:
	s_lshl_b64 s[2:3], s[38:39], 3
	s_add_u32 s2, s24, s2
	s_addc_u32 s3, s25, s3
	s_load_dwordx2 s[2:3], s[2:3], 0x0
	s_waitcnt lgkmcnt(0)
	s_sub_u32 s2, s2, s42
	s_subb_u32 s3, s3, 0
	v_cmp_gt_i64_e32 vcc, s[2:3], v[4:5]
	s_and_saveexec_b64 s[4:5], vcc
	s_cbranch_execz .LBB15_76
; %bb.74:
	v_lshlrev_b32_e32 v12, 3, v0
	v_lshl_add_u64 v[8:9], v[4:5], 3, s[28:29]
	v_lshl_add_u64 v[10:11], v[4:5], 2, s[26:27]
	s_mov_b64 s[6:7], 0
	s_mov_b64 s[8:9], 0x100
	s_mov_b64 s[10:11], 0x800
	s_mov_b64 s[12:13], 0x400
.LBB15_75:                              ; =>This Inner Loop Header: Depth=1
	global_load_dword v13, v[10:11], off
	global_load_dwordx2 v[14:15], v[8:9], off
	v_lshl_add_u64 v[4:5], v[4:5], 0, s[8:9]
	v_cmp_le_i64_e32 vcc, s[2:3], v[4:5]
	v_lshl_add_u64 v[8:9], v[8:9], 0, s[10:11]
	v_lshl_add_u64 v[10:11], v[10:11], 0, s[12:13]
	s_or_b64 s[6:7], vcc, s[6:7]
	s_waitcnt vmcnt(1)
	v_subrev_u32_e32 v16, s42, v13
	v_ashrrev_i32_e32 v17, 31, v16
	v_lshl_add_u64 v[16:17], v[16:17], 3, s[30:31]
	global_load_dwordx2 v[16:17], v[16:17], off
	s_waitcnt vmcnt(1)
	v_mul_f64 v[14:15], v[2:3], v[14:15]
	s_waitcnt vmcnt(0)
	v_mul_f64 v[14:15], v[14:15], v[16:17]
	ds_write_b64 v12, v[14:15]
	v_add_u32_e32 v12, 0x800, v12
	s_andn2_b64 exec, exec, s[6:7]
	s_cbranch_execnz .LBB15_75
.LBB15_76:
	s_or_b64 exec, exec, s[4:5]
                                        ; implicit-def: $vgpr4_vgpr5
                                        ; implicit-def: $vgpr2_vgpr3
.LBB15_77:
	s_or_saveexec_b64 s[0:1], s[0:1]
	v_lshlrev_b32_e32 v10, 3, v0
	s_xor_b64 exec, exec, s[0:1]
	s_cbranch_execz .LBB15_79
; %bb.78:
	v_lshl_add_u64 v[8:9], v[4:5], 2, s[26:27]
	global_load_dword v11, v[8:9], off
	global_load_dword v18, v[8:9], off offset:1024
	global_load_dword v19, v[8:9], off offset:2048
	;; [unrolled: 1-line block ×3, first 2 shown]
	v_lshl_add_u64 v[4:5], v[4:5], 3, s[28:29]
	s_movk_i32 s2, 0x1000
	global_load_dwordx2 v[8:9], v[4:5], off
	global_load_dwordx2 v[12:13], v[4:5], off offset:2048
	v_add_co_u32_e32 v4, vcc, s2, v4
	s_waitcnt vmcnt(4)
	v_subrev_u32_e32 v18, s42, v18
	v_addc_co_u32_e32 v5, vcc, 0, v5, vcc
	global_load_dwordx2 v[14:15], v[4:5], off
	global_load_dwordx2 v[16:17], v[4:5], off offset:2048
	v_subrev_u32_e32 v4, s42, v11
	s_waitcnt vmcnt(5)
	v_subrev_u32_e32 v20, s42, v19
	s_waitcnt vmcnt(4)
	v_subrev_u32_e32 v22, s42, v21
	v_ashrrev_i32_e32 v5, 31, v4
	v_ashrrev_i32_e32 v19, 31, v18
	;; [unrolled: 1-line block ×4, first 2 shown]
	v_lshl_add_u64 v[4:5], v[4:5], 3, s[30:31]
	v_lshl_add_u64 v[18:19], v[18:19], 3, s[30:31]
	;; [unrolled: 1-line block ×4, first 2 shown]
	global_load_dwordx2 v[24:25], v[4:5], off
	global_load_dwordx2 v[26:27], v[18:19], off
	;; [unrolled: 1-line block ×4, first 2 shown]
	s_waitcnt vmcnt(7)
	v_mul_f64 v[4:5], v[2:3], v[8:9]
	s_waitcnt vmcnt(6)
	v_mul_f64 v[8:9], v[2:3], v[12:13]
	;; [unrolled: 2-line block ×8, first 2 shown]
	ds_write2st64_b64 v10, v[4:5], v[8:9] offset1:4
	ds_write2st64_b64 v10, v[12:13], v[2:3] offset0:8 offset1:12
.LBB15_79:
	s_or_b64 exec, exec, s[0:1]
	s_cmp_lt_i32 s33, 2
	s_mov_b64 s[0:1], -1
	s_waitcnt lgkmcnt(0)
	s_barrier
	s_cbranch_scc0 .LBB15_90
; %bb.80:
	v_lshl_add_u64 v[8:9], s[36:37], 0, v[0:1]
	v_cmp_gt_i64_e32 vcc, s[38:39], v[8:9]
	s_and_saveexec_b64 s[2:3], vcc
	s_cbranch_execz .LBB15_89
; %bb.81:
	s_lshl_b32 s0, s40, 3
	s_mov_b64 s[4:5], 0
	v_cmp_neq_f64_e32 vcc, 0, v[6:7]
	s_sub_i32 s12, 0, s0
	s_mov_b64 s[6:7], 0x100
	s_branch .LBB15_83
.LBB15_82:                              ;   in Loop: Header=BB15_83 Depth=1
	s_or_b64 exec, exec, s[0:1]
	v_lshl_add_u64 v[8:9], v[8:9], 0, s[6:7]
	v_cmp_le_i64_e64 s[0:1], s[38:39], v[8:9]
	s_or_b64 s[4:5], s[0:1], s[4:5]
	global_store_dwordx2 v[2:3], v[4:5], off
	s_andn2_b64 exec, exec, s[4:5]
	s_cbranch_execz .LBB15_89
.LBB15_83:                              ; =>This Loop Header: Depth=1
                                        ;     Child Loop BB15_85 Depth 2
	v_lshl_add_u64 v[2:3], v[8:9], 3, s[24:25]
	global_load_dwordx4 v[2:5], v[2:3], off
	s_waitcnt vmcnt(0)
	v_subrev_u32_e32 v1, s40, v2
	v_subrev_u32_e32 v3, s40, v4
	v_cmp_lt_i32_e64 s[0:1], v1, v3
	v_mov_b64_e32 v[4:5], 0
	s_and_saveexec_b64 s[8:9], s[0:1]
	s_cbranch_execz .LBB15_87
; %bb.84:                               ;   in Loop: Header=BB15_83 Depth=1
	v_lshl_add_u32 v2, v2, 3, s12
	v_mov_b64_e32 v[4:5], 0
	s_mov_b64 s[10:11], 0
.LBB15_85:                              ;   Parent Loop BB15_83 Depth=1
                                        ; =>  This Inner Loop Header: Depth=2
	ds_read_b64 v[12:13], v2
	v_add_u32_e32 v1, 1, v1
	v_cmp_ge_i32_e64 s[0:1], v1, v3
	v_add_u32_e32 v2, 8, v2
	s_or_b64 s[10:11], s[0:1], s[10:11]
	s_waitcnt lgkmcnt(0)
	v_add_f64 v[4:5], v[4:5], v[12:13]
	s_andn2_b64 exec, exec, s[10:11]
	s_cbranch_execnz .LBB15_85
; %bb.86:                               ;   in Loop: Header=BB15_83 Depth=1
	s_or_b64 exec, exec, s[10:11]
.LBB15_87:                              ;   in Loop: Header=BB15_83 Depth=1
	s_or_b64 exec, exec, s[8:9]
	v_lshl_add_u64 v[2:3], v[8:9], 3, s[22:23]
	s_and_saveexec_b64 s[0:1], vcc
	s_cbranch_execz .LBB15_82
; %bb.88:                               ;   in Loop: Header=BB15_83 Depth=1
	global_load_dwordx2 v[12:13], v[2:3], off
	s_waitcnt vmcnt(0)
	v_fmac_f64_e32 v[4:5], v[6:7], v[12:13]
	s_branch .LBB15_82
.LBB15_89:
	s_or_b64 exec, exec, s[2:3]
	s_mov_b64 s[0:1], 0
.LBB15_90:
	s_andn2_b64 vcc, exec, s[0:1]
	s_cbranch_vccnz .LBB15_115
; %bb.91:
	s_flbit_i32_b32 s0, s33
	s_xor_b32 s0, s0, 31
	v_lshrrev_b32_e32 v4, s0, v0
	v_mov_b32_e32 v5, 0
	v_lshl_add_u64 v[2:3], s[36:37], 0, v[4:5]
	s_add_i32 s0, s33, -1
	v_and_b32_e32 v5, s0, v0
	v_cmp_le_i64_e32 vcc, s[38:39], v[2:3]
	v_cmp_gt_i64_e64 s[0:1], s[38:39], v[2:3]
	v_mov_b64_e32 v[0:1], 0
	s_and_saveexec_b64 s[2:3], s[0:1]
	s_cbranch_execz .LBB15_97
; %bb.92:
	v_lshlrev_b32_e32 v0, 3, v4
	global_load_dword v1, v0, s[34:35] offset:8
	global_load_dword v8, v0, s[34:35]
	s_waitcnt vmcnt(1)
	v_subrev_u32_e32 v4, s40, v1
	s_waitcnt vmcnt(0)
	v_subrev_u32_e32 v0, s40, v8
	v_add_u32_e32 v8, v5, v0
	v_cmp_lt_i32_e64 s[0:1], v8, v4
	v_mov_b64_e32 v[0:1], 0
	s_and_saveexec_b64 s[4:5], s[0:1]
	s_cbranch_execz .LBB15_96
; %bb.93:
	v_lshlrev_b32_e32 v9, 3, v8
	s_lshl_b32 s8, s33, 3
	v_mov_b64_e32 v[0:1], 0
	s_mov_b64 s[6:7], 0
.LBB15_94:                              ; =>This Inner Loop Header: Depth=1
	ds_read_b64 v[12:13], v9
	v_add_u32_e32 v8, s33, v8
	v_cmp_ge_i32_e64 s[0:1], v8, v4
	v_add_u32_e32 v9, s8, v9
	s_or_b64 s[6:7], s[0:1], s[6:7]
	s_waitcnt lgkmcnt(0)
	v_add_f64 v[0:1], v[0:1], v[12:13]
	s_andn2_b64 exec, exec, s[6:7]
	s_cbranch_execnz .LBB15_94
; %bb.95:
	s_or_b64 exec, exec, s[6:7]
.LBB15_96:
	s_or_b64 exec, exec, s[4:5]
.LBB15_97:
	s_or_b64 exec, exec, s[2:3]
	s_cmpk_lt_u32 s33, 0x81
	s_barrier
	ds_write_b64 v10, v[0:1]
	s_waitcnt lgkmcnt(0)
	s_barrier
	s_cbranch_scc1 .LBB15_99
; %bb.98:
	ds_read_b64 v[8:9], v10 offset:1024
	s_waitcnt lgkmcnt(0)
	s_barrier
	v_add_f64 v[0:1], v[0:1], v[8:9]
	ds_write_b64 v10, v[0:1]
.LBB15_99:
	s_cmpk_lt_u32 s33, 0x41
	s_waitcnt lgkmcnt(0)
	s_barrier
	s_cbranch_scc1 .LBB15_101
; %bb.100:
	ds_read_b64 v[8:9], v10 offset:512
	s_waitcnt lgkmcnt(0)
	s_barrier
	v_add_f64 v[0:1], v[0:1], v[8:9]
	ds_write_b64 v10, v[0:1]
.LBB15_101:
	s_cmp_lt_u32 s33, 33
	s_waitcnt lgkmcnt(0)
	s_barrier
	s_cbranch_scc1 .LBB15_103
; %bb.102:
	ds_read_b64 v[8:9], v10 offset:256
	s_waitcnt lgkmcnt(0)
	s_barrier
	v_add_f64 v[0:1], v[0:1], v[8:9]
	ds_write_b64 v10, v[0:1]
.LBB15_103:
	s_cmp_lt_u32 s33, 17
	;; [unrolled: 11-line block ×4, first 2 shown]
	s_waitcnt lgkmcnt(0)
	s_barrier
	s_cbranch_scc1 .LBB15_109
; %bb.108:
	ds_read_b64 v[8:9], v10 offset:32
	s_waitcnt lgkmcnt(0)
	s_barrier
	v_add_f64 v[0:1], v[0:1], v[8:9]
	ds_write_b64 v10, v[0:1]
.LBB15_109:
	s_cmp_eq_u32 s33, 2
	s_waitcnt lgkmcnt(0)
	s_barrier
	s_cbranch_scc1 .LBB15_111
; %bb.110:
	ds_read_b64 v[8:9], v10 offset:16
	s_waitcnt lgkmcnt(0)
	s_barrier
	v_add_f64 v[0:1], v[0:1], v[8:9]
	ds_write_b64 v10, v[0:1]
.LBB15_111:
	s_waitcnt lgkmcnt(0)
	s_barrier
	ds_read_b64 v[8:9], v10 offset:8
	v_cmp_eq_u32_e64 s[0:1], 0, v5
	s_xor_b64 s[2:3], vcc, -1
	s_and_b64 s[0:1], s[0:1], s[2:3]
	s_waitcnt lgkmcnt(0)
	v_add_f64 v[0:1], v[0:1], v[8:9]
	s_barrier
	ds_write_b64 v10, v[0:1]
	s_and_b64 exec, exec, s[0:1]
	s_cbranch_execz .LBB15_115
; %bb.112:
	v_cmp_neq_f64_e32 vcc, 0, v[6:7]
	v_lshl_add_u64 v[2:3], v[2:3], 3, s[22:23]
	s_and_saveexec_b64 s[0:1], vcc
	s_cbranch_execz .LBB15_114
; %bb.113:
	global_load_dwordx2 v[4:5], v[2:3], off
	s_waitcnt vmcnt(0)
	v_fmac_f64_e32 v[0:1], v[6:7], v[4:5]
.LBB15_114:
	s_or_b64 exec, exec, s[0:1]
	global_store_dwordx2 v[2:3], v[0:1], off
.LBB15_115:
	s_endpgm
	.section	.rodata,"a",@progbits
	.p2align	6, 0x0
	.amdhsa_kernel _ZN9rocsparseL22csrmvn_adaptive_kernelIliddddEEvbT_PKS1_PjPKT0_NS_24const_host_device_scalarIT4_EES3_S7_PKT1_PKT2_SA_PT3_21rocsparse_index_base_b
		.amdhsa_group_segment_fixed_size 8192
		.amdhsa_private_segment_fixed_size 0
		.amdhsa_kernarg_size 104
		.amdhsa_user_sgpr_count 2
		.amdhsa_user_sgpr_dispatch_ptr 0
		.amdhsa_user_sgpr_queue_ptr 0
		.amdhsa_user_sgpr_kernarg_segment_ptr 1
		.amdhsa_user_sgpr_dispatch_id 0
		.amdhsa_user_sgpr_kernarg_preload_length 0
		.amdhsa_user_sgpr_kernarg_preload_offset 0
		.amdhsa_user_sgpr_private_segment_size 0
		.amdhsa_uses_dynamic_stack 0
		.amdhsa_enable_private_segment 0
		.amdhsa_system_sgpr_workgroup_id_x 1
		.amdhsa_system_sgpr_workgroup_id_y 0
		.amdhsa_system_sgpr_workgroup_id_z 0
		.amdhsa_system_sgpr_workgroup_info 0
		.amdhsa_system_vgpr_workitem_id 0
		.amdhsa_next_free_vgpr 32
		.amdhsa_next_free_sgpr 64
		.amdhsa_accum_offset 32
		.amdhsa_reserve_vcc 1
		.amdhsa_float_round_mode_32 0
		.amdhsa_float_round_mode_16_64 0
		.amdhsa_float_denorm_mode_32 3
		.amdhsa_float_denorm_mode_16_64 3
		.amdhsa_dx10_clamp 1
		.amdhsa_ieee_mode 1
		.amdhsa_fp16_overflow 0
		.amdhsa_tg_split 0
		.amdhsa_exception_fp_ieee_invalid_op 0
		.amdhsa_exception_fp_denorm_src 0
		.amdhsa_exception_fp_ieee_div_zero 0
		.amdhsa_exception_fp_ieee_overflow 0
		.amdhsa_exception_fp_ieee_underflow 0
		.amdhsa_exception_fp_ieee_inexact 0
		.amdhsa_exception_int_div_zero 0
	.end_amdhsa_kernel
	.section	.text._ZN9rocsparseL22csrmvn_adaptive_kernelIliddddEEvbT_PKS1_PjPKT0_NS_24const_host_device_scalarIT4_EES3_S7_PKT1_PKT2_SA_PT3_21rocsparse_index_base_b,"axG",@progbits,_ZN9rocsparseL22csrmvn_adaptive_kernelIliddddEEvbT_PKS1_PjPKT0_NS_24const_host_device_scalarIT4_EES3_S7_PKT1_PKT2_SA_PT3_21rocsparse_index_base_b,comdat
.Lfunc_end15:
	.size	_ZN9rocsparseL22csrmvn_adaptive_kernelIliddddEEvbT_PKS1_PjPKT0_NS_24const_host_device_scalarIT4_EES3_S7_PKT1_PKT2_SA_PT3_21rocsparse_index_base_b, .Lfunc_end15-_ZN9rocsparseL22csrmvn_adaptive_kernelIliddddEEvbT_PKS1_PjPKT0_NS_24const_host_device_scalarIT4_EES3_S7_PKT1_PKT2_SA_PT3_21rocsparse_index_base_b
                                        ; -- End function
	.set _ZN9rocsparseL22csrmvn_adaptive_kernelIliddddEEvbT_PKS1_PjPKT0_NS_24const_host_device_scalarIT4_EES3_S7_PKT1_PKT2_SA_PT3_21rocsparse_index_base_b.num_vgpr, 32
	.set _ZN9rocsparseL22csrmvn_adaptive_kernelIliddddEEvbT_PKS1_PjPKT0_NS_24const_host_device_scalarIT4_EES3_S7_PKT1_PKT2_SA_PT3_21rocsparse_index_base_b.num_agpr, 0
	.set _ZN9rocsparseL22csrmvn_adaptive_kernelIliddddEEvbT_PKS1_PjPKT0_NS_24const_host_device_scalarIT4_EES3_S7_PKT1_PKT2_SA_PT3_21rocsparse_index_base_b.numbered_sgpr, 64
	.set _ZN9rocsparseL22csrmvn_adaptive_kernelIliddddEEvbT_PKS1_PjPKT0_NS_24const_host_device_scalarIT4_EES3_S7_PKT1_PKT2_SA_PT3_21rocsparse_index_base_b.num_named_barrier, 0
	.set _ZN9rocsparseL22csrmvn_adaptive_kernelIliddddEEvbT_PKS1_PjPKT0_NS_24const_host_device_scalarIT4_EES3_S7_PKT1_PKT2_SA_PT3_21rocsparse_index_base_b.private_seg_size, 0
	.set _ZN9rocsparseL22csrmvn_adaptive_kernelIliddddEEvbT_PKS1_PjPKT0_NS_24const_host_device_scalarIT4_EES3_S7_PKT1_PKT2_SA_PT3_21rocsparse_index_base_b.uses_vcc, 1
	.set _ZN9rocsparseL22csrmvn_adaptive_kernelIliddddEEvbT_PKS1_PjPKT0_NS_24const_host_device_scalarIT4_EES3_S7_PKT1_PKT2_SA_PT3_21rocsparse_index_base_b.uses_flat_scratch, 0
	.set _ZN9rocsparseL22csrmvn_adaptive_kernelIliddddEEvbT_PKS1_PjPKT0_NS_24const_host_device_scalarIT4_EES3_S7_PKT1_PKT2_SA_PT3_21rocsparse_index_base_b.has_dyn_sized_stack, 0
	.set _ZN9rocsparseL22csrmvn_adaptive_kernelIliddddEEvbT_PKS1_PjPKT0_NS_24const_host_device_scalarIT4_EES3_S7_PKT1_PKT2_SA_PT3_21rocsparse_index_base_b.has_recursion, 0
	.set _ZN9rocsparseL22csrmvn_adaptive_kernelIliddddEEvbT_PKS1_PjPKT0_NS_24const_host_device_scalarIT4_EES3_S7_PKT1_PKT2_SA_PT3_21rocsparse_index_base_b.has_indirect_call, 0
	.section	.AMDGPU.csdata,"",@progbits
; Kernel info:
; codeLenInByte = 3788
; TotalNumSgprs: 70
; NumVgprs: 32
; NumAgprs: 0
; TotalNumVgprs: 32
; ScratchSize: 0
; MemoryBound: 0
; FloatMode: 240
; IeeeMode: 1
; LDSByteSize: 8192 bytes/workgroup (compile time only)
; SGPRBlocks: 8
; VGPRBlocks: 3
; NumSGPRsForWavesPerEU: 70
; NumVGPRsForWavesPerEU: 32
; AccumOffset: 32
; Occupancy: 8
; WaveLimiterHint : 1
; COMPUTE_PGM_RSRC2:SCRATCH_EN: 0
; COMPUTE_PGM_RSRC2:USER_SGPR: 2
; COMPUTE_PGM_RSRC2:TRAP_HANDLER: 0
; COMPUTE_PGM_RSRC2:TGID_X_EN: 1
; COMPUTE_PGM_RSRC2:TGID_Y_EN: 0
; COMPUTE_PGM_RSRC2:TGID_Z_EN: 0
; COMPUTE_PGM_RSRC2:TIDIG_COMP_CNT: 0
; COMPUTE_PGM_RSRC3_GFX90A:ACCUM_OFFSET: 7
; COMPUTE_PGM_RSRC3_GFX90A:TG_SPLIT: 0
	.section	.text._ZN9rocsparseL27csrmvn_symm_adaptive_kernelIliddddEEvbT_S1_PKS1_NS_24const_host_device_scalarIT4_EES3_PKT0_PKT1_PKT2_S6_PT3_21rocsparse_index_base_b,"axG",@progbits,_ZN9rocsparseL27csrmvn_symm_adaptive_kernelIliddddEEvbT_S1_PKS1_NS_24const_host_device_scalarIT4_EES3_PKT0_PKT1_PKT2_S6_PT3_21rocsparse_index_base_b,comdat
	.globl	_ZN9rocsparseL27csrmvn_symm_adaptive_kernelIliddddEEvbT_S1_PKS1_NS_24const_host_device_scalarIT4_EES3_PKT0_PKT1_PKT2_S6_PT3_21rocsparse_index_base_b ; -- Begin function _ZN9rocsparseL27csrmvn_symm_adaptive_kernelIliddddEEvbT_S1_PKS1_NS_24const_host_device_scalarIT4_EES3_PKT0_PKT1_PKT2_S6_PT3_21rocsparse_index_base_b
	.p2align	8
	.type	_ZN9rocsparseL27csrmvn_symm_adaptive_kernelIliddddEEvbT_S1_PKS1_NS_24const_host_device_scalarIT4_EES3_PKT0_PKT1_PKT2_S6_PT3_21rocsparse_index_base_b,@function
_ZN9rocsparseL27csrmvn_symm_adaptive_kernelIliddddEEvbT_S1_PKS1_NS_24const_host_device_scalarIT4_EES3_PKT0_PKT1_PKT2_S6_PT3_21rocsparse_index_base_b: ; @_ZN9rocsparseL27csrmvn_symm_adaptive_kernelIliddddEEvbT_S1_PKS1_NS_24const_host_device_scalarIT4_EES3_PKT0_PKT1_PKT2_S6_PT3_21rocsparse_index_base_b
; %bb.0:
	s_load_dwordx2 s[28:29], s[0:1], 0x58
	s_load_dwordx2 s[8:9], s[0:1], 0x20
	;; [unrolled: 1-line block ×3, first 2 shown]
	s_waitcnt lgkmcnt(0)
	s_bitcmp1_b32 s29, 0
	s_cselect_b64 s[10:11], -1, 0
	s_xor_b64 s[6:7], s[10:11], -1
	s_and_b64 vcc, exec, s[10:11]
	v_mov_b64_e32 v[6:7], s[8:9]
	s_cbranch_vccnz .LBB16_2
; %bb.1:
	v_mov_b64_e32 v[2:3], s[8:9]
	flat_load_dwordx2 v[6:7], v[2:3]
.LBB16_2:
	s_andn2_b64 vcc, exec, s[6:7]
	v_mov_b64_e32 v[2:3], s[4:5]
	s_cbranch_vccnz .LBB16_4
; %bb.3:
	v_mov_b64_e32 v[2:3], s[4:5]
	flat_load_dwordx2 v[2:3], v[2:3]
.LBB16_4:
	s_waitcnt vmcnt(0) lgkmcnt(0)
	v_cmp_neq_f64_e32 vcc, 0, v[6:7]
	v_cmp_neq_f64_e64 s[4:5], 1.0, v[2:3]
	s_or_b64 s[4:5], vcc, s[4:5]
	s_and_saveexec_b64 s[6:7], s[4:5]
	s_cbranch_execz .LBB16_139
; %bb.5:
	s_load_dwordx2 s[4:5], s[0:1], 0x18
	s_ashr_i32 s3, s2, 31
	s_mov_b32 s6, 0
	s_lshl_b64 s[2:3], s[2:3], 3
	s_mov_b32 s7, s6
	s_waitcnt lgkmcnt(0)
	s_add_u32 s2, s4, s2
	v_lshlrev_b32_e32 v16, 3, v0
	v_mov_b64_e32 v[2:3], s[6:7]
	s_addc_u32 s3, s5, s3
	ds_write2st64_b64 v16, v[2:3], v[2:3] offset1:4
	ds_write2st64_b64 v16, v[2:3], v[2:3] offset0:8 offset1:12
	s_waitcnt lgkmcnt(0)
	s_barrier
	s_load_dwordx4 s[20:23], s[2:3], 0x0
	s_load_dwordx8 s[12:19], s[0:1], 0x28
	s_load_dwordx2 s[24:25], s[0:1], 0x50
	s_mov_b64 s[2:3], -1
	s_waitcnt lgkmcnt(0)
	s_sub_u32 s26, s22, s20
	s_subb_u32 s27, s23, s21
	v_cmp_gt_i64_e64 s[4:5], s[26:27], 2
	s_and_b64 vcc, exec, s[4:5]
	s_cbranch_vccnz .LBB16_38
; %bb.6:
	v_mov_b64_e32 v[2:3], s[20:21]
	v_cmp_le_i64_e32 vcc, s[22:23], v[2:3]
	v_subrev_co_u32_e64 v2, s[2:3], s28, v0
	v_mov_b32_e32 v1, 0
	s_nop 0
	v_subb_co_u32_e64 v3, s[2:3], 0, 0, s[2:3]
	s_cbranch_vccnz .LBB16_28
; %bb.7:
	s_movk_i32 s2, 0x100
	v_cmp_gt_u32_e64 s[2:3], s2, v0
	v_cmp_gt_u32_e64 s[4:5], 64, v0
	;; [unrolled: 1-line block ×4, first 2 shown]
	v_cmp_eq_u32_e64 s[10:11], 0, v0
	s_mov_b64 s[30:31], 0x100
	s_mov_b64 s[34:35], 0x400
	;; [unrolled: 1-line block ×3, first 2 shown]
	v_mov_b64_e32 v[4:5], s[22:23]
	s_mov_b64 s[38:39], s[20:21]
	s_branch .LBB16_9
.LBB16_8:                               ;   in Loop: Header=BB16_9 Depth=1
	s_or_b64 exec, exec, s[42:43]
	s_add_u32 s38, s38, 1
	s_addc_u32 s39, s39, 0
	v_cmp_ge_i64_e32 vcc, s[38:39], v[4:5]
	s_cbranch_vccnz .LBB16_28
.LBB16_9:                               ; =>This Loop Header: Depth=1
                                        ;     Child Loop BB16_11 Depth 2
                                        ;     Child Loop BB16_25 Depth 2
	s_lshl_b64 s[40:41], s[38:39], 3
	s_add_u32 s42, s12, s40
	s_addc_u32 s43, s13, s41
	s_load_dwordx4 s[44:47], s[42:43], 0x0
	v_mov_b64_e32 v[8:9], 0
	s_waitcnt lgkmcnt(0)
	s_sub_u32 s42, s46, s28
	v_lshl_add_u64 v[10:11], s[44:45], 0, v[2:3]
	s_subb_u32 s43, s47, 0
	v_cmp_gt_i64_e32 vcc, s[42:43], v[10:11]
	s_and_saveexec_b64 s[44:45], vcc
	s_cbranch_execz .LBB16_13
; %bb.10:                               ;   in Loop: Header=BB16_9 Depth=1
	v_lshl_add_u64 v[12:13], v[10:11], 2, s[14:15]
	v_lshl_add_u64 v[14:15], v[10:11], 3, s[16:17]
	v_mov_b64_e32 v[8:9], 0
	s_mov_b64 s[46:47], 0
.LBB16_11:                              ;   Parent Loop BB16_9 Depth=1
                                        ; =>  This Inner Loop Header: Depth=2
	global_load_dword v17, v[12:13], off
	global_load_dwordx2 v[18:19], v[14:15], off
	v_lshl_add_u64 v[10:11], v[10:11], 0, s[30:31]
	v_cmp_le_i64_e32 vcc, s[42:43], v[10:11]
	v_lshl_add_u64 v[12:13], v[12:13], 0, s[34:35]
	v_lshl_add_u64 v[14:15], v[14:15], 0, s[36:37]
	s_or_b64 s[46:47], vcc, s[46:47]
	s_waitcnt vmcnt(1)
	v_subrev_u32_e32 v20, s28, v17
	v_ashrrev_i32_e32 v21, 31, v20
	v_lshl_add_u64 v[20:21], v[20:21], 3, s[18:19]
	global_load_dwordx2 v[20:21], v[20:21], off
	s_waitcnt vmcnt(0)
	v_fmac_f64_e32 v[8:9], v[18:19], v[20:21]
	s_andn2_b64 exec, exec, s[46:47]
	s_cbranch_execnz .LBB16_11
; %bb.12:                               ;   in Loop: Header=BB16_9 Depth=1
	s_or_b64 exec, exec, s[46:47]
.LBB16_13:                              ;   in Loop: Header=BB16_9 Depth=1
	s_or_b64 exec, exec, s[44:45]
	ds_write_b64 v16, v[8:9]
	s_waitcnt lgkmcnt(0)
	s_barrier
	s_and_saveexec_b64 s[42:43], s[2:3]
	s_cbranch_execz .LBB16_15
; %bb.14:                               ;   in Loop: Header=BB16_9 Depth=1
	ds_read2st64_b64 v[8:11], v16 offset1:4
	ds_read2st64_b64 v[12:15], v16 offset0:8 offset1:12
	s_waitcnt lgkmcnt(0)
	v_add_f64 v[10:11], v[10:11], v[12:13]
	v_add_f64 v[10:11], v[10:11], v[14:15]
	;; [unrolled: 1-line block ×3, first 2 shown]
	ds_write_b64 v16, v[8:9]
.LBB16_15:                              ;   in Loop: Header=BB16_9 Depth=1
	s_or_b64 exec, exec, s[42:43]
	s_waitcnt lgkmcnt(0)
	s_barrier
	s_and_saveexec_b64 s[42:43], s[4:5]
	s_cbranch_execz .LBB16_17
; %bb.16:                               ;   in Loop: Header=BB16_9 Depth=1
	ds_read2st64_b64 v[8:11], v16 offset1:1
	ds_read2st64_b64 v[12:15], v16 offset0:2 offset1:3
	s_waitcnt lgkmcnt(0)
	v_add_f64 v[10:11], v[10:11], v[12:13]
	v_add_f64 v[10:11], v[10:11], v[14:15]
	;; [unrolled: 1-line block ×3, first 2 shown]
	ds_write_b64 v16, v[8:9]
.LBB16_17:                              ;   in Loop: Header=BB16_9 Depth=1
	s_or_b64 exec, exec, s[42:43]
	s_waitcnt lgkmcnt(0)
	s_barrier
	s_and_saveexec_b64 s[42:43], s[6:7]
	s_cbranch_execz .LBB16_19
; %bb.18:                               ;   in Loop: Header=BB16_9 Depth=1
	ds_read2_b64 v[8:11], v16 offset1:16
	ds_read2_b64 v[12:15], v16 offset0:32 offset1:48
	s_waitcnt lgkmcnt(0)
	v_add_f64 v[10:11], v[10:11], v[12:13]
	v_add_f64 v[10:11], v[10:11], v[14:15]
	;; [unrolled: 1-line block ×3, first 2 shown]
	ds_write_b64 v16, v[8:9]
.LBB16_19:                              ;   in Loop: Header=BB16_9 Depth=1
	s_or_b64 exec, exec, s[42:43]
	s_waitcnt lgkmcnt(0)
	s_barrier
	s_and_saveexec_b64 s[42:43], s[8:9]
	s_cbranch_execz .LBB16_21
; %bb.20:                               ;   in Loop: Header=BB16_9 Depth=1
	ds_read2_b64 v[8:11], v16 offset1:4
	ds_read2_b64 v[12:15], v16 offset0:8 offset1:12
	s_waitcnt lgkmcnt(0)
	v_add_f64 v[10:11], v[10:11], v[12:13]
	v_add_f64 v[10:11], v[10:11], v[14:15]
	;; [unrolled: 1-line block ×3, first 2 shown]
	ds_write_b64 v16, v[8:9]
.LBB16_21:                              ;   in Loop: Header=BB16_9 Depth=1
	s_or_b64 exec, exec, s[42:43]
	s_waitcnt lgkmcnt(0)
	s_barrier
	s_and_saveexec_b64 s[42:43], s[10:11]
	s_cbranch_execz .LBB16_23
; %bb.22:                               ;   in Loop: Header=BB16_9 Depth=1
	ds_read2_b64 v[8:11], v1 offset0:1 offset1:2
	ds_read_b64 v[12:13], v1 offset:24
	ds_read_b64 v[14:15], v16
	s_waitcnt lgkmcnt(2)
	v_add_f64 v[8:9], v[8:9], v[10:11]
	s_waitcnt lgkmcnt(1)
	v_add_f64 v[8:9], v[8:9], v[12:13]
	;; [unrolled: 2-line block ×3, first 2 shown]
	ds_write_b64 v16, v[8:9]
.LBB16_23:                              ;   in Loop: Header=BB16_9 Depth=1
	s_or_b64 exec, exec, s[42:43]
	s_waitcnt lgkmcnt(0)
	s_barrier
	s_and_saveexec_b64 s[42:43], s[10:11]
	s_cbranch_execz .LBB16_8
; %bb.24:                               ;   in Loop: Header=BB16_9 Depth=1
	ds_read_b64 v[8:9], v1
	s_mov_b64 s[44:45], exec
	s_waitcnt lgkmcnt(0)
	v_mul_f64 v[10:11], v[6:7], v[8:9]
	v_mov_b32_e32 v8, 0
	v_bfrev_b32_e32 v9, 1
.LBB16_25:                              ;   Parent Loop BB16_9 Depth=1
                                        ; =>  This Inner Loop Header: Depth=2
	s_ff1_i32_b64 s29, s[44:45]
	s_lshl_b64 s[48:49], 1, s29
	v_readlane_b32 s47, v11, s29
	v_readlane_b32 s46, v10, s29
	s_andn2_b64 s[44:45], s[44:45], s[48:49]
	s_cmp_lg_u64 s[44:45], 0
	v_add_f64 v[8:9], v[8:9], s[46:47]
	s_cbranch_scc1 .LBB16_25
; %bb.26:                               ;   in Loop: Header=BB16_9 Depth=1
	v_mbcnt_lo_u32_b32 v10, exec_lo, 0
	v_mbcnt_hi_u32_b32 v10, exec_hi, v10
	v_cmp_eq_u32_e32 vcc, 0, v10
	s_and_saveexec_b64 s[44:45], vcc
	s_xor_b64 s[44:45], exec, s[44:45]
	s_cbranch_execz .LBB16_8
; %bb.27:                               ;   in Loop: Header=BB16_9 Depth=1
	s_add_u32 s40, s24, s40
	s_addc_u32 s41, s25, s41
	global_atomic_add_f64 v1, v[8:9], s[40:41]
	s_branch .LBB16_8
.LBB16_28:
	s_lshl_b64 s[2:3], s[20:21], 3
	s_add_u32 s2, s12, s2
	s_addc_u32 s3, s13, s3
	s_lshl_b64 s[4:5], s[22:23], 3
	s_add_u32 s4, s12, s4
	s_addc_u32 s5, s13, s5
	s_load_dwordx2 s[6:7], s[4:5], 0x0
	s_load_dwordx2 s[8:9], s[2:3], 0x0
	s_waitcnt lgkmcnt(0)
	s_sub_u32 s6, s6, s28
	s_subb_u32 s7, s7, 0
	v_lshl_add_u64 v[2:3], s[8:9], 0, v[2:3]
	v_cmp_gt_i64_e32 vcc, s[6:7], v[2:3]
	s_and_saveexec_b64 s[8:9], vcc
	s_cbranch_execz .LBB16_37
; %bb.29:
	s_add_u32 s10, s22, -1
	s_addc_u32 s11, s23, -1
	s_add_u32 s2, s22, -2
	s_addc_u32 s3, s23, -1
	v_mov_b64_e32 v[4:5], s[10:11]
	s_cmp_lg_u64 s[20:21], s[2:3]
	v_cmp_lt_i64_e32 vcc, s[20:21], v[4:5]
	s_cselect_b64 s[2:3], -1, 0
	s_and_b64 s[2:3], vcc, s[2:3]
	v_cndmask_b32_e64 v1, 0, 1, s[2:3]
	s_mov_b64 s[30:31], 0
	v_cmp_ne_u32_e64 s[2:3], 1, v1
	v_mov_b32_e32 v5, 0
	s_mov_b64 s[34:35], 0x100
	s_branch .LBB16_31
.LBB16_30:                              ;   in Loop: Header=BB16_31 Depth=1
	s_or_b64 exec, exec, s[4:5]
	v_lshl_add_u64 v[2:3], v[2:3], 0, s[34:35]
	v_cmp_le_i64_e32 vcc, s[6:7], v[2:3]
	s_or_b64 s[30:31], vcc, s[30:31]
	s_andn2_b64 exec, exec, s[30:31]
	s_cbranch_execz .LBB16_37
.LBB16_31:                              ; =>This Loop Header: Depth=1
                                        ;     Child Loop BB16_33 Depth 2
	s_and_b64 vcc, exec, s[2:3]
	v_mov_b64_e32 v[8:9], s[20:21]
	v_mov_b64_e32 v[10:11], s[10:11]
	s_cbranch_vccnz .LBB16_35
; %bb.32:                               ;   in Loop: Header=BB16_31 Depth=1
	s_mov_b64 s[36:37], 0
	v_mov_b64_e32 v[8:9], s[20:21]
	v_mov_b64_e32 v[10:11], s[10:11]
.LBB16_33:                              ;   Parent Loop BB16_31 Depth=1
                                        ; =>  This Inner Loop Header: Depth=2
	v_lshl_add_u64 v[12:13], v[10:11], 0, v[8:9]
	v_lshrrev_b32_e32 v4, 31, v13
	v_lshl_add_u64 v[12:13], v[12:13], 0, v[4:5]
	v_ashrrev_i64 v[12:13], 1, v[12:13]
	v_lshl_add_u64 v[14:15], v[12:13], 3, s[12:13]
	global_load_dwordx2 v[14:15], v[14:15], off
	s_waitcnt vmcnt(0)
	v_subrev_co_u32_e32 v14, vcc, s28, v14
	s_nop 1
	v_subbrev_co_u32_e32 v15, vcc, 0, v15, vcc
	v_cmp_lt_i64_e32 vcc, v[2:3], v[14:15]
	s_nop 1
	v_cndmask_b32_e32 v11, v11, v13, vcc
	v_cndmask_b32_e32 v10, v10, v12, vcc
	;; [unrolled: 1-line block ×4, first 2 shown]
	v_lshl_add_u64 v[12:13], v[10:11], 0, -1
	v_cmp_ge_i64_e32 vcc, v[8:9], v[10:11]
	v_cmp_eq_u64_e64 s[4:5], v[8:9], v[12:13]
	s_or_b64 s[4:5], vcc, s[4:5]
	s_and_b64 s[4:5], exec, s[4:5]
	s_or_b64 s[36:37], s[4:5], s[36:37]
	s_andn2_b64 exec, exec, s[36:37]
	s_cbranch_execnz .LBB16_33
; %bb.34:                               ;   in Loop: Header=BB16_31 Depth=1
	s_or_b64 exec, exec, s[36:37]
.LBB16_35:                              ;   in Loop: Header=BB16_31 Depth=1
	v_lshl_add_u64 v[12:13], v[10:11], 3, s[12:13]
	global_load_dwordx2 v[12:13], v[12:13], off
	v_lshl_add_u64 v[14:15], v[2:3], 2, s[14:15]
	global_load_dword v1, v[14:15], off
	s_waitcnt vmcnt(1)
	v_subrev_co_u32_e32 v14, vcc, s28, v12
	s_nop 1
	v_subbrev_co_u32_e32 v15, vcc, 0, v13, vcc
	s_waitcnt vmcnt(0)
	v_subrev_u32_e32 v12, s28, v1
	v_cmp_lt_i64_e32 vcc, v[2:3], v[14:15]
	v_ashrrev_i32_e32 v13, 31, v12
	s_nop 0
	v_cndmask_b32_e32 v9, v11, v9, vcc
	v_cndmask_b32_e32 v8, v10, v8, vcc
	v_cmp_ne_u64_e32 vcc, v[8:9], v[12:13]
	s_and_saveexec_b64 s[4:5], vcc
	s_cbranch_execz .LBB16_30
; %bb.36:                               ;   in Loop: Header=BB16_31 Depth=1
	v_lshl_add_u64 v[10:11], v[2:3], 3, s[16:17]
	global_load_dwordx2 v[10:11], v[10:11], off
	v_lshl_add_u64 v[8:9], v[8:9], 3, s[18:19]
	global_load_dwordx2 v[8:9], v[8:9], off
	v_lshl_add_u64 v[12:13], v[12:13], 3, s[24:25]
	s_waitcnt vmcnt(1)
	v_mul_f64 v[10:11], v[6:7], v[10:11]
	s_waitcnt vmcnt(0)
	v_mul_f64 v[8:9], v[10:11], v[8:9]
	global_atomic_add_f64 v[12:13], v[8:9], off
	s_branch .LBB16_30
.LBB16_37:
	s_or_b64 exec, exec, s[8:9]
	s_mov_b64 s[2:3], 0
.LBB16_38:
	s_and_b64 vcc, exec, s[2:3]
	s_cbranch_vccz .LBB16_139
; %bb.39:
	s_load_dword s2, s[0:1], 0x6c
	s_mov_b32 s31, 0
	v_mov_b64_e32 v[2:3], s[26:27]
	s_mov_b64 s[34:35], 0
	s_waitcnt lgkmcnt(0)
	s_and_b32 s30, s2, 0xffff
	v_cmp_lt_u64_e32 vcc, s[30:31], v[2:3]
	s_cbranch_vccnz .LBB16_41
; %bb.40:
	v_cvt_f32_u32_e32 v1, s26
	s_sub_i32 s2, 0, s26
	v_rcp_iflag_f32_e32 v1, v1
	s_nop 0
	v_mul_f32_e32 v1, 0x4f7ffffe, v1
	v_cvt_u32_f32_e32 v1, v1
	s_nop 0
	v_readfirstlane_b32 s3, v1
	s_mul_i32 s2, s2, s3
	s_mul_hi_u32 s2, s3, s2
	s_add_i32 s3, s3, s2
	s_mul_hi_u32 s2, s30, s3
	s_mul_i32 s4, s2, s26
	s_sub_i32 s4, s30, s4
	s_add_i32 s3, s2, 1
	s_sub_i32 s5, s4, s26
	s_cmp_ge_u32 s4, s26
	s_cselect_b32 s2, s3, s2
	s_cselect_b32 s4, s5, s4
	s_add_i32 s3, s2, 1
	s_cmp_ge_u32 s4, s26
	s_cselect_b32 s34, s3, s2
.LBB16_41:
	s_load_dwordx4 s[4:7], s[0:1], 0x8
	s_lshl_b64 s[0:1], s[20:21], 3
	s_add_u32 s10, s12, s0
	s_addc_u32 s11, s13, s1
	s_load_dwordx2 s[8:9], s[10:11], 0x0
	v_subrev_co_u32_e32 v2, vcc, s28, v0
	v_mov_b32_e32 v1, 0
	s_nop 0
	v_subb_co_u32_e64 v3, s[0:1], 0, 0, vcc
	s_waitcnt lgkmcnt(0)
	v_lshl_add_u64 v[4:5], s[8:9], 0, v[2:3]
	s_mov_b64 s[0:1], 0x300
	v_lshl_add_u64 v[2:3], v[4:5], 0, s[0:1]
	v_cmp_le_i64_e64 s[0:1], s[4:5], v[2:3]
	s_and_saveexec_b64 s[2:3], s[0:1]
	s_xor_b64 s[2:3], exec, s[2:3]
	s_cbranch_execnz .LBB16_44
; %bb.42:
	s_andn2_saveexec_b64 s[2:3], s[2:3]
	s_cbranch_execnz .LBB16_48
.LBB16_43:
	s_or_b64 exec, exec, s[2:3]
	v_cmp_gt_i64_e32 vcc, s[6:7], v[0:1]
	s_and_saveexec_b64 s[2:3], vcc
	s_cbranch_execnz .LBB16_49
	s_branch .LBB16_51
.LBB16_44:
	s_lshl_b64 s[4:5], s[22:23], 3
	s_add_u32 s4, s12, s4
	s_addc_u32 s5, s13, s5
	s_load_dwordx2 s[4:5], s[4:5], 0x0
	s_waitcnt lgkmcnt(0)
	s_sub_u32 s4, s4, s8
	s_subb_u32 s5, s5, s9
	v_cmp_gt_i64_e32 vcc, s[4:5], v[0:1]
	s_and_saveexec_b64 s[36:37], vcc
	s_cbranch_execz .LBB16_47
; %bb.45:
	v_lshl_add_u64 v[8:9], v[4:5], 3, s[16:17]
	s_mov_b64 s[38:39], 0
	s_mov_b64 s[40:41], 0x800
	s_mov_b64 s[42:43], 0x100
	v_mov_b32_e32 v12, v16
	v_mov_b64_e32 v[10:11], v[0:1]
.LBB16_46:                              ; =>This Inner Loop Header: Depth=1
	global_load_dwordx2 v[14:15], v[8:9], off
	v_lshl_add_u64 v[10:11], v[10:11], 0, s[42:43]
	v_cmp_le_i64_e32 vcc, s[4:5], v[10:11]
	v_lshl_add_u64 v[8:9], v[8:9], 0, s[40:41]
	s_or_b64 s[38:39], vcc, s[38:39]
	s_waitcnt vmcnt(0)
	v_mul_f64 v[14:15], v[6:7], v[14:15]
	ds_write_b64 v12, v[14:15]
	v_add_u32_e32 v12, 0x800, v12
	s_andn2_b64 exec, exec, s[38:39]
	s_cbranch_execnz .LBB16_46
.LBB16_47:
	s_or_b64 exec, exec, s[36:37]
                                        ; implicit-def: $vgpr6_vgpr7
	s_andn2_saveexec_b64 s[2:3], s[2:3]
	s_cbranch_execz .LBB16_43
.LBB16_48:
	v_lshl_add_u64 v[8:9], v[4:5], 3, s[16:17]
	global_load_dwordx2 v[10:11], v[8:9], off
	global_load_dwordx2 v[12:13], v[8:9], off offset:2048
	v_add_co_u32_e32 v8, vcc, 0x1000, v8
	s_nop 1
	v_addc_co_u32_e32 v9, vcc, 0, v9, vcc
	global_load_dwordx2 v[14:15], v[8:9], off
	global_load_dwordx2 v[18:19], v[8:9], off offset:2048
	s_waitcnt vmcnt(3)
	v_mul_f64 v[8:9], v[6:7], v[10:11]
	s_waitcnt vmcnt(2)
	v_mul_f64 v[10:11], v[6:7], v[12:13]
	ds_write2st64_b64 v16, v[8:9], v[10:11] offset1:4
	s_waitcnt vmcnt(1)
	v_mul_f64 v[8:9], v[6:7], v[14:15]
	s_waitcnt vmcnt(0)
	v_mul_f64 v[6:7], v[6:7], v[18:19]
	ds_write2st64_b64 v16, v[8:9], v[6:7] offset0:8 offset1:12
	s_or_b64 exec, exec, s[2:3]
	v_cmp_gt_i64_e32 vcc, s[6:7], v[0:1]
	s_and_saveexec_b64 s[2:3], vcc
	s_cbranch_execz .LBB16_51
.LBB16_49:
	v_mov_b32_e32 v6, 0x2000
	v_mov_b32_e32 v10, 0
	v_lshl_add_u32 v8, v0, 3, v6
	s_mov_b64 s[4:5], 0
	v_mov_b32_e32 v11, v10
	s_mov_b64 s[16:17], 0x100
	v_mov_b64_e32 v[6:7], v[0:1]
.LBB16_50:                              ; =>This Inner Loop Header: Depth=1
	v_lshl_add_u64 v[6:7], v[6:7], 0, s[16:17]
	v_cmp_le_i64_e32 vcc, s[6:7], v[6:7]
	ds_write_b64 v8, v[10:11]
	s_or_b64 s[4:5], vcc, s[4:5]
	v_add_u32_e32 v8, 0x800, v8
	s_andn2_b64 exec, exec, s[4:5]
	s_cbranch_execnz .LBB16_50
.LBB16_51:
	s_or_b64 exec, exec, s[2:3]
	s_sub_u32 s4, s22, s6
	v_mov_b64_e32 v[6:7], s[6:7]
	s_subb_u32 s5, s23, s7
	v_cmp_ge_i64_e32 vcc, s[22:23], v[6:7]
	s_and_b64 s[2:3], vcc, exec
	s_cselect_b32 s5, s5, 0
	s_cselect_b32 s4, s4, 0
	s_waitcnt lgkmcnt(0)
	s_barrier
	s_and_saveexec_b64 s[2:3], s[0:1]
	s_xor_b64 s[16:17], exec, s[2:3]
	s_cbranch_execz .LBB16_68
; %bb.52:
	s_lshl_b64 s[0:1], s[22:23], 3
	s_add_u32 s0, s12, s0
	s_addc_u32 s1, s13, s1
	s_load_dwordx2 s[0:1], s[0:1], 0x0
	s_waitcnt lgkmcnt(0)
	s_sub_u32 s36, s0, s8
	s_subb_u32 s37, s1, s9
	v_cmp_gt_i64_e32 vcc, s[36:37], v[0:1]
	s_and_saveexec_b64 s[38:39], vcc
	s_cbranch_execz .LBB16_67
; %bb.53:
	s_add_u32 s40, s22, -1
	s_addc_u32 s41, s23, -1
	s_add_u32 s2, s22, -2
	s_addc_u32 s3, s23, -1
	s_cmp_lg_u64 s[20:21], s[2:3]
	s_cselect_b64 s[2:3], -1, 0
	s_sub_u32 s42, s0, s28
	v_cndmask_b32_e64 v2, 0, 1, s[2:3]
	s_subb_u32 s43, s1, 0
	s_mov_b64 s[44:45], 0
	v_cmp_ne_u32_e64 s[0:1], 1, v2
	v_mov_b32_e32 v3, 0
	v_mov_b32_e32 v17, 0x2000
	s_mov_b64 s[46:47], 0
	s_branch .LBB16_56
.LBB16_54:                              ;   in Loop: Header=BB16_56 Depth=1
	s_or_b64 exec, exec, s[2:3]
.LBB16_55:                              ;   in Loop: Header=BB16_56 Depth=1
	s_or_b64 exec, exec, s[48:49]
	v_lshl_add_u64 v[8:9], v[8:9], 3, s[18:19]
	global_load_dwordx2 v[8:9], v[8:9], off
	s_add_u32 s46, s46, 0x100
	s_addc_u32 s47, s47, 0
	v_lshlrev_b32_e32 v2, 3, v6
	v_lshl_add_u64 v[6:7], s[46:47], 0, v[0:1]
	v_cmp_le_i64_e32 vcc, s[36:37], v[6:7]
	s_or_b64 s[44:45], vcc, s[44:45]
	s_waitcnt vmcnt(0) lgkmcnt(0)
	v_mul_f64 v[6:7], v[8:9], v[10:11]
	ds_write_b64 v2, v[6:7]
	s_andn2_b64 exec, exec, s[44:45]
	s_cbranch_execz .LBB16_67
.LBB16_56:                              ; =>This Loop Header: Depth=1
                                        ;     Child Loop BB16_58 Depth 2
	v_lshl_add_u64 v[10:11], s[46:47], 0, v[4:5]
	s_and_b64 vcc, exec, s[0:1]
	v_mov_b64_e32 v[12:13], s[20:21]
	v_mov_b64_e32 v[14:15], s[40:41]
	s_cbranch_vccnz .LBB16_60
; %bb.57:                               ;   in Loop: Header=BB16_56 Depth=1
	s_mov_b64 s[48:49], 0
	v_mov_b64_e32 v[12:13], s[20:21]
	v_mov_b64_e32 v[14:15], s[40:41]
.LBB16_58:                              ;   Parent Loop BB16_56 Depth=1
                                        ; =>  This Inner Loop Header: Depth=2
	v_lshl_add_u64 v[6:7], v[14:15], 0, v[12:13]
	v_lshrrev_b32_e32 v2, 31, v7
	v_lshl_add_u64 v[6:7], v[6:7], 0, v[2:3]
	v_ashrrev_i64 v[6:7], 1, v[6:7]
	v_lshl_add_u64 v[8:9], v[6:7], 3, s[12:13]
	global_load_dwordx2 v[8:9], v[8:9], off
	s_waitcnt vmcnt(0)
	v_subrev_co_u32_e32 v8, vcc, s28, v8
	s_nop 1
	v_subbrev_co_u32_e32 v9, vcc, 0, v9, vcc
	v_cmp_lt_i64_e32 vcc, v[10:11], v[8:9]
	s_nop 1
	v_cndmask_b32_e32 v15, v15, v7, vcc
	v_cndmask_b32_e32 v14, v14, v6, vcc
	;; [unrolled: 1-line block ×4, first 2 shown]
	v_lshl_add_u64 v[6:7], v[14:15], 0, -1
	v_cmp_ge_i64_e32 vcc, v[12:13], v[14:15]
	v_cmp_eq_u64_e64 s[2:3], v[12:13], v[6:7]
	s_or_b64 s[2:3], vcc, s[2:3]
	s_and_b64 s[2:3], exec, s[2:3]
	s_or_b64 s[48:49], s[2:3], s[48:49]
	s_andn2_b64 exec, exec, s[48:49]
	s_cbranch_execnz .LBB16_58
; %bb.59:                               ;   in Loop: Header=BB16_56 Depth=1
	s_or_b64 exec, exec, s[48:49]
.LBB16_60:                              ;   in Loop: Header=BB16_56 Depth=1
	v_lshl_add_u64 v[6:7], v[14:15], 3, s[12:13]
	global_load_dwordx2 v[8:9], v[6:7], off
	v_lshl_add_u64 v[6:7], v[10:11], 2, s[14:15]
	global_load_dword v2, v[6:7], off
	v_lshl_add_u64 v[6:7], s[46:47], 0, v[0:1]
	v_cmp_le_i64_e32 vcc, s[42:43], v[10:11]
	s_waitcnt vmcnt(1)
	v_subrev_co_u32_e64 v18, s[2:3], s28, v8
	s_nop 1
	v_subbrev_co_u32_e64 v19, s[2:3], 0, v9, s[2:3]
	s_waitcnt vmcnt(0)
	v_subrev_u32_e32 v8, s28, v2
	v_cmp_lt_i64_e64 s[2:3], v[10:11], v[18:19]
	v_ashrrev_i32_e32 v9, 31, v8
	v_lshlrev_b32_e32 v2, 3, v6
	v_cndmask_b32_e64 v13, v15, v13, s[2:3]
	v_cndmask_b32_e64 v12, v14, v12, s[2:3]
	v_cmp_eq_u64_e64 s[2:3], v[12:13], v[8:9]
	s_or_b64 s[2:3], s[2:3], vcc
                                        ; implicit-def: $vgpr10_vgpr11
	s_and_saveexec_b64 s[48:49], s[2:3]
	s_xor_b64 s[2:3], exec, s[48:49]
; %bb.61:                               ;   in Loop: Header=BB16_56 Depth=1
	ds_read_b64 v[10:11], v2
                                        ; implicit-def: $vgpr2
                                        ; implicit-def: $vgpr12_vgpr13
; %bb.62:                               ;   in Loop: Header=BB16_56 Depth=1
	s_andn2_saveexec_b64 s[48:49], s[2:3]
	s_cbranch_execz .LBB16_55
; %bb.63:                               ;   in Loop: Header=BB16_56 Depth=1
	v_cmp_gt_i64_e32 vcc, s[4:5], v[8:9]
	v_cmp_le_i64_e64 s[2:3], s[22:23], v[8:9]
	s_or_b64 s[2:3], vcc, s[2:3]
	v_lshl_add_u64 v[12:13], v[12:13], 3, s[18:19]
                                        ; implicit-def: $vgpr10_vgpr11
	s_and_saveexec_b64 s[50:51], s[2:3]
	s_xor_b64 s[2:3], exec, s[50:51]
	s_cbranch_execz .LBB16_65
; %bb.64:                               ;   in Loop: Header=BB16_56 Depth=1
	global_load_dwordx2 v[12:13], v[12:13], off
	s_waitcnt lgkmcnt(0)
	ds_read_b64 v[10:11], v2
	v_lshl_add_u64 v[14:15], v[8:9], 3, s[24:25]
                                        ; implicit-def: $vgpr2
	s_waitcnt vmcnt(0) lgkmcnt(0)
	v_mul_f64 v[12:13], v[10:11], v[12:13]
	global_atomic_add_f64 v[14:15], v[12:13], off
                                        ; implicit-def: $vgpr12_vgpr13
.LBB16_65:                              ;   in Loop: Header=BB16_56 Depth=1
	s_andn2_saveexec_b64 s[2:3], s[2:3]
	s_cbranch_execz .LBB16_54
; %bb.66:                               ;   in Loop: Header=BB16_56 Depth=1
	global_load_dwordx2 v[12:13], v[12:13], off
	s_waitcnt lgkmcnt(0)
	ds_read_b64 v[10:11], v2
	v_subrev_u32_e32 v2, s4, v8
	v_lshl_add_u32 v2, v2, 3, v17
	s_waitcnt vmcnt(0) lgkmcnt(0)
	v_mul_f64 v[12:13], v[10:11], v[12:13]
	ds_add_f64 v2, v[12:13]
	s_branch .LBB16_54
.LBB16_67:
	s_or_b64 exec, exec, s[38:39]
                                        ; implicit-def: $vgpr2_vgpr3
                                        ; implicit-def: $vgpr4_vgpr5
.LBB16_68:
	s_andn2_saveexec_b64 s[16:17], s[16:17]
	s_cbranch_execz .LBB16_110
; %bb.69:
	s_add_u32 s36, s22, -1
	s_addc_u32 s37, s23, -1
	s_add_u32 s0, s22, -2
	s_addc_u32 s1, s23, -1
	s_cmp_lg_u64 s[20:21], s[0:1]
	s_cselect_b64 s[2:3], -1, 0
	s_cmp_eq_u64 s[20:21], s[0:1]
	v_mov_b64_e32 v[8:9], s[20:21]
	v_mov_b64_e32 v[10:11], s[36:37]
	s_cbranch_scc1 .LBB16_73
; %bb.70:
	s_mov_b64 s[38:39], 0
	v_mov_b64_e32 v[8:9], s[20:21]
	v_mov_b64_e32 v[10:11], s[36:37]
	v_mov_b32_e32 v7, 0
.LBB16_71:                              ; =>This Inner Loop Header: Depth=1
	v_lshl_add_u64 v[12:13], v[10:11], 0, v[8:9]
	v_lshrrev_b32_e32 v6, 31, v13
	v_lshl_add_u64 v[12:13], v[12:13], 0, v[6:7]
	v_ashrrev_i64 v[12:13], 1, v[12:13]
	v_lshl_add_u64 v[14:15], v[12:13], 3, s[12:13]
	global_load_dwordx2 v[14:15], v[14:15], off
	s_waitcnt vmcnt(0)
	v_subrev_co_u32_e32 v14, vcc, s28, v14
	s_nop 1
	v_subbrev_co_u32_e32 v15, vcc, 0, v15, vcc
	v_cmp_lt_i64_e32 vcc, v[4:5], v[14:15]
	s_nop 1
	v_cndmask_b32_e32 v11, v11, v13, vcc
	v_cndmask_b32_e32 v10, v10, v12, vcc
	;; [unrolled: 1-line block ×4, first 2 shown]
	v_lshl_add_u64 v[12:13], v[10:11], 0, -1
	v_cmp_ge_i64_e32 vcc, v[8:9], v[10:11]
	v_cmp_eq_u64_e64 s[0:1], v[8:9], v[12:13]
	s_or_b64 s[0:1], vcc, s[0:1]
	s_and_b64 s[0:1], exec, s[0:1]
	s_or_b64 s[38:39], s[0:1], s[38:39]
	s_andn2_b64 exec, exec, s[38:39]
	s_cbranch_execnz .LBB16_71
; %bb.72:
	s_or_b64 exec, exec, s[38:39]
.LBB16_73:
	v_lshl_add_u64 v[6:7], v[10:11], 3, s[12:13]
	global_load_dwordx2 v[12:13], v[6:7], off
	v_lshl_add_u64 v[6:7], v[4:5], 2, s[14:15]
	global_load_dword v17, v[6:7], off
	s_lshl_b64 s[0:1], s[22:23], 3
	s_add_u32 s14, s12, s0
	s_addc_u32 s15, s13, s1
	s_waitcnt vmcnt(1)
	v_subrev_co_u32_e32 v14, vcc, s28, v12
	s_nop 1
	v_subbrev_co_u32_e32 v15, vcc, 0, v13, vcc
	s_waitcnt vmcnt(0)
	v_subrev_u32_e32 v12, s28, v17
	v_cmp_lt_i64_e32 vcc, v[4:5], v[14:15]
	v_ashrrev_i32_e32 v13, 31, v12
	s_nop 0
	v_cndmask_b32_e32 v9, v11, v9, vcc
	v_cndmask_b32_e32 v8, v10, v8, vcc
	v_cmp_ne_u64_e32 vcc, v[8:9], v[12:13]
	s_and_saveexec_b64 s[38:39], vcc
	s_cbranch_execz .LBB16_79
; %bb.74:
	s_load_dwordx2 s[0:1], s[14:15], 0x0
	s_waitcnt lgkmcnt(0)
	s_sub_u32 s0, s0, s28
	s_subb_u32 s1, s1, 0
	v_cmp_gt_i64_e32 vcc, s[0:1], v[4:5]
	s_and_b64 exec, exec, vcc
	s_cbranch_execz .LBB16_79
; %bb.75:
	v_cmp_gt_i64_e32 vcc, s[4:5], v[12:13]
	v_cmp_le_i64_e64 s[0:1], s[22:23], v[12:13]
	s_or_b64 s[0:1], vcc, s[0:1]
	v_lshl_add_u64 v[8:9], v[8:9], 3, s[18:19]
	s_and_saveexec_b64 s[40:41], s[0:1]
	s_xor_b64 s[0:1], exec, s[40:41]
	s_cbranch_execz .LBB16_77
; %bb.76:
	global_load_dwordx2 v[8:9], v[8:9], off
	ds_read_b64 v[10:11], v16
	v_lshl_add_u64 v[14:15], v[12:13], 3, s[24:25]
	s_waitcnt vmcnt(0) lgkmcnt(0)
	v_mul_f64 v[8:9], v[10:11], v[8:9]
	global_atomic_add_f64 v[14:15], v[8:9], off
                                        ; implicit-def: $vgpr8_vgpr9
.LBB16_77:
	s_andn2_saveexec_b64 s[0:1], s[0:1]
	s_cbranch_execz .LBB16_79
; %bb.78:
	global_load_dwordx2 v[8:9], v[8:9], off
	ds_read_b64 v[10:11], v16
	v_subrev_u32_e32 v14, s4, v12
	v_mov_b32_e32 v15, 0x2000
	v_lshl_add_u32 v14, v14, 3, v15
	s_waitcnt vmcnt(0) lgkmcnt(0)
	v_mul_f64 v[8:9], v[10:11], v[8:9]
	ds_add_f64 v14, v[8:9]
.LBB16_79:
	s_or_b64 exec, exec, s[38:39]
	v_lshl_add_u64 v[8:9], v[12:13], 3, s[18:19]
	global_load_dwordx2 v[12:13], v[8:9], off
	ds_read_b64 v[14:15], v16
	s_mov_b64 s[0:1], 0x100
	v_cndmask_b32_e64 v17, 0, 1, s[2:3]
	v_mov_b64_e32 v[10:11], s[20:21]
	v_lshl_add_u64 v[8:9], v[4:5], 0, s[0:1]
	v_cmp_ne_u32_e64 s[0:1], 1, v17
	s_andn2_b64 vcc, exec, s[2:3]
	s_waitcnt vmcnt(0) lgkmcnt(0)
	v_mul_f64 v[12:13], v[12:13], v[14:15]
	ds_write_b64 v16, v[12:13]
	v_mov_b64_e32 v[12:13], s[36:37]
	s_cbranch_vccnz .LBB16_83
; %bb.80:
	s_mov_b64 s[38:39], 0
	v_mov_b64_e32 v[10:11], s[20:21]
	v_mov_b64_e32 v[12:13], s[36:37]
	v_mov_b32_e32 v15, 0
.LBB16_81:                              ; =>This Inner Loop Header: Depth=1
	v_lshl_add_u64 v[18:19], v[12:13], 0, v[10:11]
	v_lshrrev_b32_e32 v14, 31, v19
	v_lshl_add_u64 v[18:19], v[18:19], 0, v[14:15]
	v_ashrrev_i64 v[18:19], 1, v[18:19]
	v_lshl_add_u64 v[20:21], v[18:19], 3, s[12:13]
	global_load_dwordx2 v[20:21], v[20:21], off
	s_waitcnt vmcnt(0)
	v_subrev_co_u32_e32 v20, vcc, s28, v20
	s_nop 1
	v_subbrev_co_u32_e32 v21, vcc, 0, v21, vcc
	v_cmp_lt_i64_e32 vcc, v[8:9], v[20:21]
	s_nop 1
	v_cndmask_b32_e32 v13, v13, v19, vcc
	v_cndmask_b32_e32 v12, v12, v18, vcc
	;; [unrolled: 1-line block ×4, first 2 shown]
	v_lshl_add_u64 v[18:19], v[12:13], 0, -1
	v_cmp_ge_i64_e32 vcc, v[10:11], v[12:13]
	v_cmp_eq_u64_e64 s[2:3], v[10:11], v[18:19]
	s_or_b64 s[2:3], vcc, s[2:3]
	s_and_b64 s[2:3], exec, s[2:3]
	s_or_b64 s[38:39], s[2:3], s[38:39]
	s_andn2_b64 exec, exec, s[38:39]
	s_cbranch_execnz .LBB16_81
; %bb.82:
	s_or_b64 exec, exec, s[38:39]
.LBB16_83:
	v_lshl_add_u64 v[14:15], v[12:13], 3, s[12:13]
	global_load_dwordx2 v[18:19], v[14:15], off
	global_load_dword v17, v[6:7], off offset:1024
	s_waitcnt vmcnt(1)
	v_subrev_co_u32_e32 v18, vcc, s28, v18
	s_nop 1
	v_subbrev_co_u32_e32 v19, vcc, 0, v19, vcc
	s_waitcnt vmcnt(0)
	v_subrev_u32_e32 v14, s28, v17
	v_cmp_lt_i64_e32 vcc, v[8:9], v[18:19]
	v_ashrrev_i32_e32 v15, 31, v14
	s_nop 0
	v_cndmask_b32_e32 v11, v13, v11, vcc
	v_cndmask_b32_e32 v10, v12, v10, vcc
	v_cmp_ne_u64_e32 vcc, v[10:11], v[14:15]
	s_and_saveexec_b64 s[38:39], vcc
	s_cbranch_execz .LBB16_89
; %bb.84:
	s_load_dwordx2 s[2:3], s[14:15], 0x0
	s_waitcnt lgkmcnt(0)
	s_sub_u32 s2, s2, s28
	s_subb_u32 s3, s3, 0
	v_cmp_gt_i64_e32 vcc, s[2:3], v[8:9]
	s_and_b64 exec, exec, vcc
	s_cbranch_execz .LBB16_89
; %bb.85:
	v_cmp_gt_i64_e32 vcc, s[4:5], v[14:15]
	v_cmp_le_i64_e64 s[2:3], s[22:23], v[14:15]
	s_or_b64 s[2:3], vcc, s[2:3]
	v_lshl_add_u64 v[8:9], v[10:11], 3, s[18:19]
	s_and_saveexec_b64 s[40:41], s[2:3]
	s_xor_b64 s[2:3], exec, s[40:41]
	s_cbranch_execz .LBB16_87
; %bb.86:
	global_load_dwordx2 v[8:9], v[8:9], off
	ds_read_b64 v[10:11], v16 offset:2048
	v_lshl_add_u64 v[12:13], v[14:15], 3, s[24:25]
	s_waitcnt vmcnt(0) lgkmcnt(0)
	v_mul_f64 v[8:9], v[10:11], v[8:9]
	global_atomic_add_f64 v[12:13], v[8:9], off
                                        ; implicit-def: $vgpr8_vgpr9
.LBB16_87:
	s_andn2_saveexec_b64 s[2:3], s[2:3]
	s_cbranch_execz .LBB16_89
; %bb.88:
	global_load_dwordx2 v[8:9], v[8:9], off
	ds_read_b64 v[10:11], v16 offset:2048
	v_subrev_u32_e32 v12, s4, v14
	v_mov_b32_e32 v13, 0x2000
	v_lshl_add_u32 v12, v12, 3, v13
	s_waitcnt vmcnt(0) lgkmcnt(0)
	v_mul_f64 v[8:9], v[10:11], v[8:9]
	ds_add_f64 v12, v[8:9]
.LBB16_89:
	s_or_b64 exec, exec, s[38:39]
	v_lshl_add_u64 v[8:9], v[14:15], 3, s[18:19]
	global_load_dwordx2 v[10:11], v[8:9], off
	ds_read_b64 v[12:13], v16 offset:2048
	s_mov_b64 s[2:3], 0x200
	s_and_b64 vcc, exec, s[0:1]
	v_mov_b64_e32 v[8:9], s[20:21]
	v_lshl_add_u64 v[4:5], v[4:5], 0, s[2:3]
	s_waitcnt vmcnt(0) lgkmcnt(0)
	v_mul_f64 v[10:11], v[10:11], v[12:13]
	ds_write_b64 v16, v[10:11] offset:2048
	v_mov_b64_e32 v[10:11], s[36:37]
	s_cbranch_vccnz .LBB16_93
; %bb.90:
	s_mov_b64 s[38:39], 0
	v_mov_b64_e32 v[8:9], s[20:21]
	v_mov_b64_e32 v[10:11], s[36:37]
	v_mov_b32_e32 v13, 0
.LBB16_91:                              ; =>This Inner Loop Header: Depth=1
	v_lshl_add_u64 v[14:15], v[10:11], 0, v[8:9]
	v_lshrrev_b32_e32 v12, 31, v15
	v_lshl_add_u64 v[14:15], v[14:15], 0, v[12:13]
	v_ashrrev_i64 v[14:15], 1, v[14:15]
	v_lshl_add_u64 v[18:19], v[14:15], 3, s[12:13]
	global_load_dwordx2 v[18:19], v[18:19], off
	s_waitcnt vmcnt(0)
	v_subrev_co_u32_e32 v18, vcc, s28, v18
	s_nop 1
	v_subbrev_co_u32_e32 v19, vcc, 0, v19, vcc
	v_cmp_lt_i64_e32 vcc, v[4:5], v[18:19]
	s_nop 1
	v_cndmask_b32_e32 v11, v11, v15, vcc
	v_cndmask_b32_e32 v10, v10, v14, vcc
	;; [unrolled: 1-line block ×4, first 2 shown]
	v_lshl_add_u64 v[14:15], v[10:11], 0, -1
	v_cmp_ge_i64_e32 vcc, v[8:9], v[10:11]
	v_cmp_eq_u64_e64 s[2:3], v[8:9], v[14:15]
	s_or_b64 s[2:3], vcc, s[2:3]
	s_and_b64 s[2:3], exec, s[2:3]
	s_or_b64 s[38:39], s[2:3], s[38:39]
	s_andn2_b64 exec, exec, s[38:39]
	s_cbranch_execnz .LBB16_91
; %bb.92:
	s_or_b64 exec, exec, s[38:39]
.LBB16_93:
	v_lshl_add_u64 v[12:13], v[10:11], 3, s[12:13]
	global_load_dwordx2 v[14:15], v[12:13], off
	global_load_dword v17, v[6:7], off offset:2048
	s_waitcnt vmcnt(1)
	v_subrev_co_u32_e32 v14, vcc, s28, v14
	s_nop 1
	v_subbrev_co_u32_e32 v15, vcc, 0, v15, vcc
	s_waitcnt vmcnt(0)
	v_subrev_u32_e32 v12, s28, v17
	v_cmp_lt_i64_e32 vcc, v[4:5], v[14:15]
	v_ashrrev_i32_e32 v13, 31, v12
	s_nop 0
	v_cndmask_b32_e32 v9, v11, v9, vcc
	v_cndmask_b32_e32 v8, v10, v8, vcc
	v_cmp_ne_u64_e32 vcc, v[8:9], v[12:13]
	s_and_saveexec_b64 s[38:39], vcc
	s_cbranch_execz .LBB16_99
; %bb.94:
	s_load_dwordx2 s[2:3], s[14:15], 0x0
	s_waitcnt lgkmcnt(0)
	s_sub_u32 s2, s2, s28
	s_subb_u32 s3, s3, 0
	v_cmp_gt_i64_e32 vcc, s[2:3], v[4:5]
	s_and_b64 exec, exec, vcc
	s_cbranch_execz .LBB16_99
; %bb.95:
	v_cmp_gt_i64_e32 vcc, s[4:5], v[12:13]
	v_cmp_le_i64_e64 s[2:3], s[22:23], v[12:13]
	s_or_b64 s[2:3], vcc, s[2:3]
	v_lshl_add_u64 v[4:5], v[8:9], 3, s[18:19]
	s_and_saveexec_b64 s[40:41], s[2:3]
	s_xor_b64 s[2:3], exec, s[40:41]
	s_cbranch_execz .LBB16_97
; %bb.96:
	global_load_dwordx2 v[4:5], v[4:5], off
	ds_read_b64 v[8:9], v16 offset:4096
	v_lshl_add_u64 v[10:11], v[12:13], 3, s[24:25]
	s_waitcnt vmcnt(0) lgkmcnt(0)
	v_mul_f64 v[4:5], v[8:9], v[4:5]
	global_atomic_add_f64 v[10:11], v[4:5], off
                                        ; implicit-def: $vgpr4_vgpr5
.LBB16_97:
	s_andn2_saveexec_b64 s[2:3], s[2:3]
	s_cbranch_execz .LBB16_99
; %bb.98:
	global_load_dwordx2 v[4:5], v[4:5], off
	ds_read_b64 v[8:9], v16 offset:4096
	v_subrev_u32_e32 v10, s4, v12
	v_mov_b32_e32 v11, 0x2000
	v_lshl_add_u32 v10, v10, 3, v11
	s_waitcnt vmcnt(0) lgkmcnt(0)
	v_mul_f64 v[4:5], v[8:9], v[4:5]
	ds_add_f64 v10, v[4:5]
.LBB16_99:
	s_or_b64 exec, exec, s[38:39]
	v_lshl_add_u64 v[4:5], v[12:13], 3, s[18:19]
	global_load_dwordx2 v[8:9], v[4:5], off
	ds_read_b64 v[10:11], v16 offset:4096
	s_and_b64 vcc, exec, s[0:1]
	v_mov_b64_e32 v[4:5], s[20:21]
	s_waitcnt vmcnt(0) lgkmcnt(0)
	v_mul_f64 v[8:9], v[8:9], v[10:11]
	ds_write_b64 v16, v[8:9] offset:4096
	v_mov_b64_e32 v[8:9], s[36:37]
	s_cbranch_vccnz .LBB16_103
; %bb.100:
	s_mov_b64 s[2:3], 0
	v_mov_b64_e32 v[4:5], s[20:21]
	v_mov_b64_e32 v[8:9], s[36:37]
	v_mov_b32_e32 v11, 0
.LBB16_101:                             ; =>This Inner Loop Header: Depth=1
	v_lshl_add_u64 v[12:13], v[8:9], 0, v[4:5]
	v_lshrrev_b32_e32 v10, 31, v13
	v_lshl_add_u64 v[12:13], v[12:13], 0, v[10:11]
	v_ashrrev_i64 v[12:13], 1, v[12:13]
	v_lshl_add_u64 v[14:15], v[12:13], 3, s[12:13]
	global_load_dwordx2 v[14:15], v[14:15], off
	s_waitcnt vmcnt(0)
	v_subrev_co_u32_e32 v14, vcc, s28, v14
	s_nop 1
	v_subbrev_co_u32_e32 v15, vcc, 0, v15, vcc
	v_cmp_lt_i64_e32 vcc, v[2:3], v[14:15]
	s_nop 1
	v_cndmask_b32_e32 v9, v9, v13, vcc
	v_cndmask_b32_e32 v8, v8, v12, vcc
	;; [unrolled: 1-line block ×4, first 2 shown]
	v_lshl_add_u64 v[12:13], v[8:9], 0, -1
	v_cmp_ge_i64_e32 vcc, v[4:5], v[8:9]
	v_cmp_eq_u64_e64 s[0:1], v[4:5], v[12:13]
	s_or_b64 s[0:1], vcc, s[0:1]
	s_and_b64 s[0:1], exec, s[0:1]
	s_or_b64 s[2:3], s[0:1], s[2:3]
	s_andn2_b64 exec, exec, s[2:3]
	s_cbranch_execnz .LBB16_101
; %bb.102:
	s_or_b64 exec, exec, s[2:3]
.LBB16_103:
	global_load_dword v12, v[6:7], off offset:3072
	v_lshl_add_u64 v[6:7], v[8:9], 3, s[12:13]
	global_load_dwordx2 v[10:11], v[6:7], off
	s_waitcnt vmcnt(1)
	v_subrev_u32_e32 v6, s28, v12
	v_ashrrev_i32_e32 v7, 31, v6
	s_waitcnt vmcnt(0)
	v_subrev_co_u32_e32 v10, vcc, s28, v10
	s_nop 1
	v_subbrev_co_u32_e32 v11, vcc, 0, v11, vcc
	v_cmp_lt_i64_e32 vcc, v[2:3], v[10:11]
	s_nop 1
	v_cndmask_b32_e32 v5, v9, v5, vcc
	v_cndmask_b32_e32 v4, v8, v4, vcc
	v_cmp_ne_u64_e32 vcc, v[4:5], v[6:7]
	s_and_saveexec_b64 s[2:3], vcc
	s_cbranch_execz .LBB16_109
; %bb.104:
	s_load_dwordx2 s[0:1], s[14:15], 0x0
	s_waitcnt lgkmcnt(0)
	s_sub_u32 s0, s0, s28
	s_subb_u32 s1, s1, 0
	v_cmp_gt_i64_e32 vcc, s[0:1], v[2:3]
	s_and_b64 exec, exec, vcc
	s_cbranch_execz .LBB16_109
; %bb.105:
	v_cmp_gt_i64_e32 vcc, s[4:5], v[6:7]
	v_cmp_le_i64_e64 s[0:1], s[22:23], v[6:7]
	s_or_b64 s[0:1], vcc, s[0:1]
	v_lshl_add_u64 v[2:3], v[4:5], 3, s[18:19]
	s_and_saveexec_b64 s[14:15], s[0:1]
	s_xor_b64 s[0:1], exec, s[14:15]
	s_cbranch_execz .LBB16_107
; %bb.106:
	global_load_dwordx2 v[2:3], v[2:3], off
	ds_read_b64 v[4:5], v16 offset:6144
	v_lshl_add_u64 v[8:9], v[6:7], 3, s[24:25]
	s_waitcnt vmcnt(0) lgkmcnt(0)
	v_mul_f64 v[2:3], v[4:5], v[2:3]
	global_atomic_add_f64 v[8:9], v[2:3], off
                                        ; implicit-def: $vgpr2_vgpr3
.LBB16_107:
	s_andn2_saveexec_b64 s[0:1], s[0:1]
	s_cbranch_execz .LBB16_109
; %bb.108:
	global_load_dwordx2 v[2:3], v[2:3], off
	ds_read_b64 v[4:5], v16 offset:6144
	v_subrev_u32_e32 v8, s4, v6
	v_mov_b32_e32 v9, 0x2000
	v_lshl_add_u32 v8, v8, 3, v9
	s_waitcnt vmcnt(0) lgkmcnt(0)
	v_mul_f64 v[2:3], v[4:5], v[2:3]
	ds_add_f64 v8, v[2:3]
.LBB16_109:
	s_or_b64 exec, exec, s[2:3]
	v_lshl_add_u64 v[2:3], v[6:7], 3, s[18:19]
	global_load_dwordx2 v[2:3], v[2:3], off
	ds_read_b64 v[4:5], v16 offset:6144
	s_waitcnt vmcnt(0) lgkmcnt(0)
	v_mul_f64 v[2:3], v[2:3], v[4:5]
	ds_write_b64 v16, v[2:3] offset:6144
.LBB16_110:
	s_or_b64 exec, exec, s[16:17]
	v_mov_b64_e32 v[2:3], s[6:7]
	v_cmp_lt_i64_e32 vcc, s[22:23], v[2:3]
	s_and_b64 s[0:1], vcc, exec
	s_cselect_b32 s16, s22, s6
	s_cselect_b32 s0, s23, s7
	s_sub_u32 s2, s16, s26
	s_subb_u32 s3, s0, s27
	v_cmp_gt_i64_e32 vcc, s[2:3], v[0:1]
	s_waitcnt lgkmcnt(0)
	s_barrier
	s_and_saveexec_b64 s[0:1], vcc
	s_cbranch_execz .LBB16_113
; %bb.111:
	v_mov_b64_e32 v[2:3], s[6:7]
	v_cmp_gt_i64_e32 vcc, s[22:23], v[2:3]
	s_and_b64 s[4:5], vcc, exec
	s_cselect_b32 s5, s23, s7
	s_cselect_b32 s4, s22, s6
	v_lshlrev_b32_e32 v2, 3, v0
	v_mov_b32_e32 v3, 0
	v_lshl_add_u64 v[2:3], s[4:5], 3, v[2:3]
	s_lshl_b64 s[4:5], s[6:7], 3
	v_mov_b32_e32 v4, s5
	v_subrev_co_u32_e32 v2, vcc, s4, v2
	s_mov_b64 s[4:5], 0
	s_nop 0
	v_subb_co_u32_e32 v3, vcc, v3, v4, vcc
	v_mov_b32_e32 v4, 0x2000
	v_lshl_add_u64 v[2:3], s[24:25], 0, v[2:3]
	v_lshl_add_u32 v6, v0, 3, v4
	s_mov_b64 s[6:7], 0x100
	s_mov_b64 s[14:15], 0x800
	v_mov_b64_e32 v[4:5], v[0:1]
.LBB16_112:                             ; =>This Inner Loop Header: Depth=1
	ds_read_b64 v[8:9], v6
	v_lshl_add_u64 v[4:5], v[4:5], 0, s[6:7]
	v_cmp_le_i64_e32 vcc, s[2:3], v[4:5]
	v_add_u32_e32 v6, 0x800, v6
	s_or_b64 s[4:5], vcc, s[4:5]
	s_waitcnt lgkmcnt(0)
	global_atomic_add_f64 v[2:3], v[8:9], off
	v_lshl_add_u64 v[2:3], v[2:3], 0, s[14:15]
	s_andn2_b64 exec, exec, s[4:5]
	s_cbranch_execnz .LBB16_112
.LBB16_113:
	s_or_b64 exec, exec, s[0:1]
	s_add_i32 s0, s34, -1
	s_ashr_i32 s1, s0, 1
	s_or_b32 s0, s1, s0
	s_ashr_i32 s1, s0, 2
	s_or_b32 s0, s1, s0
	;; [unrolled: 2-line block ×5, first 2 shown]
	s_add_i32 s0, s0, 1
	s_ashr_i32 s3, s0, 1
	v_lshl_add_u64 v[6:7], s[20:21], 0, v[0:1]
	s_cmp_gt_i32 s3, 1
	s_mov_b64 s[0:1], -1
	s_barrier
	s_cbranch_scc1 .LBB16_122
; %bb.114:
	v_cmp_gt_i64_e32 vcc, s[22:23], v[6:7]
	s_and_saveexec_b64 s[0:1], vcc
	s_cbranch_execz .LBB16_121
; %bb.115:
	s_sub_i32 s4, s16, s22
	s_lshl_b32 s4, s4, 3
	s_add_i32 s16, s4, 0x2000
	s_lshl_b32 s4, s8, 3
	s_sub_i32 s17, 0, s4
	s_mov_b64 s[4:5], 0
	v_mov_b64_e32 v[8:9], v[6:7]
	s_branch .LBB16_117
.LBB16_116:                             ;   in Loop: Header=BB16_117 Depth=1
	s_or_b64 exec, exec, s[6:7]
	v_lshl_add_u32 v2, v8, 3, s16
	ds_read_b64 v[2:3], v2
	v_lshl_add_u64 v[4:5], v[8:9], 3, s[24:25]
	v_lshl_add_u64 v[8:9], v[8:9], 0, s[30:31]
	v_cmp_le_i64_e32 vcc, s[22:23], v[8:9]
	s_or_b64 s[4:5], vcc, s[4:5]
	s_waitcnt lgkmcnt(0)
	v_add_f64 v[2:3], v[10:11], v[2:3]
	global_atomic_add_f64 v[4:5], v[2:3], off
	s_andn2_b64 exec, exec, s[4:5]
	s_cbranch_execz .LBB16_121
.LBB16_117:                             ; =>This Loop Header: Depth=1
                                        ;     Child Loop BB16_119 Depth 2
	v_lshl_add_u64 v[2:3], v[8:9], 3, s[12:13]
	global_load_dwordx4 v[2:5], v[2:3], off
	v_mov_b64_e32 v[10:11], 0
	s_waitcnt vmcnt(0)
	v_cmp_lt_i64_e32 vcc, v[2:3], v[4:5]
	s_and_saveexec_b64 s[6:7], vcc
	s_cbranch_execz .LBB16_116
; %bb.118:                              ;   in Loop: Header=BB16_117 Depth=1
	v_mov_b32_e32 v10, s9
	v_subrev_co_u32_e32 v4, vcc, s8, v4
	s_mov_b64 s[14:15], 0
	s_nop 0
	v_subb_co_u32_e32 v5, vcc, v5, v10, vcc
	v_subrev_co_u32_e32 v12, vcc, s8, v2
	v_lshl_add_u32 v2, v2, 3, s17
	s_nop 0
	v_subb_co_u32_e32 v13, vcc, v3, v10, vcc
	v_mov_b64_e32 v[10:11], 0
.LBB16_119:                             ;   Parent Loop BB16_117 Depth=1
                                        ; =>  This Inner Loop Header: Depth=2
	ds_read_b64 v[14:15], v2
	v_lshl_add_u64 v[12:13], v[12:13], 0, 1
	v_cmp_ge_i64_e32 vcc, v[12:13], v[4:5]
	v_add_u32_e32 v2, 8, v2
	s_or_b64 s[14:15], vcc, s[14:15]
	s_waitcnt lgkmcnt(0)
	v_add_f64 v[10:11], v[10:11], v[14:15]
	s_andn2_b64 exec, exec, s[14:15]
	s_cbranch_execnz .LBB16_119
; %bb.120:                              ;   in Loop: Header=BB16_117 Depth=1
	s_or_b64 exec, exec, s[14:15]
	s_branch .LBB16_116
.LBB16_121:
	s_or_b64 exec, exec, s[0:1]
	s_mov_b64 s[0:1], 0
.LBB16_122:
	s_andn2_b64 vcc, exec, s[0:1]
	s_cbranch_vccnz .LBB16_139
; %bb.123:
	v_cvt_f32_u32_e32 v2, s3
	s_sub_i32 s12, 0, s3
	v_mov_b32_e32 v5, 0
	v_mov_b32_e32 v12, s9
	v_rcp_iflag_f32_e32 v2, v2
	s_nop 0
	v_mul_f32_e32 v2, 0x4f7ffffe, v2
	v_cvt_u32_f32_e32 v2, v2
	v_mul_lo_u32 v3, s12, v2
	v_mul_hi_u32 v3, v2, v3
	v_add_u32_e32 v2, v2, v3
	v_mul_hi_u32 v2, v0, v2
	v_mul_lo_u32 v3, v2, s3
	v_sub_u32_e32 v3, v0, v3
	v_add_u32_e32 v4, 1, v2
	v_cmp_le_u32_e32 vcc, s3, v3
	s_nop 1
	v_cndmask_b32_e32 v2, v2, v4, vcc
	v_subrev_u32_e32 v4, s3, v3
	v_cndmask_b32_e32 v3, v3, v4, vcc
	v_add_u32_e32 v4, 1, v2
	v_cmp_le_u32_e32 vcc, s3, v3
	s_nop 1
	v_cndmask_b32_e32 v4, v2, v4, vcc
	v_lshl_add_u64 v[2:3], v[4:5], 3, s[10:11]
	global_load_dwordx4 v[8:11], v[2:3], off
	v_mov_b32_e32 v3, s9
	s_waitcnt vmcnt(0)
	v_subrev_co_u32_e32 v2, vcc, s8, v8
	s_nop 1
	v_subb_co_u32_e32 v3, vcc, v9, v3, vcc
	v_subrev_co_u32_e32 v14, vcc, s8, v10
	v_mov_b32_e32 v10, v5
	s_nop 0
	v_subb_co_u32_e32 v15, vcc, v11, v12, vcc
	v_sub_co_u32_e32 v8, vcc, v14, v2
	s_nop 1
	v_subb_co_u32_e32 v9, vcc, v15, v3, vcc
	v_mov_b32_e32 v11, v9
	v_cmp_ne_u64_e32 vcc, 0, v[10:11]
                                        ; implicit-def: $vgpr10_vgpr11
	s_and_saveexec_b64 s[0:1], vcc
	s_xor_b64 s[4:5], exec, s[0:1]
	s_cbranch_execz .LBB16_125
; %bb.124:
	s_add_u32 s0, s3, 0
	s_addc_u32 s1, 0, 0
	s_xor_b64 s[6:7], s[0:1], 0
	v_cvt_f32_u32_e32 v10, s6
	v_cvt_f32_u32_e32 v11, s7
	s_sub_u32 s8, 0, s6
	s_subb_u32 s9, 0, s7
	v_ashrrev_i32_e32 v12, 31, v9
	v_fmamk_f32 v10, v11, 0x4f800000, v10
	v_rcp_f32_e32 v10, v10
	v_mov_b32_e32 v13, v12
	v_lshl_add_u64 v[8:9], v[8:9], 0, v[12:13]
	v_xor_b32_e32 v17, v8, v12
	v_mul_f32_e32 v10, 0x5f7ffffc, v10
	v_mul_f32_e32 v11, 0x2f800000, v10
	v_trunc_f32_e32 v11, v11
	v_fmamk_f32 v10, v11, 0xcf800000, v10
	v_cvt_u32_f32_e32 v11, v11
	v_cvt_u32_f32_e32 v10, v10
	v_xor_b32_e32 v13, v9, v12
	v_readfirstlane_b32 s10, v11
	v_readfirstlane_b32 s0, v10
	s_mul_i32 s1, s8, s10
	s_mul_hi_u32 s13, s8, s0
	s_mul_i32 s11, s9, s0
	s_add_i32 s1, s13, s1
	s_mul_i32 s14, s8, s0
	s_add_i32 s1, s1, s11
	s_mul_i32 s13, s0, s1
	s_mul_hi_u32 s15, s0, s14
	s_mul_hi_u32 s11, s0, s1
	s_add_u32 s13, s15, s13
	s_addc_u32 s11, 0, s11
	s_mul_hi_u32 s16, s10, s14
	s_mul_i32 s14, s10, s14
	s_add_u32 s13, s13, s14
	s_mul_hi_u32 s15, s10, s1
	s_addc_u32 s11, s11, s16
	s_addc_u32 s13, s15, 0
	s_mul_i32 s1, s10, s1
	s_add_u32 s1, s11, s1
	s_addc_u32 s11, 0, s13
	s_add_u32 s13, s0, s1
	s_cselect_b64 s[0:1], -1, 0
	s_cmp_lg_u64 s[0:1], 0
	s_addc_u32 s10, s10, s11
	s_mul_i32 s0, s8, s10
	s_mul_hi_u32 s1, s8, s13
	s_add_i32 s0, s1, s0
	s_mul_i32 s9, s9, s13
	s_add_i32 s0, s0, s9
	s_mul_i32 s8, s8, s13
	s_mul_hi_u32 s9, s10, s8
	s_mul_i32 s11, s10, s8
	s_mul_i32 s15, s13, s0
	s_mul_hi_u32 s8, s13, s8
	s_mul_hi_u32 s14, s13, s0
	s_add_u32 s8, s8, s15
	s_addc_u32 s14, 0, s14
	s_add_u32 s8, s8, s11
	s_mul_hi_u32 s1, s10, s0
	s_addc_u32 s8, s14, s9
	s_addc_u32 s1, s1, 0
	s_mul_i32 s0, s10, s0
	s_add_u32 s0, s8, s0
	s_addc_u32 s8, 0, s1
	s_add_u32 s9, s13, s0
	s_cselect_b64 s[0:1], -1, 0
	s_cmp_lg_u64 s[0:1], 0
	s_addc_u32 s8, s10, s8
	v_mad_u64_u32 v[8:9], s[0:1], v17, s8, 0
	v_mul_hi_u32 v10, v17, s9
	v_mov_b32_e32 v11, v5
	v_lshl_add_u64 v[8:9], v[10:11], 0, v[8:9]
	v_mad_u64_u32 v[18:19], s[0:1], v13, s9, 0
	v_add_co_u32_e32 v8, vcc, v8, v18
	v_mad_u64_u32 v[10:11], s[0:1], v13, s8, 0
	s_nop 0
	v_addc_co_u32_e32 v8, vcc, v9, v19, vcc
	v_mov_b32_e32 v9, v5
	s_nop 0
	v_addc_co_u32_e32 v11, vcc, 0, v11, vcc
	v_lshl_add_u64 v[8:9], v[8:9], 0, v[10:11]
	v_mul_lo_u32 v18, s7, v8
	v_mul_lo_u32 v19, s6, v9
	v_mad_u64_u32 v[10:11], s[0:1], s6, v8, 0
	v_add3_u32 v20, v11, v19, v18
	v_sub_u32_e32 v11, v13, v20
	v_mov_b32_e32 v18, s7
	v_sub_co_u32_e32 v17, vcc, v17, v10
	s_nop 1
	v_subb_co_u32_e64 v10, s[0:1], v11, v18, vcc
	v_subrev_co_u32_e64 v11, s[0:1], s6, v17
	v_subb_co_u32_e32 v13, vcc, v13, v20, vcc
	s_nop 0
	v_subbrev_co_u32_e64 v10, s[0:1], 0, v10, s[0:1]
	v_cmp_le_u32_e64 s[0:1], s7, v10
	v_cmp_le_u32_e32 vcc, s7, v13
	s_nop 0
	v_cndmask_b32_e64 v18, 0, -1, s[0:1]
	v_cmp_le_u32_e64 s[0:1], s6, v11
	s_nop 1
	v_cndmask_b32_e64 v11, 0, -1, s[0:1]
	v_cmp_eq_u32_e64 s[0:1], s7, v10
	s_nop 1
	v_cndmask_b32_e64 v21, v18, v11, s[0:1]
	v_lshl_add_u64 v[10:11], v[8:9], 0, 2
	v_lshl_add_u64 v[18:19], v[8:9], 0, 1
	v_cmp_ne_u32_e64 s[0:1], 0, v21
	s_nop 1
	v_cndmask_b32_e64 v11, v19, v11, s[0:1]
	v_cndmask_b32_e64 v19, 0, -1, vcc
	v_cmp_le_u32_e32 vcc, s6, v17
	v_cndmask_b32_e64 v10, v18, v10, s[0:1]
	s_nop 0
	v_cndmask_b32_e64 v17, 0, -1, vcc
	v_cmp_eq_u32_e32 vcc, s7, v13
	s_nop 1
	v_cndmask_b32_e32 v13, v19, v17, vcc
	v_cmp_ne_u32_e32 vcc, 0, v13
	s_nop 1
	v_cndmask_b32_e32 v8, v8, v10, vcc
	v_cndmask_b32_e32 v9, v9, v11, vcc
	v_xor_b32_e32 v8, v8, v12
	v_xor_b32_e32 v9, v9, v12
	v_sub_co_u32_e32 v10, vcc, v8, v12
                                        ; implicit-def: $vgpr8
	s_nop 1
	v_subb_co_u32_e32 v11, vcc, v9, v12, vcc
.LBB16_125:
	s_andn2_saveexec_b64 s[0:1], s[4:5]
	s_cbranch_execz .LBB16_127
; %bb.126:
	v_cvt_f32_u32_e32 v9, s3
	v_rcp_iflag_f32_e32 v9, v9
	s_nop 0
	v_mul_f32_e32 v9, 0x4f7ffffe, v9
	v_cvt_u32_f32_e32 v9, v9
	v_mul_lo_u32 v10, s12, v9
	v_mul_hi_u32 v10, v9, v10
	v_add_u32_e32 v9, v9, v10
	v_mul_hi_u32 v9, v8, v9
	v_mul_lo_u32 v10, v9, s3
	v_sub_u32_e32 v8, v8, v10
	v_add_u32_e32 v11, 1, v9
	v_subrev_u32_e32 v10, s3, v8
	v_cmp_le_u32_e32 vcc, s3, v8
	s_nop 1
	v_cndmask_b32_e32 v8, v8, v10, vcc
	v_cndmask_b32_e32 v9, v9, v11, vcc
	v_add_u32_e32 v10, 1, v9
	v_cmp_le_u32_e32 vcc, s3, v8
	v_mov_b32_e32 v11, 0
	s_nop 0
	v_cndmask_b32_e32 v10, v9, v10, vcc
.LBB16_127:
	s_or_b64 exec, exec, s[0:1]
	v_cmp_gt_i64_e32 vcc, s[26:27], v[4:5]
	v_mov_b64_e32 v[4:5], 0
	s_and_saveexec_b64 s[0:1], vcc
	s_cbranch_execz .LBB16_135
; %bb.128:
	s_add_i32 s4, s3, -1
	v_and_b32_e32 v8, s4, v0
	s_mov_b64 s[4:5], 0
	v_cmp_lt_i64_e32 vcc, 0, v[10:11]
	v_mov_b64_e32 v[4:5], 0
	v_lshlrev_b32_e32 v17, 3, v8
	s_and_saveexec_b64 s[6:7], vcc
	s_cbranch_execz .LBB16_132
; %bb.129:
	v_lshl_add_u32 v9, v2, 3, v17
	s_lshl_b32 s8, s3, 3
	v_mov_b64_e32 v[4:5], 0
	v_mov_b64_e32 v[12:13], v[10:11]
.LBB16_130:                             ; =>This Inner Loop Header: Depth=1
	ds_read_b64 v[18:19], v9
	v_lshl_add_u64 v[12:13], v[12:13], 0, -1
	v_cmp_eq_u64_e32 vcc, 0, v[12:13]
	v_add_u32_e32 v9, s8, v9
	s_or_b64 s[4:5], vcc, s[4:5]
	s_waitcnt lgkmcnt(0)
	v_add_f64 v[4:5], v[4:5], v[18:19]
	s_andn2_b64 exec, exec, s[4:5]
	s_cbranch_execnz .LBB16_130
; %bb.131:
	s_or_b64 exec, exec, s[4:5]
.LBB16_132:
	s_or_b64 exec, exec, s[6:7]
	v_mad_u64_u32 v[2:3], s[4:5], v10, s3, v[2:3]
	v_mov_b32_e32 v10, v3
	v_mad_u64_u32 v[10:11], s[4:5], v11, s3, v[10:11]
	v_sub_co_u32_e32 v12, vcc, v14, v2
	v_mov_b32_e32 v9, 0
	s_nop 0
	v_subb_co_u32_e32 v13, vcc, v15, v10, vcc
	v_cmp_gt_i64_e32 vcc, v[12:13], v[8:9]
	s_and_saveexec_b64 s[4:5], vcc
	s_cbranch_execz .LBB16_134
; %bb.133:
	v_lshl_add_u32 v2, v2, 3, v17
	ds_read_b64 v[2:3], v2
	s_waitcnt lgkmcnt(0)
	v_add_f64 v[4:5], v[4:5], v[2:3]
.LBB16_134:
	s_or_b64 exec, exec, s[4:5]
.LBB16_135:
	s_or_b64 exec, exec, s[0:1]
	v_cmp_gt_i64_e32 vcc, s[26:27], v[0:1]
	s_barrier
	ds_write_b64 v16, v[4:5]
	s_waitcnt lgkmcnt(0)
	s_barrier
	s_and_b64 exec, exec, vcc
	s_cbranch_execz .LBB16_139
; %bb.136:
	v_mul_lo_u32 v1, s3, v0
	v_lshlrev_b32_e32 v1, 3, v1
	v_mov_b64_e32 v[2:3], 0
.LBB16_137:                             ; =>This Inner Loop Header: Depth=1
	ds_read_b64 v[4:5], v1
	s_add_i32 s3, s3, -1
	v_add_u32_e32 v1, 8, v1
	s_cmp_eq_u32 s3, 0
	s_waitcnt lgkmcnt(0)
	v_add_f64 v[2:3], v[2:3], v[4:5]
	s_cbranch_scc0 .LBB16_137
; %bb.138:
	s_lshl_b32 s0, s2, 3
	s_addk_i32 s0, 0x2000
	v_lshl_add_u32 v0, v0, 3, s0
	ds_read_b64 v[0:1], v0
	s_waitcnt lgkmcnt(0)
	v_add_f64 v[0:1], v[2:3], v[0:1]
	v_lshl_add_u64 v[2:3], v[6:7], 3, s[24:25]
	global_atomic_add_f64 v[2:3], v[0:1], off
.LBB16_139:
	s_endpgm
	.section	.rodata,"a",@progbits
	.p2align	6, 0x0
	.amdhsa_kernel _ZN9rocsparseL27csrmvn_symm_adaptive_kernelIliddddEEvbT_S1_PKS1_NS_24const_host_device_scalarIT4_EES3_PKT0_PKT1_PKT2_S6_PT3_21rocsparse_index_base_b
		.amdhsa_group_segment_fixed_size 8192
		.amdhsa_private_segment_fixed_size 0
		.amdhsa_kernarg_size 352
		.amdhsa_user_sgpr_count 2
		.amdhsa_user_sgpr_dispatch_ptr 0
		.amdhsa_user_sgpr_queue_ptr 0
		.amdhsa_user_sgpr_kernarg_segment_ptr 1
		.amdhsa_user_sgpr_dispatch_id 0
		.amdhsa_user_sgpr_kernarg_preload_length 0
		.amdhsa_user_sgpr_kernarg_preload_offset 0
		.amdhsa_user_sgpr_private_segment_size 0
		.amdhsa_uses_dynamic_stack 0
		.amdhsa_enable_private_segment 0
		.amdhsa_system_sgpr_workgroup_id_x 1
		.amdhsa_system_sgpr_workgroup_id_y 0
		.amdhsa_system_sgpr_workgroup_id_z 0
		.amdhsa_system_sgpr_workgroup_info 0
		.amdhsa_system_vgpr_workitem_id 0
		.amdhsa_next_free_vgpr 22
		.amdhsa_next_free_sgpr 52
		.amdhsa_accum_offset 24
		.amdhsa_reserve_vcc 1
		.amdhsa_float_round_mode_32 0
		.amdhsa_float_round_mode_16_64 0
		.amdhsa_float_denorm_mode_32 3
		.amdhsa_float_denorm_mode_16_64 3
		.amdhsa_dx10_clamp 1
		.amdhsa_ieee_mode 1
		.amdhsa_fp16_overflow 0
		.amdhsa_tg_split 0
		.amdhsa_exception_fp_ieee_invalid_op 0
		.amdhsa_exception_fp_denorm_src 0
		.amdhsa_exception_fp_ieee_div_zero 0
		.amdhsa_exception_fp_ieee_overflow 0
		.amdhsa_exception_fp_ieee_underflow 0
		.amdhsa_exception_fp_ieee_inexact 0
		.amdhsa_exception_int_div_zero 0
	.end_amdhsa_kernel
	.section	.text._ZN9rocsparseL27csrmvn_symm_adaptive_kernelIliddddEEvbT_S1_PKS1_NS_24const_host_device_scalarIT4_EES3_PKT0_PKT1_PKT2_S6_PT3_21rocsparse_index_base_b,"axG",@progbits,_ZN9rocsparseL27csrmvn_symm_adaptive_kernelIliddddEEvbT_S1_PKS1_NS_24const_host_device_scalarIT4_EES3_PKT0_PKT1_PKT2_S6_PT3_21rocsparse_index_base_b,comdat
.Lfunc_end16:
	.size	_ZN9rocsparseL27csrmvn_symm_adaptive_kernelIliddddEEvbT_S1_PKS1_NS_24const_host_device_scalarIT4_EES3_PKT0_PKT1_PKT2_S6_PT3_21rocsparse_index_base_b, .Lfunc_end16-_ZN9rocsparseL27csrmvn_symm_adaptive_kernelIliddddEEvbT_S1_PKS1_NS_24const_host_device_scalarIT4_EES3_PKT0_PKT1_PKT2_S6_PT3_21rocsparse_index_base_b
                                        ; -- End function
	.set _ZN9rocsparseL27csrmvn_symm_adaptive_kernelIliddddEEvbT_S1_PKS1_NS_24const_host_device_scalarIT4_EES3_PKT0_PKT1_PKT2_S6_PT3_21rocsparse_index_base_b.num_vgpr, 22
	.set _ZN9rocsparseL27csrmvn_symm_adaptive_kernelIliddddEEvbT_S1_PKS1_NS_24const_host_device_scalarIT4_EES3_PKT0_PKT1_PKT2_S6_PT3_21rocsparse_index_base_b.num_agpr, 0
	.set _ZN9rocsparseL27csrmvn_symm_adaptive_kernelIliddddEEvbT_S1_PKS1_NS_24const_host_device_scalarIT4_EES3_PKT0_PKT1_PKT2_S6_PT3_21rocsparse_index_base_b.numbered_sgpr, 52
	.set _ZN9rocsparseL27csrmvn_symm_adaptive_kernelIliddddEEvbT_S1_PKS1_NS_24const_host_device_scalarIT4_EES3_PKT0_PKT1_PKT2_S6_PT3_21rocsparse_index_base_b.num_named_barrier, 0
	.set _ZN9rocsparseL27csrmvn_symm_adaptive_kernelIliddddEEvbT_S1_PKS1_NS_24const_host_device_scalarIT4_EES3_PKT0_PKT1_PKT2_S6_PT3_21rocsparse_index_base_b.private_seg_size, 0
	.set _ZN9rocsparseL27csrmvn_symm_adaptive_kernelIliddddEEvbT_S1_PKS1_NS_24const_host_device_scalarIT4_EES3_PKT0_PKT1_PKT2_S6_PT3_21rocsparse_index_base_b.uses_vcc, 1
	.set _ZN9rocsparseL27csrmvn_symm_adaptive_kernelIliddddEEvbT_S1_PKS1_NS_24const_host_device_scalarIT4_EES3_PKT0_PKT1_PKT2_S6_PT3_21rocsparse_index_base_b.uses_flat_scratch, 0
	.set _ZN9rocsparseL27csrmvn_symm_adaptive_kernelIliddddEEvbT_S1_PKS1_NS_24const_host_device_scalarIT4_EES3_PKT0_PKT1_PKT2_S6_PT3_21rocsparse_index_base_b.has_dyn_sized_stack, 0
	.set _ZN9rocsparseL27csrmvn_symm_adaptive_kernelIliddddEEvbT_S1_PKS1_NS_24const_host_device_scalarIT4_EES3_PKT0_PKT1_PKT2_S6_PT3_21rocsparse_index_base_b.has_recursion, 0
	.set _ZN9rocsparseL27csrmvn_symm_adaptive_kernelIliddddEEvbT_S1_PKS1_NS_24const_host_device_scalarIT4_EES3_PKT0_PKT1_PKT2_S6_PT3_21rocsparse_index_base_b.has_indirect_call, 0
	.section	.AMDGPU.csdata,"",@progbits
; Kernel info:
; codeLenInByte = 6764
; TotalNumSgprs: 58
; NumVgprs: 22
; NumAgprs: 0
; TotalNumVgprs: 22
; ScratchSize: 0
; MemoryBound: 0
; FloatMode: 240
; IeeeMode: 1
; LDSByteSize: 8192 bytes/workgroup (compile time only)
; SGPRBlocks: 7
; VGPRBlocks: 2
; NumSGPRsForWavesPerEU: 58
; NumVGPRsForWavesPerEU: 22
; AccumOffset: 24
; Occupancy: 8
; WaveLimiterHint : 1
; COMPUTE_PGM_RSRC2:SCRATCH_EN: 0
; COMPUTE_PGM_RSRC2:USER_SGPR: 2
; COMPUTE_PGM_RSRC2:TRAP_HANDLER: 0
; COMPUTE_PGM_RSRC2:TGID_X_EN: 1
; COMPUTE_PGM_RSRC2:TGID_Y_EN: 0
; COMPUTE_PGM_RSRC2:TGID_Z_EN: 0
; COMPUTE_PGM_RSRC2:TIDIG_COMP_CNT: 0
; COMPUTE_PGM_RSRC3_GFX90A:ACCUM_OFFSET: 5
; COMPUTE_PGM_RSRC3_GFX90A:TG_SPLIT: 0
	.section	.text._ZL33csrmvn_symm_large_adaptive_kernelIliddddEvbT_PKS0_N9rocsparse24const_host_device_scalarIT4_EES2_PKT0_PKT1_PKT2_S6_PT3_21rocsparse_index_base_b,"axG",@progbits,_ZL33csrmvn_symm_large_adaptive_kernelIliddddEvbT_PKS0_N9rocsparse24const_host_device_scalarIT4_EES2_PKT0_PKT1_PKT2_S6_PT3_21rocsparse_index_base_b,comdat
	.globl	_ZL33csrmvn_symm_large_adaptive_kernelIliddddEvbT_PKS0_N9rocsparse24const_host_device_scalarIT4_EES2_PKT0_PKT1_PKT2_S6_PT3_21rocsparse_index_base_b ; -- Begin function _ZL33csrmvn_symm_large_adaptive_kernelIliddddEvbT_PKS0_N9rocsparse24const_host_device_scalarIT4_EES2_PKT0_PKT1_PKT2_S6_PT3_21rocsparse_index_base_b
	.p2align	8
	.type	_ZL33csrmvn_symm_large_adaptive_kernelIliddddEvbT_PKS0_N9rocsparse24const_host_device_scalarIT4_EES2_PKT0_PKT1_PKT2_S6_PT3_21rocsparse_index_base_b,@function
_ZL33csrmvn_symm_large_adaptive_kernelIliddddEvbT_PKS0_N9rocsparse24const_host_device_scalarIT4_EES2_PKT0_PKT1_PKT2_S6_PT3_21rocsparse_index_base_b: ; @_ZL33csrmvn_symm_large_adaptive_kernelIliddddEvbT_PKS0_N9rocsparse24const_host_device_scalarIT4_EES2_PKT0_PKT1_PKT2_S6_PT3_21rocsparse_index_base_b
; %bb.0:
	s_load_dwordx2 s[20:21], s[0:1], 0x50
	s_load_dwordx2 s[8:9], s[0:1], 0x18
	;; [unrolled: 1-line block ×3, first 2 shown]
	s_waitcnt lgkmcnt(0)
	s_bitcmp1_b32 s21, 0
	s_cselect_b64 s[10:11], -1, 0
	s_xor_b64 s[6:7], s[10:11], -1
	s_and_b64 vcc, exec, s[10:11]
	v_mov_b64_e32 v[2:3], s[8:9]
	s_cbranch_vccnz .LBB17_2
; %bb.1:
	v_mov_b64_e32 v[2:3], s[8:9]
	flat_load_dwordx2 v[2:3], v[2:3]
.LBB17_2:
	s_andn2_b64 vcc, exec, s[6:7]
	v_mov_b64_e32 v[4:5], s[4:5]
	s_cbranch_vccnz .LBB17_4
; %bb.3:
	v_mov_b64_e32 v[4:5], s[4:5]
	flat_load_dwordx2 v[4:5], v[4:5]
.LBB17_4:
	s_waitcnt vmcnt(0) lgkmcnt(0)
	v_cmp_neq_f64_e32 vcc, 0, v[2:3]
	v_cmp_neq_f64_e64 s[4:5], 1.0, v[4:5]
	s_or_b64 s[4:5], vcc, s[4:5]
	s_and_saveexec_b64 s[6:7], s[4:5]
	s_cbranch_execz .LBB17_34
; %bb.5:
	s_load_dwordx2 s[4:5], s[0:1], 0x10
	s_ashr_i32 s3, s2, 31
	s_mov_b32 s6, 0
	s_lshl_b64 s[2:3], s[2:3], 3
	s_mov_b32 s7, s6
	s_waitcnt lgkmcnt(0)
	s_add_u32 s2, s4, s2
	v_lshlrev_b32_e32 v14, 3, v0
	v_mov_b64_e32 v[4:5], s[6:7]
	s_addc_u32 s3, s5, s3
	ds_write2st64_b64 v14, v[4:5], v[4:5] offset1:4
	ds_write2st64_b64 v14, v[4:5], v[4:5] offset0:8 offset1:12
	s_waitcnt lgkmcnt(0)
	s_barrier
	s_load_dwordx4 s[16:19], s[2:3], 0x0
	s_load_dwordx8 s[8:15], s[0:1], 0x20
	s_load_dwordx2 s[22:23], s[0:1], 0x48
	v_mov_b32_e32 v15, 0
	s_waitcnt lgkmcnt(0)
	v_mov_b64_e32 v[4:5], s[18:19]
	v_cmp_ge_i64_e32 vcc, s[16:17], v[4:5]
	v_subrev_co_u32_e64 v4, s[0:1], s20, v0
	s_nop 1
	v_subb_co_u32_e64 v5, s[0:1], 0, 0, s[0:1]
	s_cbranch_vccnz .LBB17_25
; %bb.6:
	v_cmp_gt_u32_e64 s[0:1], 64, v0
	v_cmp_gt_u32_e64 s[2:3], 16, v0
	;; [unrolled: 1-line block ×3, first 2 shown]
	v_cmp_eq_u32_e64 s[6:7], 0, v0
	s_mov_b64 s[24:25], 0x100
	s_mov_b64 s[26:27], 0x400
	;; [unrolled: 1-line block ×3, first 2 shown]
	v_mov_b64_e32 v[0:1], s[18:19]
	s_mov_b64 s[30:31], s[16:17]
	s_branch .LBB17_8
.LBB17_7:                               ;   in Loop: Header=BB17_8 Depth=1
	s_or_b64 exec, exec, s[36:37]
	s_add_u32 s30, s30, 1
	s_addc_u32 s31, s31, 0
	v_cmp_ge_i64_e32 vcc, s[30:31], v[0:1]
	s_cbranch_vccnz .LBB17_25
.LBB17_8:                               ; =>This Loop Header: Depth=1
                                        ;     Child Loop BB17_10 Depth 2
                                        ;     Child Loop BB17_22 Depth 2
	s_lshl_b64 s[34:35], s[30:31], 3
	s_add_u32 s36, s8, s34
	s_addc_u32 s37, s9, s35
	s_load_dwordx4 s[40:43], s[36:37], 0x0
	v_mov_b64_e32 v[6:7], 0
	s_waitcnt lgkmcnt(0)
	s_sub_u32 s36, s42, s20
	v_lshl_add_u64 v[8:9], s[40:41], 0, v[4:5]
	s_subb_u32 s37, s43, 0
	v_cmp_gt_i64_e32 vcc, s[36:37], v[8:9]
	s_and_saveexec_b64 s[38:39], vcc
	s_cbranch_execz .LBB17_12
; %bb.9:                                ;   in Loop: Header=BB17_8 Depth=1
	v_lshl_add_u64 v[10:11], v[8:9], 2, s[10:11]
	v_lshl_add_u64 v[12:13], v[8:9], 3, s[12:13]
	v_mov_b64_e32 v[6:7], 0
	s_mov_b64 s[40:41], 0
.LBB17_10:                              ;   Parent Loop BB17_8 Depth=1
                                        ; =>  This Inner Loop Header: Depth=2
	global_load_dword v18, v[10:11], off
	global_load_dwordx2 v[16:17], v[12:13], off
	v_lshl_add_u64 v[8:9], v[8:9], 0, s[24:25]
	v_cmp_le_i64_e32 vcc, s[36:37], v[8:9]
	v_lshl_add_u64 v[10:11], v[10:11], 0, s[26:27]
	v_lshl_add_u64 v[12:13], v[12:13], 0, s[28:29]
	s_or_b64 s[40:41], vcc, s[40:41]
	s_waitcnt vmcnt(1)
	v_subrev_u32_e32 v18, s20, v18
	v_ashrrev_i32_e32 v19, 31, v18
	v_lshl_add_u64 v[18:19], v[18:19], 3, s[14:15]
	global_load_dwordx2 v[18:19], v[18:19], off
	s_waitcnt vmcnt(0)
	v_fmac_f64_e32 v[6:7], v[16:17], v[18:19]
	s_andn2_b64 exec, exec, s[40:41]
	s_cbranch_execnz .LBB17_10
; %bb.11:                               ;   in Loop: Header=BB17_8 Depth=1
	s_or_b64 exec, exec, s[40:41]
.LBB17_12:                              ;   in Loop: Header=BB17_8 Depth=1
	s_or_b64 exec, exec, s[38:39]
	ds_write_b64 v14, v[6:7]
	s_waitcnt lgkmcnt(0)
	s_barrier
	ds_read2st64_b64 v[6:9], v14 offset1:4
	ds_read2st64_b64 v[10:13], v14 offset0:8 offset1:12
	s_waitcnt lgkmcnt(0)
	v_add_f64 v[8:9], v[8:9], v[10:11]
	v_add_f64 v[8:9], v[8:9], v[12:13]
	;; [unrolled: 1-line block ×3, first 2 shown]
	ds_write_b64 v14, v[6:7]
	s_waitcnt lgkmcnt(0)
	s_barrier
	s_and_saveexec_b64 s[36:37], s[0:1]
	s_cbranch_execz .LBB17_14
; %bb.13:                               ;   in Loop: Header=BB17_8 Depth=1
	ds_read2st64_b64 v[6:9], v14 offset1:1
	ds_read2st64_b64 v[10:13], v14 offset0:2 offset1:3
	s_waitcnt lgkmcnt(0)
	v_add_f64 v[8:9], v[8:9], v[10:11]
	v_add_f64 v[8:9], v[8:9], v[12:13]
	;; [unrolled: 1-line block ×3, first 2 shown]
	ds_write_b64 v14, v[6:7]
.LBB17_14:                              ;   in Loop: Header=BB17_8 Depth=1
	s_or_b64 exec, exec, s[36:37]
	s_waitcnt lgkmcnt(0)
	s_barrier
	s_and_saveexec_b64 s[36:37], s[2:3]
	s_cbranch_execz .LBB17_16
; %bb.15:                               ;   in Loop: Header=BB17_8 Depth=1
	ds_read2_b64 v[6:9], v14 offset1:16
	ds_read2_b64 v[10:13], v14 offset0:32 offset1:48
	s_waitcnt lgkmcnt(0)
	v_add_f64 v[8:9], v[8:9], v[10:11]
	v_add_f64 v[8:9], v[8:9], v[12:13]
	;; [unrolled: 1-line block ×3, first 2 shown]
	ds_write_b64 v14, v[6:7]
.LBB17_16:                              ;   in Loop: Header=BB17_8 Depth=1
	s_or_b64 exec, exec, s[36:37]
	s_waitcnt lgkmcnt(0)
	s_barrier
	s_and_saveexec_b64 s[36:37], s[4:5]
	s_cbranch_execz .LBB17_18
; %bb.17:                               ;   in Loop: Header=BB17_8 Depth=1
	ds_read2_b64 v[6:9], v14 offset1:4
	ds_read2_b64 v[10:13], v14 offset0:8 offset1:12
	s_waitcnt lgkmcnt(0)
	v_add_f64 v[8:9], v[8:9], v[10:11]
	v_add_f64 v[8:9], v[8:9], v[12:13]
	;; [unrolled: 1-line block ×3, first 2 shown]
	ds_write_b64 v14, v[6:7]
.LBB17_18:                              ;   in Loop: Header=BB17_8 Depth=1
	s_or_b64 exec, exec, s[36:37]
	s_waitcnt lgkmcnt(0)
	s_barrier
	s_and_saveexec_b64 s[36:37], s[6:7]
	s_cbranch_execz .LBB17_20
; %bb.19:                               ;   in Loop: Header=BB17_8 Depth=1
	ds_read2_b64 v[6:9], v15 offset0:1 offset1:2
	ds_read_b64 v[10:11], v15 offset:24
	ds_read_b64 v[12:13], v14
	s_waitcnt lgkmcnt(2)
	v_add_f64 v[6:7], v[6:7], v[8:9]
	s_waitcnt lgkmcnt(1)
	v_add_f64 v[6:7], v[6:7], v[10:11]
	;; [unrolled: 2-line block ×3, first 2 shown]
	ds_write_b64 v14, v[6:7]
.LBB17_20:                              ;   in Loop: Header=BB17_8 Depth=1
	s_or_b64 exec, exec, s[36:37]
	s_waitcnt lgkmcnt(0)
	s_barrier
	s_and_saveexec_b64 s[36:37], s[6:7]
	s_cbranch_execz .LBB17_7
; %bb.21:                               ;   in Loop: Header=BB17_8 Depth=1
	ds_read_b64 v[6:7], v15
	s_mov_b64 s[38:39], exec
	s_waitcnt lgkmcnt(0)
	v_mul_f64 v[8:9], v[2:3], v[6:7]
	v_mov_b32_e32 v6, 0
	v_bfrev_b32_e32 v7, 1
.LBB17_22:                              ;   Parent Loop BB17_8 Depth=1
                                        ; =>  This Inner Loop Header: Depth=2
	s_ff1_i32_b64 s21, s[38:39]
	s_lshl_b64 s[42:43], 1, s21
	v_readlane_b32 s41, v9, s21
	v_readlane_b32 s40, v8, s21
	s_andn2_b64 s[38:39], s[38:39], s[42:43]
	s_cmp_lg_u64 s[38:39], 0
	v_add_f64 v[6:7], v[6:7], s[40:41]
	s_cbranch_scc1 .LBB17_22
; %bb.23:                               ;   in Loop: Header=BB17_8 Depth=1
	v_mbcnt_lo_u32_b32 v8, exec_lo, 0
	v_mbcnt_hi_u32_b32 v8, exec_hi, v8
	v_cmp_eq_u32_e32 vcc, 0, v8
	s_and_saveexec_b64 s[38:39], vcc
	s_xor_b64 s[38:39], exec, s[38:39]
	s_cbranch_execz .LBB17_7
; %bb.24:                               ;   in Loop: Header=BB17_8 Depth=1
	s_add_u32 s34, s22, s34
	s_addc_u32 s35, s23, s35
	global_atomic_add_f64 v15, v[6:7], s[34:35]
	s_branch .LBB17_7
.LBB17_25:
	s_lshl_b64 s[0:1], s[16:17], 3
	s_add_u32 s0, s8, s0
	s_addc_u32 s1, s9, s1
	s_lshl_b64 s[2:3], s[18:19], 3
	s_add_u32 s2, s8, s2
	s_addc_u32 s3, s9, s3
	s_load_dwordx2 s[4:5], s[2:3], 0x0
	s_load_dwordx2 s[6:7], s[0:1], 0x0
	s_waitcnt lgkmcnt(0)
	s_sub_u32 s4, s4, s20
	s_subb_u32 s5, s5, 0
	v_lshl_add_u64 v[0:1], s[6:7], 0, v[4:5]
	v_cmp_gt_i64_e32 vcc, s[4:5], v[0:1]
	s_and_b64 exec, exec, vcc
	s_cbranch_execz .LBB17_34
; %bb.26:
	s_add_u32 s6, s18, -1
	s_addc_u32 s7, s19, -1
	s_add_u32 s0, s18, -2
	s_addc_u32 s1, s19, -1
	v_mov_b64_e32 v[4:5], s[6:7]
	s_cmp_lg_u64 s[16:17], s[0:1]
	v_cmp_lt_i64_e32 vcc, s[16:17], v[4:5]
	s_cselect_b64 s[0:1], -1, 0
	s_and_b64 s[0:1], vcc, s[0:1]
	v_cndmask_b32_e64 v4, 0, 1, s[0:1]
	s_mov_b64 s[18:19], 0
	v_cmp_ne_u32_e64 s[0:1], 1, v4
	v_mov_b32_e32 v5, 0
	s_mov_b64 s[24:25], 0x100
	s_branch .LBB17_28
.LBB17_27:                              ;   in Loop: Header=BB17_28 Depth=1
	s_or_b64 exec, exec, s[2:3]
	v_lshl_add_u64 v[0:1], v[0:1], 0, s[24:25]
	v_cmp_le_i64_e32 vcc, s[4:5], v[0:1]
	s_or_b64 s[18:19], vcc, s[18:19]
	s_andn2_b64 exec, exec, s[18:19]
	s_cbranch_execz .LBB17_34
.LBB17_28:                              ; =>This Loop Header: Depth=1
                                        ;     Child Loop BB17_30 Depth 2
	s_and_b64 vcc, exec, s[0:1]
	v_mov_b64_e32 v[6:7], s[16:17]
	v_mov_b64_e32 v[8:9], s[6:7]
	s_cbranch_vccnz .LBB17_32
; %bb.29:                               ;   in Loop: Header=BB17_28 Depth=1
	s_mov_b64 s[26:27], 0
	v_mov_b64_e32 v[6:7], s[16:17]
	v_mov_b64_e32 v[8:9], s[6:7]
.LBB17_30:                              ;   Parent Loop BB17_28 Depth=1
                                        ; =>  This Inner Loop Header: Depth=2
	v_lshl_add_u64 v[10:11], v[8:9], 0, v[6:7]
	v_lshrrev_b32_e32 v4, 31, v11
	v_lshl_add_u64 v[10:11], v[10:11], 0, v[4:5]
	v_ashrrev_i64 v[10:11], 1, v[10:11]
	v_lshl_add_u64 v[12:13], v[10:11], 3, s[8:9]
	global_load_dwordx2 v[12:13], v[12:13], off
	s_waitcnt vmcnt(0)
	v_subrev_co_u32_e32 v12, vcc, s20, v12
	s_nop 1
	v_subbrev_co_u32_e32 v13, vcc, 0, v13, vcc
	v_cmp_lt_i64_e32 vcc, v[0:1], v[12:13]
	s_nop 1
	v_cndmask_b32_e32 v9, v9, v11, vcc
	v_cndmask_b32_e32 v8, v8, v10, vcc
	;; [unrolled: 1-line block ×4, first 2 shown]
	v_lshl_add_u64 v[10:11], v[8:9], 0, -1
	v_cmp_ge_i64_e32 vcc, v[6:7], v[8:9]
	v_cmp_eq_u64_e64 s[2:3], v[6:7], v[10:11]
	s_or_b64 s[2:3], vcc, s[2:3]
	s_and_b64 s[2:3], exec, s[2:3]
	s_or_b64 s[26:27], s[2:3], s[26:27]
	s_andn2_b64 exec, exec, s[26:27]
	s_cbranch_execnz .LBB17_30
; %bb.31:                               ;   in Loop: Header=BB17_28 Depth=1
	s_or_b64 exec, exec, s[26:27]
.LBB17_32:                              ;   in Loop: Header=BB17_28 Depth=1
	v_lshl_add_u64 v[10:11], v[8:9], 3, s[8:9]
	global_load_dwordx2 v[10:11], v[10:11], off
	v_lshl_add_u64 v[12:13], v[0:1], 2, s[10:11]
	global_load_dword v4, v[12:13], off
	s_waitcnt vmcnt(1)
	v_subrev_co_u32_e32 v12, vcc, s20, v10
	s_nop 1
	v_subbrev_co_u32_e32 v13, vcc, 0, v11, vcc
	s_waitcnt vmcnt(0)
	v_subrev_u32_e32 v10, s20, v4
	v_cmp_lt_i64_e32 vcc, v[0:1], v[12:13]
	v_ashrrev_i32_e32 v11, 31, v10
	s_nop 0
	v_cndmask_b32_e32 v7, v9, v7, vcc
	v_cndmask_b32_e32 v6, v8, v6, vcc
	v_cmp_ne_u64_e32 vcc, v[6:7], v[10:11]
	s_and_saveexec_b64 s[2:3], vcc
	s_cbranch_execz .LBB17_27
; %bb.33:                               ;   in Loop: Header=BB17_28 Depth=1
	v_lshl_add_u64 v[8:9], v[0:1], 3, s[12:13]
	global_load_dwordx2 v[8:9], v[8:9], off
	v_lshl_add_u64 v[6:7], v[6:7], 3, s[14:15]
	global_load_dwordx2 v[6:7], v[6:7], off
	v_lshl_add_u64 v[10:11], v[10:11], 3, s[22:23]
	s_waitcnt vmcnt(1)
	v_mul_f64 v[8:9], v[2:3], v[8:9]
	s_waitcnt vmcnt(0)
	v_mul_f64 v[6:7], v[8:9], v[6:7]
	global_atomic_add_f64 v[10:11], v[6:7], off
	s_branch .LBB17_27
.LBB17_34:
	s_endpgm
	.section	.rodata,"a",@progbits
	.p2align	6, 0x0
	.amdhsa_kernel _ZL33csrmvn_symm_large_adaptive_kernelIliddddEvbT_PKS0_N9rocsparse24const_host_device_scalarIT4_EES2_PKT0_PKT1_PKT2_S6_PT3_21rocsparse_index_base_b
		.amdhsa_group_segment_fixed_size 8192
		.amdhsa_private_segment_fixed_size 0
		.amdhsa_kernarg_size 88
		.amdhsa_user_sgpr_count 2
		.amdhsa_user_sgpr_dispatch_ptr 0
		.amdhsa_user_sgpr_queue_ptr 0
		.amdhsa_user_sgpr_kernarg_segment_ptr 1
		.amdhsa_user_sgpr_dispatch_id 0
		.amdhsa_user_sgpr_kernarg_preload_length 0
		.amdhsa_user_sgpr_kernarg_preload_offset 0
		.amdhsa_user_sgpr_private_segment_size 0
		.amdhsa_uses_dynamic_stack 0
		.amdhsa_enable_private_segment 0
		.amdhsa_system_sgpr_workgroup_id_x 1
		.amdhsa_system_sgpr_workgroup_id_y 0
		.amdhsa_system_sgpr_workgroup_id_z 0
		.amdhsa_system_sgpr_workgroup_info 0
		.amdhsa_system_vgpr_workitem_id 0
		.amdhsa_next_free_vgpr 20
		.amdhsa_next_free_sgpr 44
		.amdhsa_accum_offset 20
		.amdhsa_reserve_vcc 1
		.amdhsa_float_round_mode_32 0
		.amdhsa_float_round_mode_16_64 0
		.amdhsa_float_denorm_mode_32 3
		.amdhsa_float_denorm_mode_16_64 3
		.amdhsa_dx10_clamp 1
		.amdhsa_ieee_mode 1
		.amdhsa_fp16_overflow 0
		.amdhsa_tg_split 0
		.amdhsa_exception_fp_ieee_invalid_op 0
		.amdhsa_exception_fp_denorm_src 0
		.amdhsa_exception_fp_ieee_div_zero 0
		.amdhsa_exception_fp_ieee_overflow 0
		.amdhsa_exception_fp_ieee_underflow 0
		.amdhsa_exception_fp_ieee_inexact 0
		.amdhsa_exception_int_div_zero 0
	.end_amdhsa_kernel
	.section	.text._ZL33csrmvn_symm_large_adaptive_kernelIliddddEvbT_PKS0_N9rocsparse24const_host_device_scalarIT4_EES2_PKT0_PKT1_PKT2_S6_PT3_21rocsparse_index_base_b,"axG",@progbits,_ZL33csrmvn_symm_large_adaptive_kernelIliddddEvbT_PKS0_N9rocsparse24const_host_device_scalarIT4_EES2_PKT0_PKT1_PKT2_S6_PT3_21rocsparse_index_base_b,comdat
.Lfunc_end17:
	.size	_ZL33csrmvn_symm_large_adaptive_kernelIliddddEvbT_PKS0_N9rocsparse24const_host_device_scalarIT4_EES2_PKT0_PKT1_PKT2_S6_PT3_21rocsparse_index_base_b, .Lfunc_end17-_ZL33csrmvn_symm_large_adaptive_kernelIliddddEvbT_PKS0_N9rocsparse24const_host_device_scalarIT4_EES2_PKT0_PKT1_PKT2_S6_PT3_21rocsparse_index_base_b
                                        ; -- End function
	.set _ZL33csrmvn_symm_large_adaptive_kernelIliddddEvbT_PKS0_N9rocsparse24const_host_device_scalarIT4_EES2_PKT0_PKT1_PKT2_S6_PT3_21rocsparse_index_base_b.num_vgpr, 20
	.set _ZL33csrmvn_symm_large_adaptive_kernelIliddddEvbT_PKS0_N9rocsparse24const_host_device_scalarIT4_EES2_PKT0_PKT1_PKT2_S6_PT3_21rocsparse_index_base_b.num_agpr, 0
	.set _ZL33csrmvn_symm_large_adaptive_kernelIliddddEvbT_PKS0_N9rocsparse24const_host_device_scalarIT4_EES2_PKT0_PKT1_PKT2_S6_PT3_21rocsparse_index_base_b.numbered_sgpr, 44
	.set _ZL33csrmvn_symm_large_adaptive_kernelIliddddEvbT_PKS0_N9rocsparse24const_host_device_scalarIT4_EES2_PKT0_PKT1_PKT2_S6_PT3_21rocsparse_index_base_b.num_named_barrier, 0
	.set _ZL33csrmvn_symm_large_adaptive_kernelIliddddEvbT_PKS0_N9rocsparse24const_host_device_scalarIT4_EES2_PKT0_PKT1_PKT2_S6_PT3_21rocsparse_index_base_b.private_seg_size, 0
	.set _ZL33csrmvn_symm_large_adaptive_kernelIliddddEvbT_PKS0_N9rocsparse24const_host_device_scalarIT4_EES2_PKT0_PKT1_PKT2_S6_PT3_21rocsparse_index_base_b.uses_vcc, 1
	.set _ZL33csrmvn_symm_large_adaptive_kernelIliddddEvbT_PKS0_N9rocsparse24const_host_device_scalarIT4_EES2_PKT0_PKT1_PKT2_S6_PT3_21rocsparse_index_base_b.uses_flat_scratch, 0
	.set _ZL33csrmvn_symm_large_adaptive_kernelIliddddEvbT_PKS0_N9rocsparse24const_host_device_scalarIT4_EES2_PKT0_PKT1_PKT2_S6_PT3_21rocsparse_index_base_b.has_dyn_sized_stack, 0
	.set _ZL33csrmvn_symm_large_adaptive_kernelIliddddEvbT_PKS0_N9rocsparse24const_host_device_scalarIT4_EES2_PKT0_PKT1_PKT2_S6_PT3_21rocsparse_index_base_b.has_recursion, 0
	.set _ZL33csrmvn_symm_large_adaptive_kernelIliddddEvbT_PKS0_N9rocsparse24const_host_device_scalarIT4_EES2_PKT0_PKT1_PKT2_S6_PT3_21rocsparse_index_base_b.has_indirect_call, 0
	.section	.AMDGPU.csdata,"",@progbits
; Kernel info:
; codeLenInByte = 1528
; TotalNumSgprs: 50
; NumVgprs: 20
; NumAgprs: 0
; TotalNumVgprs: 20
; ScratchSize: 0
; MemoryBound: 0
; FloatMode: 240
; IeeeMode: 1
; LDSByteSize: 8192 bytes/workgroup (compile time only)
; SGPRBlocks: 6
; VGPRBlocks: 2
; NumSGPRsForWavesPerEU: 50
; NumVGPRsForWavesPerEU: 20
; AccumOffset: 20
; Occupancy: 8
; WaveLimiterHint : 1
; COMPUTE_PGM_RSRC2:SCRATCH_EN: 0
; COMPUTE_PGM_RSRC2:USER_SGPR: 2
; COMPUTE_PGM_RSRC2:TRAP_HANDLER: 0
; COMPUTE_PGM_RSRC2:TGID_X_EN: 1
; COMPUTE_PGM_RSRC2:TGID_Y_EN: 0
; COMPUTE_PGM_RSRC2:TGID_Z_EN: 0
; COMPUTE_PGM_RSRC2:TIDIG_COMP_CNT: 0
; COMPUTE_PGM_RSRC3_GFX90A:ACCUM_OFFSET: 4
; COMPUTE_PGM_RSRC3_GFX90A:TG_SPLIT: 0
	.section	.text._ZN9rocsparseL22csrmvn_adaptive_kernelIllddddEEvbT_PKS1_PjPKT0_NS_24const_host_device_scalarIT4_EES3_S7_PKT1_PKT2_SA_PT3_21rocsparse_index_base_b,"axG",@progbits,_ZN9rocsparseL22csrmvn_adaptive_kernelIllddddEEvbT_PKS1_PjPKT0_NS_24const_host_device_scalarIT4_EES3_S7_PKT1_PKT2_SA_PT3_21rocsparse_index_base_b,comdat
	.globl	_ZN9rocsparseL22csrmvn_adaptive_kernelIllddddEEvbT_PKS1_PjPKT0_NS_24const_host_device_scalarIT4_EES3_S7_PKT1_PKT2_SA_PT3_21rocsparse_index_base_b ; -- Begin function _ZN9rocsparseL22csrmvn_adaptive_kernelIllddddEEvbT_PKS1_PjPKT0_NS_24const_host_device_scalarIT4_EES3_S7_PKT1_PKT2_SA_PT3_21rocsparse_index_base_b
	.p2align	8
	.type	_ZN9rocsparseL22csrmvn_adaptive_kernelIllddddEEvbT_PKS1_PjPKT0_NS_24const_host_device_scalarIT4_EES3_S7_PKT1_PKT2_SA_PT3_21rocsparse_index_base_b,@function
_ZN9rocsparseL22csrmvn_adaptive_kernelIllddddEEvbT_PKS1_PjPKT0_NS_24const_host_device_scalarIT4_EES3_S7_PKT1_PKT2_SA_PT3_21rocsparse_index_base_b: ; @_ZN9rocsparseL22csrmvn_adaptive_kernelIllddddEEvbT_PKS1_PjPKT0_NS_24const_host_device_scalarIT4_EES3_S7_PKT1_PKT2_SA_PT3_21rocsparse_index_base_b
; %bb.0:
	s_load_dwordx2 s[44:45], s[0:1], 0x60
	s_load_dwordx2 s[8:9], s[0:1], 0x28
	;; [unrolled: 1-line block ×3, first 2 shown]
	s_waitcnt lgkmcnt(0)
	s_bitcmp1_b32 s45, 0
	s_cselect_b64 s[10:11], -1, 0
	s_xor_b64 s[6:7], s[10:11], -1
	s_and_b64 vcc, exec, s[10:11]
	v_mov_b64_e32 v[2:3], s[8:9]
	s_cbranch_vccnz .LBB18_2
; %bb.1:
	v_mov_b64_e32 v[2:3], s[8:9]
	flat_load_dwordx2 v[2:3], v[2:3]
.LBB18_2:
	s_andn2_b64 vcc, exec, s[6:7]
	v_mov_b64_e32 v[6:7], s[4:5]
	s_cbranch_vccnz .LBB18_4
; %bb.3:
	v_mov_b64_e32 v[4:5], s[4:5]
	flat_load_dwordx2 v[6:7], v[4:5]
.LBB18_4:
	s_waitcnt vmcnt(0) lgkmcnt(0)
	v_cmp_neq_f64_e32 vcc, 0, v[2:3]
	v_cmp_neq_f64_e64 s[4:5], 1.0, v[6:7]
	s_or_b64 s[4:5], vcc, s[4:5]
	s_and_saveexec_b64 s[6:7], s[4:5]
	s_cbranch_execz .LBB18_114
; %bb.5:
	s_load_dwordx2 s[4:5], s[0:1], 0x10
	s_load_dwordx2 s[6:7], s[0:1], 0x20
	s_ashr_i32 s3, s2, 31
	s_lshl_b64 s[8:9], s[2:3], 3
	s_waitcnt lgkmcnt(0)
	s_add_u32 s4, s4, s8
	s_addc_u32 s5, s5, s9
	s_load_dwordx4 s[36:39], s[4:5], 0x0
	s_load_dwordx2 s[22:23], s[0:1], 0x58
	s_load_dwordx8 s[24:31], s[0:1], 0x30
	s_waitcnt lgkmcnt(0)
	s_sub_u32 s4, s38, s36
	s_subb_u32 s5, s39, s37
	s_add_u32 s6, s6, s8
	s_addc_u32 s7, s7, s9
	s_lshl_b64 s[46:47], s[36:37], 3
	s_add_u32 s42, s24, s46
	s_addc_u32 s43, s25, s47
	s_load_dwordx2 s[34:35], s[6:7], 0x0
	s_load_dwordx2 s[40:41], s[42:43], 0x0
	v_cmp_lt_i64_e64 s[8:9], s[4:5], 2
	s_mov_b64 s[6:7], -1
	s_and_b64 vcc, exec, s[8:9]
	s_cbranch_vccz .LBB18_70
; %bb.6:
	s_cmp_lg_u64 s[4:5], 1
	s_cselect_b64 s[4:5], -1, 0
	s_waitcnt lgkmcnt(0)
	s_cmp_lg_u64 s[34:35], 0
	s_cselect_b64 s[6:7], -1, 0
	s_or_b64 s[4:5], s[4:5], s[6:7]
	s_mov_b64 s[18:19], -1
	s_and_b64 vcc, exec, s[4:5]
	v_cmp_gt_u32_e64 s[4:5], 64, v0
	v_cmp_gt_u32_e64 s[6:7], 32, v0
	;; [unrolled: 1-line block ×6, first 2 shown]
	v_cmp_eq_u32_e64 s[16:17], 0, v0
	s_cbranch_vccnz .LBB18_34
; %bb.7:
	v_subrev_co_u32_e32 v4, vcc, s44, v0
	v_mov_b32_e32 v1, 0
	s_nop 0
	v_subb_co_u32_e64 v5, s[18:19], 0, 0, vcc
	s_movk_i32 s18, 0x80
	v_lshlrev_b32_e32 v18, 3, v0
	v_cmp_gt_u32_e64 s[18:19], s18, v0
	v_cmp_neq_f64_e64 s[20:21], 0, v[6:7]
	s_mov_b64 s[48:49], 0x100
	s_mov_b64 s[50:51], 0x800
	v_mov_b64_e32 v[8:9], s[38:39]
	s_mov_b64 s[52:53], s[36:37]
	s_branch .LBB18_10
.LBB18_8:                               ;   in Loop: Header=BB18_10 Depth=1
	s_or_b64 exec, exec, s[58:59]
	s_add_u32 s54, s22, s54
	s_addc_u32 s55, s23, s55
	s_waitcnt lgkmcnt(0)
	global_store_dwordx2 v1, v[10:11], s[54:55]
.LBB18_9:                               ;   in Loop: Header=BB18_10 Depth=1
	s_or_b64 exec, exec, s[56:57]
	s_add_u32 s52, s52, 1
	s_addc_u32 s53, s53, 0
	v_cmp_ge_i64_e32 vcc, s[52:53], v[8:9]
	s_cbranch_vccnz .LBB18_33
.LBB18_10:                              ; =>This Loop Header: Depth=1
                                        ;     Child Loop BB18_12 Depth 2
	s_lshl_b64 s[54:55], s[52:53], 3
	s_add_u32 s56, s24, s54
	s_addc_u32 s57, s25, s55
	s_load_dwordx4 s[60:63], s[56:57], 0x0
	v_mov_b64_e32 v[10:11], 0
	s_waitcnt lgkmcnt(0)
	s_sub_u32 s56, s62, s44
	v_lshl_add_u64 v[12:13], s[60:61], 0, v[4:5]
	s_subb_u32 s57, s63, 0
	v_cmp_gt_i64_e32 vcc, s[56:57], v[12:13]
	s_and_saveexec_b64 s[58:59], vcc
	s_cbranch_execz .LBB18_14
; %bb.11:                               ;   in Loop: Header=BB18_10 Depth=1
	v_lshlrev_b64 v[10:11], 3, v[12:13]
	v_lshl_add_u64 v[14:15], s[28:29], 0, v[10:11]
	v_lshl_add_u64 v[16:17], s[26:27], 0, v[10:11]
	v_mov_b64_e32 v[10:11], 0
	s_mov_b64 s[60:61], 0
.LBB18_12:                              ;   Parent Loop BB18_10 Depth=1
                                        ; =>  This Inner Loop Header: Depth=2
	global_load_dwordx2 v[20:21], v[16:17], off
	global_load_dwordx2 v[22:23], v[14:15], off
	v_lshl_add_u64 v[12:13], v[12:13], 0, s[48:49]
	v_lshl_add_u64 v[14:15], v[14:15], 0, s[50:51]
	;; [unrolled: 1-line block ×3, first 2 shown]
	s_waitcnt vmcnt(1)
	v_subrev_co_u32_e32 v20, vcc, s44, v20
	s_nop 1
	v_subbrev_co_u32_e32 v21, vcc, 0, v21, vcc
	v_lshl_add_u64 v[20:21], v[20:21], 3, s[30:31]
	global_load_dwordx2 v[20:21], v[20:21], off
	v_cmp_le_i64_e32 vcc, s[56:57], v[12:13]
	s_waitcnt vmcnt(1)
	v_mul_f64 v[22:23], v[2:3], v[22:23]
	s_or_b64 s[60:61], vcc, s[60:61]
	s_waitcnt vmcnt(0)
	v_fmac_f64_e32 v[10:11], v[22:23], v[20:21]
	s_andn2_b64 exec, exec, s[60:61]
	s_cbranch_execnz .LBB18_12
; %bb.13:                               ;   in Loop: Header=BB18_10 Depth=1
	s_or_b64 exec, exec, s[60:61]
.LBB18_14:                              ;   in Loop: Header=BB18_10 Depth=1
	s_or_b64 exec, exec, s[58:59]
	ds_write_b64 v18, v[10:11]
	s_waitcnt lgkmcnt(0)
	s_barrier
	s_and_saveexec_b64 s[56:57], s[18:19]
	s_cbranch_execz .LBB18_16
; %bb.15:                               ;   in Loop: Header=BB18_10 Depth=1
	ds_read2st64_b64 v[10:13], v18 offset1:2
	s_waitcnt lgkmcnt(0)
	v_add_f64 v[10:11], v[10:11], v[12:13]
	ds_write_b64 v18, v[10:11]
.LBB18_16:                              ;   in Loop: Header=BB18_10 Depth=1
	s_or_b64 exec, exec, s[56:57]
	s_waitcnt lgkmcnt(0)
	s_barrier
	s_and_saveexec_b64 s[56:57], s[4:5]
	s_cbranch_execz .LBB18_18
; %bb.17:                               ;   in Loop: Header=BB18_10 Depth=1
	ds_read2st64_b64 v[10:13], v18 offset1:1
	s_waitcnt lgkmcnt(0)
	v_add_f64 v[10:11], v[10:11], v[12:13]
	ds_write_b64 v18, v[10:11]
.LBB18_18:                              ;   in Loop: Header=BB18_10 Depth=1
	s_or_b64 exec, exec, s[56:57]
	s_waitcnt lgkmcnt(0)
	s_barrier
	s_and_saveexec_b64 s[56:57], s[6:7]
	s_cbranch_execz .LBB18_20
; %bb.19:                               ;   in Loop: Header=BB18_10 Depth=1
	ds_read2_b64 v[10:13], v18 offset1:32
	s_waitcnt lgkmcnt(0)
	v_add_f64 v[10:11], v[10:11], v[12:13]
	ds_write_b64 v18, v[10:11]
.LBB18_20:                              ;   in Loop: Header=BB18_10 Depth=1
	s_or_b64 exec, exec, s[56:57]
	s_waitcnt lgkmcnt(0)
	s_barrier
	s_and_saveexec_b64 s[56:57], s[8:9]
	s_cbranch_execz .LBB18_22
; %bb.21:                               ;   in Loop: Header=BB18_10 Depth=1
	ds_read2_b64 v[10:13], v18 offset1:16
	s_waitcnt lgkmcnt(0)
	v_add_f64 v[10:11], v[10:11], v[12:13]
	ds_write_b64 v18, v[10:11]
.LBB18_22:                              ;   in Loop: Header=BB18_10 Depth=1
	;; [unrolled: 11-line block ×5, first 2 shown]
	s_or_b64 exec, exec, s[56:57]
	s_waitcnt lgkmcnt(0)
	s_barrier
	s_and_saveexec_b64 s[56:57], s[16:17]
	s_cbranch_execz .LBB18_30
; %bb.29:                               ;   in Loop: Header=BB18_10 Depth=1
	ds_read_b128 v[10:13], v1
	s_waitcnt lgkmcnt(0)
	v_add_f64 v[10:11], v[10:11], v[12:13]
	ds_write_b64 v1, v[10:11]
.LBB18_30:                              ;   in Loop: Header=BB18_10 Depth=1
	s_or_b64 exec, exec, s[56:57]
	s_waitcnt lgkmcnt(0)
	s_barrier
	s_and_saveexec_b64 s[56:57], s[16:17]
	s_cbranch_execz .LBB18_9
; %bb.31:                               ;   in Loop: Header=BB18_10 Depth=1
	ds_read_b64 v[10:11], v1
	s_and_saveexec_b64 s[58:59], s[20:21]
	s_cbranch_execz .LBB18_8
; %bb.32:                               ;   in Loop: Header=BB18_10 Depth=1
	s_add_u32 s60, s22, s54
	s_addc_u32 s61, s23, s55
	global_load_dwordx2 v[12:13], v1, s[60:61]
	s_waitcnt vmcnt(0) lgkmcnt(0)
	v_fmac_f64_e32 v[10:11], v[6:7], v[12:13]
	s_branch .LBB18_8
.LBB18_33:
	s_mov_b64 s[18:19], 0
.LBB18_34:
	s_and_b64 vcc, exec, s[18:19]
	s_cbranch_vccz .LBB18_69
; %bb.35:
	s_load_dwordx2 s[6:7], s[0:1], 0x18
	s_sub_u32 s8, s2, s34
	s_subb_u32 s9, s3, s35
	s_lshl_b64 s[2:3], s[2:3], 2
	v_mov_b32_e32 v1, 0
	s_waitcnt lgkmcnt(0)
	s_add_u32 s4, s6, s2
	s_addc_u32 s5, s7, s3
	global_load_dword v14, v1, s[4:5]
	s_cmp_lg_u64 s[34:35], 0
	s_cselect_b64 s[10:11], -1, 0
	s_cmp_eq_u64 s[34:35], 0
	s_cselect_b64 s[2:3], -1, 0
	v_cmp_eq_u32_e32 vcc, 0, v0
	s_and_b64 s[2:3], vcc, s[2:3]
	v_mov_b64_e32 v[4:5], 0
	s_and_saveexec_b64 s[12:13], s[2:3]
	s_cbranch_execz .LBB18_39
; %bb.36:
	s_add_u32 s2, s22, s46
	s_addc_u32 s3, s23, s47
	global_load_dwordx2 v[4:5], v1, s[2:3]
	s_mov_b64 s[14:15], exec
	v_mbcnt_lo_u32_b32 v10, s14, 0
	v_mbcnt_hi_u32_b32 v10, s15, v10
	v_add_f64 v[8:9], v[6:7], -1.0
	v_cmp_eq_u32_e64 s[2:3], 0, v10
	s_waitcnt vmcnt(0) expcnt(0) lgkmcnt(0)
	s_and_saveexec_b64 s[16:17], s[2:3]
	s_cbranch_execz .LBB18_38
; %bb.37:
	s_lshl_b64 s[2:3], s[8:9], 2
	s_add_u32 s2, s6, s2
	s_addc_u32 s3, s7, s3
	s_bcnt1_i32_b64 s14, s[14:15]
	s_and_b32 s14, s14, 1
	v_mov_b32_e32 v10, 0
	v_mov_b32_e32 v11, s14
	global_atomic_xor v10, v11, s[2:3]
.LBB18_38:
	s_or_b64 exec, exec, s[16:17]
	v_mul_f64 v[4:5], v[8:9], v[4:5]
.LBB18_39:
	s_or_b64 exec, exec, s[12:13]
	s_mul_i32 s2, s35, 0xc00
	s_mul_hi_u32 s3, s34, 0xc00
	s_add_i32 s12, s3, s2
	s_load_dwordx2 s[2:3], s[42:43], 0x8
	s_sub_u32 s14, s40, s44
	s_mul_i32 s13, s34, 0xc00
	s_subb_u32 s15, s41, 0
	s_add_u32 s16, s14, s13
	s_addc_u32 s17, s15, s12
	s_waitcnt lgkmcnt(0)
	s_sub_u32 s14, s2, s44
	s_subb_u32 s15, s3, 0
	v_lshl_add_u64 v[8:9], s[16:17], 0, v[0:1]
	v_cmp_gt_i64_e64 s[2:3], s[14:15], v[8:9]
	s_and_saveexec_b64 s[12:13], s[2:3]
	s_cbranch_execz .LBB18_43
; %bb.40:
	s_add_u32 s16, s16, 0xc00
	s_addc_u32 s17, s17, 0
	v_mov_b64_e32 v[10:11], s[14:15]
	v_cmp_lt_i64_e64 s[2:3], s[16:17], v[10:11]
	s_and_b64 s[2:3], s[2:3], exec
	v_lshlrev_b64 v[12:13], 3, v[8:9]
	s_cselect_b32 s15, s17, s15
	s_cselect_b32 s14, s16, s14
	v_lshl_add_u64 v[10:11], s[28:29], 0, v[12:13]
	v_lshl_add_u64 v[12:13], s[26:27], 0, v[12:13]
	s_mov_b64 s[16:17], 0
	s_mov_b64 s[18:19], 0x100
	s_mov_b64 s[20:21], 0x800
.LBB18_41:                              ; =>This Inner Loop Header: Depth=1
	global_load_dwordx2 v[16:17], v[12:13], off
	global_load_dwordx2 v[18:19], v[10:11], off
	v_lshl_add_u64 v[8:9], v[8:9], 0, s[18:19]
	v_lshl_add_u64 v[10:11], v[10:11], 0, s[20:21]
	;; [unrolled: 1-line block ×3, first 2 shown]
	s_waitcnt vmcnt(1)
	v_subrev_co_u32_e64 v16, s[2:3], s44, v16
	s_nop 1
	v_subbrev_co_u32_e64 v17, s[2:3], 0, v17, s[2:3]
	v_lshl_add_u64 v[16:17], v[16:17], 3, s[30:31]
	global_load_dwordx2 v[16:17], v[16:17], off
	v_cmp_le_i64_e64 s[2:3], s[14:15], v[8:9]
	s_waitcnt vmcnt(1)
	v_mul_f64 v[18:19], v[2:3], v[18:19]
	s_or_b64 s[16:17], s[2:3], s[16:17]
	s_waitcnt vmcnt(0)
	v_fmac_f64_e32 v[4:5], v[18:19], v[16:17]
	s_andn2_b64 exec, exec, s[16:17]
	s_cbranch_execnz .LBB18_41
; %bb.42:
	s_or_b64 exec, exec, s[16:17]
.LBB18_43:
	s_or_b64 exec, exec, s[12:13]
	s_movk_i32 s2, 0x80
	v_lshlrev_b32_e32 v1, 3, v0
	v_cmp_gt_u32_e64 s[2:3], s2, v0
	ds_write_b64 v1, v[4:5]
	s_waitcnt lgkmcnt(0)
	s_barrier
	s_and_saveexec_b64 s[12:13], s[2:3]
	s_cbranch_execz .LBB18_45
; %bb.44:
	ds_read2st64_b64 v[8:11], v1 offset1:2
	s_waitcnt lgkmcnt(0)
	v_add_f64 v[4:5], v[8:9], v[10:11]
	ds_write_b64 v1, v[4:5]
.LBB18_45:
	s_or_b64 exec, exec, s[12:13]
	v_cmp_gt_u32_e64 s[2:3], 64, v0
	s_waitcnt lgkmcnt(0)
	s_barrier
	s_and_saveexec_b64 s[12:13], s[2:3]
	s_cbranch_execz .LBB18_47
; %bb.46:
	ds_read2st64_b64 v[8:11], v1 offset1:1
	s_waitcnt lgkmcnt(0)
	v_add_f64 v[4:5], v[8:9], v[10:11]
	ds_write_b64 v1, v[4:5]
.LBB18_47:
	s_or_b64 exec, exec, s[12:13]
	v_cmp_gt_u32_e64 s[2:3], 32, v0
	s_waitcnt lgkmcnt(0)
	s_barrier
	s_and_saveexec_b64 s[12:13], s[2:3]
	s_cbranch_execz .LBB18_49
; %bb.48:
	ds_read2_b64 v[8:11], v1 offset1:32
	s_waitcnt lgkmcnt(0)
	v_add_f64 v[4:5], v[8:9], v[10:11]
	ds_write_b64 v1, v[4:5]
.LBB18_49:
	s_or_b64 exec, exec, s[12:13]
	v_cmp_gt_u32_e64 s[2:3], 16, v0
	s_waitcnt lgkmcnt(0)
	s_barrier
	s_and_saveexec_b64 s[12:13], s[2:3]
	s_cbranch_execz .LBB18_51
; %bb.50:
	ds_read2_b64 v[8:11], v1 offset1:16
	s_waitcnt lgkmcnt(0)
	v_add_f64 v[4:5], v[8:9], v[10:11]
	ds_write_b64 v1, v[4:5]
.LBB18_51:
	;; [unrolled: 12-line block ×5, first 2 shown]
	s_or_b64 exec, exec, s[12:13]
	s_waitcnt lgkmcnt(0)
	s_barrier
	s_and_saveexec_b64 s[2:3], vcc
	s_cbranch_execz .LBB18_59
; %bb.58:
	v_mov_b32_e32 v1, 0
	ds_read_b128 v[8:11], v1
	s_waitcnt lgkmcnt(0)
	v_add_f64 v[4:5], v[8:9], v[10:11]
	ds_write_b64 v1, v[4:5]
.LBB18_59:
	s_or_b64 exec, exec, s[2:3]
	s_waitcnt lgkmcnt(0)
	s_barrier
	s_and_saveexec_b64 s[2:3], vcc
	s_cbranch_execz .LBB18_68
; %bb.60:
	s_andn2_b64 vcc, exec, s[10:11]
	s_cbranch_vccnz .LBB18_66
; %bb.61:
	s_lshl_b64 s[8:9], s[8:9], 2
	s_add_u32 s6, s6, s8
	s_addc_u32 s7, s7, s9
	v_mov_b32_e32 v1, 0
	s_branch .LBB18_63
.LBB18_62:                              ;   in Loop: Header=BB18_63 Depth=1
	s_or_b64 exec, exec, s[8:9]
	s_waitcnt vmcnt(0)
	v_readfirstlane_b32 s8, v4
	s_nop 1
	v_cmp_eq_u32_e32 vcc, s8, v14
	s_cbranch_vccz .LBB18_65
.LBB18_63:                              ; =>This Inner Loop Header: Depth=1
	v_mbcnt_lo_u32_b32 v4, exec_lo, 0
	v_mbcnt_hi_u32_b32 v4, exec_hi, v4
	v_cmp_eq_u32_e32 vcc, 0, v4
                                        ; implicit-def: $vgpr4
	s_and_saveexec_b64 s[8:9], vcc
	s_cbranch_execz .LBB18_62
; %bb.64:                               ;   in Loop: Header=BB18_63 Depth=1
	global_load_dword v4, v1, s[6:7] sc1
	s_branch .LBB18_62
.LBB18_65:
	v_mov_b32_e32 v1, 0
	global_load_ushort v4, v1, s[4:5]
	s_waitcnt vmcnt(0)
	v_xor_b32_e32 v4, 1, v4
	global_store_short v1, v4, s[4:5]
.LBB18_66:
	s_mov_b64 s[4:5], exec
	v_mbcnt_lo_u32_b32 v1, s4, 0
	v_mbcnt_hi_u32_b32 v1, s5, v1
	v_cmp_eq_u32_e32 vcc, 0, v1
	s_and_b64 s[6:7], exec, vcc
	s_mov_b64 exec, s[6:7]
	s_cbranch_execz .LBB18_68
; %bb.67:
	v_mov_b32_e32 v1, 0
	ds_read_b64 v[4:5], v1
	s_add_u32 s6, s22, s46
	s_addc_u32 s7, s23, s47
	s_bcnt1_i32_b64 s4, s[4:5]
	v_cvt_f64_u32_e32 v[8:9], s4
	s_waitcnt lgkmcnt(0)
	v_mul_f64 v[4:5], v[4:5], v[8:9]
	global_atomic_add_f64 v1, v[4:5], s[6:7]
.LBB18_68:
	s_or_b64 exec, exec, s[2:3]
.LBB18_69:
	s_mov_b64 s[6:7], 0
.LBB18_70:
	s_andn2_b64 vcc, exec, s[6:7]
	s_cbranch_vccnz .LBB18_114
; %bb.71:
	s_load_dwordx2 s[0:1], s[0:1], 0x8
	v_subrev_co_u32_e32 v4, vcc, s44, v0
	v_mov_b32_e32 v1, 0
	s_nop 0
	v_subb_co_u32_e64 v5, s[2:3], 0, 0, vcc
	s_waitcnt lgkmcnt(0)
	v_lshl_add_u64 v[4:5], s[40:41], 0, v[4:5]
	s_mov_b64 s[2:3], 0x300
	v_lshl_add_u64 v[8:9], v[4:5], 0, s[2:3]
	v_cmp_le_i64_e32 vcc, s[0:1], v[8:9]
	s_and_saveexec_b64 s[0:1], vcc
	s_xor_b64 s[0:1], exec, s[0:1]
	s_cbranch_execz .LBB18_76
; %bb.72:
	s_lshl_b64 s[2:3], s[38:39], 3
	s_add_u32 s2, s24, s2
	s_addc_u32 s3, s25, s3
	s_load_dwordx2 s[2:3], s[2:3], 0x0
	s_waitcnt lgkmcnt(0)
	s_sub_u32 s2, s2, s44
	s_subb_u32 s3, s3, 0
	v_cmp_gt_i64_e32 vcc, s[2:3], v[4:5]
	s_and_saveexec_b64 s[4:5], vcc
	s_cbranch_execz .LBB18_75
; %bb.73:
	v_lshlrev_b64 v[10:11], 3, v[4:5]
	v_lshlrev_b32_e32 v12, 3, v0
	v_lshl_add_u64 v[8:9], s[28:29], 0, v[10:11]
	v_lshl_add_u64 v[10:11], s[26:27], 0, v[10:11]
	s_mov_b64 s[6:7], 0
	s_mov_b64 s[8:9], 0x100
	;; [unrolled: 1-line block ×3, first 2 shown]
.LBB18_74:                              ; =>This Inner Loop Header: Depth=1
	global_load_dwordx2 v[14:15], v[10:11], off
	global_load_dwordx2 v[16:17], v[8:9], off
	v_lshl_add_u64 v[4:5], v[4:5], 0, s[8:9]
	v_lshl_add_u64 v[8:9], v[8:9], 0, s[10:11]
	;; [unrolled: 1-line block ×3, first 2 shown]
	s_waitcnt vmcnt(1)
	v_subrev_co_u32_e32 v14, vcc, s44, v14
	s_nop 1
	v_subbrev_co_u32_e32 v15, vcc, 0, v15, vcc
	v_lshl_add_u64 v[14:15], v[14:15], 3, s[30:31]
	global_load_dwordx2 v[14:15], v[14:15], off
	s_waitcnt vmcnt(1)
	v_mul_f64 v[16:17], v[2:3], v[16:17]
	v_cmp_le_i64_e32 vcc, s[2:3], v[4:5]
	s_or_b64 s[6:7], vcc, s[6:7]
	s_waitcnt vmcnt(0)
	v_mul_f64 v[14:15], v[16:17], v[14:15]
	ds_write_b64 v12, v[14:15]
	v_add_u32_e32 v12, 0x800, v12
	s_andn2_b64 exec, exec, s[6:7]
	s_cbranch_execnz .LBB18_74
.LBB18_75:
	s_or_b64 exec, exec, s[4:5]
                                        ; implicit-def: $vgpr4_vgpr5
                                        ; implicit-def: $vgpr2_vgpr3
.LBB18_76:
	s_or_saveexec_b64 s[0:1], s[0:1]
	s_waitcnt vmcnt(0)
	v_lshlrev_b32_e32 v14, 3, v0
	s_xor_b64 exec, exec, s[0:1]
	s_cbranch_execz .LBB18_78
; %bb.77:
	v_lshlrev_b64 v[4:5], 3, v[4:5]
	v_lshl_add_u64 v[8:9], s[26:27], 0, v[4:5]
	global_load_dwordx2 v[10:11], v[8:9], off
	global_load_dwordx2 v[12:13], v[8:9], off offset:2048
	s_movk_i32 s2, 0x1000
	v_add_co_u32_e32 v8, vcc, s2, v8
	v_lshl_add_u64 v[4:5], s[28:29], 0, v[4:5]
	s_nop 0
	v_addc_co_u32_e32 v9, vcc, 0, v9, vcc
	global_load_dwordx2 v[16:17], v[8:9], off
	global_load_dwordx2 v[18:19], v[8:9], off offset:2048
	s_nop 0
	global_load_dwordx2 v[8:9], v[4:5], off
	global_load_dwordx2 v[20:21], v[4:5], off offset:2048
	v_add_co_u32_e32 v4, vcc, s2, v4
	s_nop 1
	v_addc_co_u32_e32 v5, vcc, 0, v5, vcc
	global_load_dwordx2 v[22:23], v[4:5], off
	global_load_dwordx2 v[24:25], v[4:5], off offset:2048
	s_waitcnt vmcnt(7)
	v_subrev_co_u32_e32 v4, vcc, s44, v10
	s_nop 1
	v_subbrev_co_u32_e32 v5, vcc, 0, v11, vcc
	s_waitcnt vmcnt(6)
	v_subrev_co_u32_e32 v10, vcc, s44, v12
	v_lshl_add_u64 v[4:5], v[4:5], 3, s[30:31]
	s_nop 0
	v_subbrev_co_u32_e32 v11, vcc, 0, v13, vcc
	s_waitcnt vmcnt(5)
	v_subrev_co_u32_e32 v12, vcc, s44, v16
	v_lshl_add_u64 v[10:11], v[10:11], 3, s[30:31]
	s_nop 0
	v_subbrev_co_u32_e32 v13, vcc, 0, v17, vcc
	s_waitcnt vmcnt(4)
	v_subrev_co_u32_e32 v16, vcc, s44, v18
	s_nop 1
	v_subbrev_co_u32_e32 v17, vcc, 0, v19, vcc
	global_load_dwordx2 v[18:19], v[4:5], off
	global_load_dwordx2 v[26:27], v[10:11], off
	v_lshl_add_u64 v[4:5], v[12:13], 3, s[30:31]
	v_lshl_add_u64 v[10:11], v[16:17], 3, s[30:31]
	global_load_dwordx2 v[12:13], v[4:5], off
	global_load_dwordx2 v[16:17], v[10:11], off
	s_waitcnt vmcnt(7)
	v_mul_f64 v[4:5], v[2:3], v[8:9]
	s_waitcnt vmcnt(6)
	v_mul_f64 v[8:9], v[2:3], v[20:21]
	;; [unrolled: 2-line block ×6, first 2 shown]
	ds_write2st64_b64 v14, v[4:5], v[8:9] offset1:4
	s_waitcnt vmcnt(1)
	v_mul_f64 v[4:5], v[10:11], v[12:13]
	s_waitcnt vmcnt(0)
	v_mul_f64 v[2:3], v[2:3], v[16:17]
	ds_write2st64_b64 v14, v[4:5], v[2:3] offset0:8 offset1:12
.LBB18_78:
	s_or_b64 exec, exec, s[0:1]
	v_cmp_lt_i64_e64 s[2:3], s[34:35], 2
	s_mov_b64 s[0:1], -1
	s_and_b64 vcc, exec, s[2:3]
	s_waitcnt lgkmcnt(0)
	s_barrier
	s_cbranch_vccz .LBB18_89
; %bb.79:
	v_lshl_add_u64 v[8:9], s[36:37], 0, v[0:1]
	v_cmp_gt_i64_e32 vcc, s[38:39], v[8:9]
	s_and_saveexec_b64 s[2:3], vcc
	s_cbranch_execz .LBB18_88
; %bb.80:
	s_lshl_b32 s0, s40, 3
	s_mov_b64 s[4:5], 0
	v_cmp_neq_f64_e32 vcc, 0, v[6:7]
	s_sub_i32 s12, 0, s0
	s_mov_b64 s[6:7], 0x100
	s_branch .LBB18_82
.LBB18_81:                              ;   in Loop: Header=BB18_82 Depth=1
	s_or_b64 exec, exec, s[0:1]
	v_lshl_add_u64 v[8:9], v[8:9], 0, s[6:7]
	v_cmp_le_i64_e64 s[0:1], s[38:39], v[8:9]
	s_or_b64 s[4:5], s[0:1], s[4:5]
	global_store_dwordx2 v[2:3], v[10:11], off
	s_andn2_b64 exec, exec, s[4:5]
	s_cbranch_execz .LBB18_88
.LBB18_82:                              ; =>This Loop Header: Depth=1
                                        ;     Child Loop BB18_84 Depth 2
	v_lshl_add_u64 v[2:3], v[8:9], 3, s[24:25]
	global_load_dwordx4 v[2:5], v[2:3], off
	v_mov_b64_e32 v[10:11], 0
	s_waitcnt vmcnt(0)
	v_cmp_lt_i64_e64 s[0:1], v[2:3], v[4:5]
	s_and_saveexec_b64 s[8:9], s[0:1]
	s_cbranch_execz .LBB18_86
; %bb.83:                               ;   in Loop: Header=BB18_82 Depth=1
	v_mov_b32_e32 v1, s41
	v_subrev_co_u32_e64 v4, s[0:1], s40, v4
	v_mov_b64_e32 v[10:11], 0
	s_nop 0
	v_subb_co_u32_e64 v5, s[0:1], v5, v1, s[0:1]
	v_subrev_co_u32_e64 v12, s[0:1], s40, v2
	s_mov_b64 s[10:11], 0
	s_nop 0
	v_subb_co_u32_e64 v13, s[0:1], v3, v1, s[0:1]
	v_lshl_add_u32 v1, v2, 3, s12
.LBB18_84:                              ;   Parent Loop BB18_82 Depth=1
                                        ; =>  This Inner Loop Header: Depth=2
	ds_read_b64 v[2:3], v1
	v_lshl_add_u64 v[12:13], v[12:13], 0, 1
	v_cmp_ge_i64_e64 s[0:1], v[12:13], v[4:5]
	v_add_u32_e32 v1, 8, v1
	s_or_b64 s[10:11], s[0:1], s[10:11]
	s_waitcnt lgkmcnt(0)
	v_add_f64 v[10:11], v[10:11], v[2:3]
	s_andn2_b64 exec, exec, s[10:11]
	s_cbranch_execnz .LBB18_84
; %bb.85:                               ;   in Loop: Header=BB18_82 Depth=1
	s_or_b64 exec, exec, s[10:11]
.LBB18_86:                              ;   in Loop: Header=BB18_82 Depth=1
	s_or_b64 exec, exec, s[8:9]
	v_lshl_add_u64 v[2:3], v[8:9], 3, s[22:23]
	s_and_saveexec_b64 s[0:1], vcc
	s_cbranch_execz .LBB18_81
; %bb.87:                               ;   in Loop: Header=BB18_82 Depth=1
	global_load_dwordx2 v[4:5], v[2:3], off
	s_waitcnt vmcnt(0)
	v_fmac_f64_e32 v[10:11], v[6:7], v[4:5]
	s_branch .LBB18_81
.LBB18_88:
	s_or_b64 exec, exec, s[2:3]
	s_mov_b64 s[0:1], 0
.LBB18_89:
	s_andn2_b64 vcc, exec, s[0:1]
	s_cbranch_vccnz .LBB18_114
; %bb.90:
	s_flbit_i32_b32 s0, s34
	s_min_u32 s0, s0, 32
	s_sub_i32 s0, 31, s0
	v_lshrrev_b32_e32 v8, s0, v0
	v_mov_b32_e32 v9, 0
	v_lshl_add_u64 v[2:3], s[36:37], 0, v[8:9]
	s_add_i32 s0, s34, -1
	v_and_b32_e32 v0, s0, v0
	v_mov_b32_e32 v1, v9
	v_cmp_le_i64_e64 s[0:1], s[38:39], v[2:3]
	v_cmp_gt_i64_e32 vcc, s[38:39], v[2:3]
	v_mov_b64_e32 v[4:5], 0
	s_and_saveexec_b64 s[2:3], vcc
	s_cbranch_execz .LBB18_96
; %bb.91:
	v_lshlrev_b32_e32 v4, 3, v8
	global_load_dwordx4 v[10:13], v4, s[42:43]
	v_mov_b32_e32 v5, s41
	v_subrev_co_u32_e32 v4, vcc, s40, v0
	v_mov_b32_e32 v9, s41
	s_nop 0
	v_subb_co_u32_e32 v5, vcc, 0, v5, vcc
	s_waitcnt vmcnt(0)
	v_subrev_co_u32_e32 v8, vcc, s40, v12
	s_nop 1
	v_subb_co_u32_e32 v9, vcc, v13, v9, vcc
	v_lshl_add_u64 v[10:11], v[10:11], 0, v[4:5]
	v_cmp_lt_i64_e32 vcc, v[10:11], v[8:9]
	v_mov_b64_e32 v[4:5], 0
	s_and_saveexec_b64 s[4:5], vcc
	s_cbranch_execz .LBB18_95
; %bb.92:
	v_lshlrev_b32_e32 v12, 3, v10
	s_lshl_b32 s8, s34, 3
	v_mov_b64_e32 v[4:5], 0
	s_mov_b64 s[6:7], 0
.LBB18_93:                              ; =>This Inner Loop Header: Depth=1
	ds_read_b64 v[16:17], v12
	v_lshl_add_u64 v[10:11], v[10:11], 0, s[34:35]
	v_cmp_ge_i64_e32 vcc, v[10:11], v[8:9]
	v_add_u32_e32 v12, s8, v12
	s_or_b64 s[6:7], vcc, s[6:7]
	s_waitcnt lgkmcnt(0)
	v_add_f64 v[4:5], v[4:5], v[16:17]
	s_andn2_b64 exec, exec, s[6:7]
	s_cbranch_execnz .LBB18_93
; %bb.94:
	s_or_b64 exec, exec, s[6:7]
.LBB18_95:
	s_or_b64 exec, exec, s[4:5]
.LBB18_96:
	s_or_b64 exec, exec, s[2:3]
	v_mov_b64_e32 v[8:9], 0x81
	v_cmp_lt_u64_e32 vcc, s[34:35], v[8:9]
	s_and_b64 vcc, exec, vcc
	s_barrier
	ds_write_b64 v14, v[4:5]
	s_waitcnt lgkmcnt(0)
	s_barrier
	s_cbranch_vccnz .LBB18_98
; %bb.97:
	ds_read_b64 v[8:9], v14 offset:1024
	s_waitcnt lgkmcnt(0)
	s_barrier
	v_add_f64 v[4:5], v[4:5], v[8:9]
	ds_write_b64 v14, v[4:5]
.LBB18_98:
	v_mov_b64_e32 v[8:9], 0x41
	v_cmp_lt_u64_e32 vcc, s[34:35], v[8:9]
	s_waitcnt lgkmcnt(0)
	s_barrier
	s_cbranch_vccnz .LBB18_100
; %bb.99:
	ds_read_b64 v[8:9], v14 offset:512
	s_waitcnt lgkmcnt(0)
	s_barrier
	v_add_f64 v[4:5], v[4:5], v[8:9]
	ds_write_b64 v14, v[4:5]
.LBB18_100:
	v_cmp_lt_u64_e64 s[2:3], s[34:35], 33
	s_and_b64 vcc, exec, s[2:3]
	s_waitcnt lgkmcnt(0)
	s_barrier
	s_cbranch_vccnz .LBB18_102
; %bb.101:
	ds_read_b64 v[8:9], v14 offset:256
	s_waitcnt lgkmcnt(0)
	s_barrier
	v_add_f64 v[4:5], v[4:5], v[8:9]
	ds_write_b64 v14, v[4:5]
.LBB18_102:
	v_cmp_lt_u64_e64 s[2:3], s[34:35], 17
	s_and_b64 vcc, exec, s[2:3]
	;; [unrolled: 12-line block ×4, first 2 shown]
	s_waitcnt lgkmcnt(0)
	s_barrier
	s_cbranch_vccnz .LBB18_108
; %bb.107:
	ds_read_b64 v[8:9], v14 offset:32
	s_waitcnt lgkmcnt(0)
	s_barrier
	v_add_f64 v[4:5], v[4:5], v[8:9]
	ds_write_b64 v14, v[4:5]
.LBB18_108:
	s_cmp_eq_u64 s[34:35], 2
	s_waitcnt lgkmcnt(0)
	s_barrier
	s_cbranch_scc1 .LBB18_110
; %bb.109:
	ds_read_b64 v[8:9], v14 offset:16
	s_waitcnt lgkmcnt(0)
	s_barrier
	v_add_f64 v[4:5], v[4:5], v[8:9]
	ds_write_b64 v14, v[4:5]
.LBB18_110:
	s_waitcnt lgkmcnt(0)
	s_barrier
	ds_read_b64 v[8:9], v14 offset:8
	v_cmp_eq_u64_e32 vcc, 0, v[0:1]
	s_xor_b64 s[0:1], s[0:1], -1
	s_and_b64 s[0:1], vcc, s[0:1]
	s_waitcnt lgkmcnt(0)
	v_add_f64 v[4:5], v[4:5], v[8:9]
	s_barrier
	ds_write_b64 v14, v[4:5]
	s_and_b64 exec, exec, s[0:1]
	s_cbranch_execz .LBB18_114
; %bb.111:
	v_cmp_neq_f64_e32 vcc, 0, v[6:7]
	v_lshl_add_u64 v[0:1], v[2:3], 3, s[22:23]
	s_and_saveexec_b64 s[0:1], vcc
	s_cbranch_execz .LBB18_113
; %bb.112:
	global_load_dwordx2 v[2:3], v[0:1], off
	s_waitcnt vmcnt(0)
	v_fmac_f64_e32 v[4:5], v[6:7], v[2:3]
.LBB18_113:
	s_or_b64 exec, exec, s[0:1]
	global_store_dwordx2 v[0:1], v[4:5], off
.LBB18_114:
	s_endpgm
	.section	.rodata,"a",@progbits
	.p2align	6, 0x0
	.amdhsa_kernel _ZN9rocsparseL22csrmvn_adaptive_kernelIllddddEEvbT_PKS1_PjPKT0_NS_24const_host_device_scalarIT4_EES3_S7_PKT1_PKT2_SA_PT3_21rocsparse_index_base_b
		.amdhsa_group_segment_fixed_size 8192
		.amdhsa_private_segment_fixed_size 0
		.amdhsa_kernarg_size 104
		.amdhsa_user_sgpr_count 2
		.amdhsa_user_sgpr_dispatch_ptr 0
		.amdhsa_user_sgpr_queue_ptr 0
		.amdhsa_user_sgpr_kernarg_segment_ptr 1
		.amdhsa_user_sgpr_dispatch_id 0
		.amdhsa_user_sgpr_kernarg_preload_length 0
		.amdhsa_user_sgpr_kernarg_preload_offset 0
		.amdhsa_user_sgpr_private_segment_size 0
		.amdhsa_uses_dynamic_stack 0
		.amdhsa_enable_private_segment 0
		.amdhsa_system_sgpr_workgroup_id_x 1
		.amdhsa_system_sgpr_workgroup_id_y 0
		.amdhsa_system_sgpr_workgroup_id_z 0
		.amdhsa_system_sgpr_workgroup_info 0
		.amdhsa_system_vgpr_workitem_id 0
		.amdhsa_next_free_vgpr 28
		.amdhsa_next_free_sgpr 64
		.amdhsa_accum_offset 28
		.amdhsa_reserve_vcc 1
		.amdhsa_float_round_mode_32 0
		.amdhsa_float_round_mode_16_64 0
		.amdhsa_float_denorm_mode_32 3
		.amdhsa_float_denorm_mode_16_64 3
		.amdhsa_dx10_clamp 1
		.amdhsa_ieee_mode 1
		.amdhsa_fp16_overflow 0
		.amdhsa_tg_split 0
		.amdhsa_exception_fp_ieee_invalid_op 0
		.amdhsa_exception_fp_denorm_src 0
		.amdhsa_exception_fp_ieee_div_zero 0
		.amdhsa_exception_fp_ieee_overflow 0
		.amdhsa_exception_fp_ieee_underflow 0
		.amdhsa_exception_fp_ieee_inexact 0
		.amdhsa_exception_int_div_zero 0
	.end_amdhsa_kernel
	.section	.text._ZN9rocsparseL22csrmvn_adaptive_kernelIllddddEEvbT_PKS1_PjPKT0_NS_24const_host_device_scalarIT4_EES3_S7_PKT1_PKT2_SA_PT3_21rocsparse_index_base_b,"axG",@progbits,_ZN9rocsparseL22csrmvn_adaptive_kernelIllddddEEvbT_PKS1_PjPKT0_NS_24const_host_device_scalarIT4_EES3_S7_PKT1_PKT2_SA_PT3_21rocsparse_index_base_b,comdat
.Lfunc_end18:
	.size	_ZN9rocsparseL22csrmvn_adaptive_kernelIllddddEEvbT_PKS1_PjPKT0_NS_24const_host_device_scalarIT4_EES3_S7_PKT1_PKT2_SA_PT3_21rocsparse_index_base_b, .Lfunc_end18-_ZN9rocsparseL22csrmvn_adaptive_kernelIllddddEEvbT_PKS1_PjPKT0_NS_24const_host_device_scalarIT4_EES3_S7_PKT1_PKT2_SA_PT3_21rocsparse_index_base_b
                                        ; -- End function
	.set _ZN9rocsparseL22csrmvn_adaptive_kernelIllddddEEvbT_PKS1_PjPKT0_NS_24const_host_device_scalarIT4_EES3_S7_PKT1_PKT2_SA_PT3_21rocsparse_index_base_b.num_vgpr, 28
	.set _ZN9rocsparseL22csrmvn_adaptive_kernelIllddddEEvbT_PKS1_PjPKT0_NS_24const_host_device_scalarIT4_EES3_S7_PKT1_PKT2_SA_PT3_21rocsparse_index_base_b.num_agpr, 0
	.set _ZN9rocsparseL22csrmvn_adaptive_kernelIllddddEEvbT_PKS1_PjPKT0_NS_24const_host_device_scalarIT4_EES3_S7_PKT1_PKT2_SA_PT3_21rocsparse_index_base_b.numbered_sgpr, 64
	.set _ZN9rocsparseL22csrmvn_adaptive_kernelIllddddEEvbT_PKS1_PjPKT0_NS_24const_host_device_scalarIT4_EES3_S7_PKT1_PKT2_SA_PT3_21rocsparse_index_base_b.num_named_barrier, 0
	.set _ZN9rocsparseL22csrmvn_adaptive_kernelIllddddEEvbT_PKS1_PjPKT0_NS_24const_host_device_scalarIT4_EES3_S7_PKT1_PKT2_SA_PT3_21rocsparse_index_base_b.private_seg_size, 0
	.set _ZN9rocsparseL22csrmvn_adaptive_kernelIllddddEEvbT_PKS1_PjPKT0_NS_24const_host_device_scalarIT4_EES3_S7_PKT1_PKT2_SA_PT3_21rocsparse_index_base_b.uses_vcc, 1
	.set _ZN9rocsparseL22csrmvn_adaptive_kernelIllddddEEvbT_PKS1_PjPKT0_NS_24const_host_device_scalarIT4_EES3_S7_PKT1_PKT2_SA_PT3_21rocsparse_index_base_b.uses_flat_scratch, 0
	.set _ZN9rocsparseL22csrmvn_adaptive_kernelIllddddEEvbT_PKS1_PjPKT0_NS_24const_host_device_scalarIT4_EES3_S7_PKT1_PKT2_SA_PT3_21rocsparse_index_base_b.has_dyn_sized_stack, 0
	.set _ZN9rocsparseL22csrmvn_adaptive_kernelIllddddEEvbT_PKS1_PjPKT0_NS_24const_host_device_scalarIT4_EES3_S7_PKT1_PKT2_SA_PT3_21rocsparse_index_base_b.has_recursion, 0
	.set _ZN9rocsparseL22csrmvn_adaptive_kernelIllddddEEvbT_PKS1_PjPKT0_NS_24const_host_device_scalarIT4_EES3_S7_PKT1_PKT2_SA_PT3_21rocsparse_index_base_b.has_indirect_call, 0
	.section	.AMDGPU.csdata,"",@progbits
; Kernel info:
; codeLenInByte = 4040
; TotalNumSgprs: 70
; NumVgprs: 28
; NumAgprs: 0
; TotalNumVgprs: 28
; ScratchSize: 0
; MemoryBound: 1
; FloatMode: 240
; IeeeMode: 1
; LDSByteSize: 8192 bytes/workgroup (compile time only)
; SGPRBlocks: 8
; VGPRBlocks: 3
; NumSGPRsForWavesPerEU: 70
; NumVGPRsForWavesPerEU: 28
; AccumOffset: 28
; Occupancy: 8
; WaveLimiterHint : 1
; COMPUTE_PGM_RSRC2:SCRATCH_EN: 0
; COMPUTE_PGM_RSRC2:USER_SGPR: 2
; COMPUTE_PGM_RSRC2:TRAP_HANDLER: 0
; COMPUTE_PGM_RSRC2:TGID_X_EN: 1
; COMPUTE_PGM_RSRC2:TGID_Y_EN: 0
; COMPUTE_PGM_RSRC2:TGID_Z_EN: 0
; COMPUTE_PGM_RSRC2:TIDIG_COMP_CNT: 0
; COMPUTE_PGM_RSRC3_GFX90A:ACCUM_OFFSET: 6
; COMPUTE_PGM_RSRC3_GFX90A:TG_SPLIT: 0
	.section	.text._ZN9rocsparseL22partial_scale_y_kernelIlddEEvT_S1_S1_NS_24const_host_device_scalarIT1_EEPT0_b,"axG",@progbits,_ZN9rocsparseL22partial_scale_y_kernelIlddEEvT_S1_S1_NS_24const_host_device_scalarIT1_EEPT0_b,comdat
	.globl	_ZN9rocsparseL22partial_scale_y_kernelIlddEEvT_S1_S1_NS_24const_host_device_scalarIT1_EEPT0_b ; -- Begin function _ZN9rocsparseL22partial_scale_y_kernelIlddEEvT_S1_S1_NS_24const_host_device_scalarIT1_EEPT0_b
	.p2align	8
	.type	_ZN9rocsparseL22partial_scale_y_kernelIlddEEvT_S1_S1_NS_24const_host_device_scalarIT1_EEPT0_b,@function
_ZN9rocsparseL22partial_scale_y_kernelIlddEEvT_S1_S1_NS_24const_host_device_scalarIT1_EEPT0_b: ; @_ZN9rocsparseL22partial_scale_y_kernelIlddEEvT_S1_S1_NS_24const_host_device_scalarIT1_EEPT0_b
; %bb.0:
	s_load_dword s3, s[0:1], 0x28
	s_load_dwordx8 s[4:11], s[0:1], 0x0
	s_waitcnt lgkmcnt(0)
	s_bitcmp1_b32 s3, 0
	s_cselect_b64 s[12:13], -1, 0
	s_and_b64 vcc, exec, s[12:13]
	v_mov_b64_e32 v[2:3], s[10:11]
	s_cbranch_vccnz .LBB19_2
; %bb.1:
	v_mov_b64_e32 v[2:3], s[10:11]
	flat_load_dwordx2 v[2:3], v[2:3]
.LBB19_2:
	s_waitcnt vmcnt(0) lgkmcnt(0)
	v_cmp_neq_f64_e32 vcc, 1.0, v[2:3]
	s_and_saveexec_b64 s[10:11], vcc
	s_cbranch_execz .LBB19_15
; %bb.3:
	v_lshl_or_b32 v0, s2, 8, v0
	s_add_u32 s2, s6, s4
	s_addc_u32 s3, s7, s5
	s_sub_u32 s2, s2, s8
	v_mov_b32_e32 v1, 0
	s_subb_u32 s3, s3, s9
	v_cmp_gt_i64_e32 vcc, s[2:3], v[0:1]
	s_and_b64 exec, exec, vcc
	s_cbranch_execz .LBB19_15
; %bb.4:
	s_load_dwordx2 s[2:3], s[0:1], 0x20
	v_cmp_le_i64_e64 s[0:1], s[6:7], v[0:1]
	v_cmp_neq_f64_e32 vcc, 0, v[2:3]
	s_and_saveexec_b64 s[4:5], s[0:1]
	s_xor_b64 s[4:5], exec, s[4:5]
	s_cbranch_execz .LBB19_10
; %bb.5:
	v_mov_b32_e32 v1, s7
	v_subrev_co_u32_e64 v0, s[0:1], s6, v0
	s_nop 1
	v_subb_co_u32_e64 v1, s[0:1], 0, v1, s[0:1]
	s_lshl_b64 s[0:1], s[8:9], 3
	s_waitcnt lgkmcnt(0)
	s_add_u32 s0, s2, s0
	s_addc_u32 s1, s3, s1
	v_lshl_add_u64 v[0:1], v[0:1], 3, s[0:1]
	s_and_saveexec_b64 s[0:1], vcc
	s_xor_b64 s[0:1], exec, s[0:1]
	s_cbranch_execz .LBB19_7
; %bb.6:
	global_load_dwordx2 v[4:5], v[0:1], off
	s_waitcnt vmcnt(0)
	v_mul_f64 v[2:3], v[2:3], v[4:5]
	global_store_dwordx2 v[0:1], v[2:3], off
                                        ; implicit-def: $vgpr0_vgpr1
.LBB19_7:
	s_andn2_saveexec_b64 s[0:1], s[0:1]
	s_cbranch_execz .LBB19_9
; %bb.8:
	v_mov_b32_e32 v2, 0
	v_mov_b32_e32 v3, v2
	global_store_dwordx2 v[0:1], v[2:3], off
.LBB19_9:
	s_or_b64 exec, exec, s[0:1]
                                        ; implicit-def: $vgpr0_vgpr1
                                        ; implicit-def: $vgpr2_vgpr3
.LBB19_10:
	s_andn2_saveexec_b64 s[0:1], s[4:5]
	s_cbranch_execz .LBB19_15
; %bb.11:
	s_waitcnt lgkmcnt(0)
	v_lshl_add_u64 v[0:1], v[0:1], 3, s[2:3]
	s_and_saveexec_b64 s[0:1], vcc
	s_xor_b64 s[0:1], exec, s[0:1]
	s_cbranch_execz .LBB19_13
; %bb.12:
	global_load_dwordx2 v[4:5], v[0:1], off
	s_waitcnt vmcnt(0)
	v_mul_f64 v[2:3], v[2:3], v[4:5]
	global_store_dwordx2 v[0:1], v[2:3], off
                                        ; implicit-def: $vgpr0_vgpr1
.LBB19_13:
	s_andn2_saveexec_b64 s[0:1], s[0:1]
	s_cbranch_execz .LBB19_15
; %bb.14:
	v_mov_b32_e32 v2, 0
	v_mov_b32_e32 v3, v2
	global_store_dwordx2 v[0:1], v[2:3], off
.LBB19_15:
	s_endpgm
	.section	.rodata,"a",@progbits
	.p2align	6, 0x0
	.amdhsa_kernel _ZN9rocsparseL22partial_scale_y_kernelIlddEEvT_S1_S1_NS_24const_host_device_scalarIT1_EEPT0_b
		.amdhsa_group_segment_fixed_size 0
		.amdhsa_private_segment_fixed_size 0
		.amdhsa_kernarg_size 44
		.amdhsa_user_sgpr_count 2
		.amdhsa_user_sgpr_dispatch_ptr 0
		.amdhsa_user_sgpr_queue_ptr 0
		.amdhsa_user_sgpr_kernarg_segment_ptr 1
		.amdhsa_user_sgpr_dispatch_id 0
		.amdhsa_user_sgpr_kernarg_preload_length 0
		.amdhsa_user_sgpr_kernarg_preload_offset 0
		.amdhsa_user_sgpr_private_segment_size 0
		.amdhsa_uses_dynamic_stack 0
		.amdhsa_enable_private_segment 0
		.amdhsa_system_sgpr_workgroup_id_x 1
		.amdhsa_system_sgpr_workgroup_id_y 0
		.amdhsa_system_sgpr_workgroup_id_z 0
		.amdhsa_system_sgpr_workgroup_info 0
		.amdhsa_system_vgpr_workitem_id 0
		.amdhsa_next_free_vgpr 6
		.amdhsa_next_free_sgpr 14
		.amdhsa_accum_offset 8
		.amdhsa_reserve_vcc 1
		.amdhsa_float_round_mode_32 0
		.amdhsa_float_round_mode_16_64 0
		.amdhsa_float_denorm_mode_32 3
		.amdhsa_float_denorm_mode_16_64 3
		.amdhsa_dx10_clamp 1
		.amdhsa_ieee_mode 1
		.amdhsa_fp16_overflow 0
		.amdhsa_tg_split 0
		.amdhsa_exception_fp_ieee_invalid_op 0
		.amdhsa_exception_fp_denorm_src 0
		.amdhsa_exception_fp_ieee_div_zero 0
		.amdhsa_exception_fp_ieee_overflow 0
		.amdhsa_exception_fp_ieee_underflow 0
		.amdhsa_exception_fp_ieee_inexact 0
		.amdhsa_exception_int_div_zero 0
	.end_amdhsa_kernel
	.section	.text._ZN9rocsparseL22partial_scale_y_kernelIlddEEvT_S1_S1_NS_24const_host_device_scalarIT1_EEPT0_b,"axG",@progbits,_ZN9rocsparseL22partial_scale_y_kernelIlddEEvT_S1_S1_NS_24const_host_device_scalarIT1_EEPT0_b,comdat
.Lfunc_end19:
	.size	_ZN9rocsparseL22partial_scale_y_kernelIlddEEvT_S1_S1_NS_24const_host_device_scalarIT1_EEPT0_b, .Lfunc_end19-_ZN9rocsparseL22partial_scale_y_kernelIlddEEvT_S1_S1_NS_24const_host_device_scalarIT1_EEPT0_b
                                        ; -- End function
	.set _ZN9rocsparseL22partial_scale_y_kernelIlddEEvT_S1_S1_NS_24const_host_device_scalarIT1_EEPT0_b.num_vgpr, 6
	.set _ZN9rocsparseL22partial_scale_y_kernelIlddEEvT_S1_S1_NS_24const_host_device_scalarIT1_EEPT0_b.num_agpr, 0
	.set _ZN9rocsparseL22partial_scale_y_kernelIlddEEvT_S1_S1_NS_24const_host_device_scalarIT1_EEPT0_b.numbered_sgpr, 14
	.set _ZN9rocsparseL22partial_scale_y_kernelIlddEEvT_S1_S1_NS_24const_host_device_scalarIT1_EEPT0_b.num_named_barrier, 0
	.set _ZN9rocsparseL22partial_scale_y_kernelIlddEEvT_S1_S1_NS_24const_host_device_scalarIT1_EEPT0_b.private_seg_size, 0
	.set _ZN9rocsparseL22partial_scale_y_kernelIlddEEvT_S1_S1_NS_24const_host_device_scalarIT1_EEPT0_b.uses_vcc, 1
	.set _ZN9rocsparseL22partial_scale_y_kernelIlddEEvT_S1_S1_NS_24const_host_device_scalarIT1_EEPT0_b.uses_flat_scratch, 0
	.set _ZN9rocsparseL22partial_scale_y_kernelIlddEEvT_S1_S1_NS_24const_host_device_scalarIT1_EEPT0_b.has_dyn_sized_stack, 0
	.set _ZN9rocsparseL22partial_scale_y_kernelIlddEEvT_S1_S1_NS_24const_host_device_scalarIT1_EEPT0_b.has_recursion, 0
	.set _ZN9rocsparseL22partial_scale_y_kernelIlddEEvT_S1_S1_NS_24const_host_device_scalarIT1_EEPT0_b.has_indirect_call, 0
	.section	.AMDGPU.csdata,"",@progbits
; Kernel info:
; codeLenInByte = 344
; TotalNumSgprs: 20
; NumVgprs: 6
; NumAgprs: 0
; TotalNumVgprs: 6
; ScratchSize: 0
; MemoryBound: 0
; FloatMode: 240
; IeeeMode: 1
; LDSByteSize: 0 bytes/workgroup (compile time only)
; SGPRBlocks: 2
; VGPRBlocks: 0
; NumSGPRsForWavesPerEU: 20
; NumVGPRsForWavesPerEU: 6
; AccumOffset: 8
; Occupancy: 8
; WaveLimiterHint : 0
; COMPUTE_PGM_RSRC2:SCRATCH_EN: 0
; COMPUTE_PGM_RSRC2:USER_SGPR: 2
; COMPUTE_PGM_RSRC2:TRAP_HANDLER: 0
; COMPUTE_PGM_RSRC2:TGID_X_EN: 1
; COMPUTE_PGM_RSRC2:TGID_Y_EN: 0
; COMPUTE_PGM_RSRC2:TGID_Z_EN: 0
; COMPUTE_PGM_RSRC2:TIDIG_COMP_CNT: 0
; COMPUTE_PGM_RSRC3_GFX90A:ACCUM_OFFSET: 1
; COMPUTE_PGM_RSRC3_GFX90A:TG_SPLIT: 0
	.section	.text._ZN9rocsparseL27csrmvn_symm_adaptive_kernelIllddddEEvbT_S1_PKS1_NS_24const_host_device_scalarIT4_EES3_PKT0_PKT1_PKT2_S6_PT3_21rocsparse_index_base_b,"axG",@progbits,_ZN9rocsparseL27csrmvn_symm_adaptive_kernelIllddddEEvbT_S1_PKS1_NS_24const_host_device_scalarIT4_EES3_PKT0_PKT1_PKT2_S6_PT3_21rocsparse_index_base_b,comdat
	.globl	_ZN9rocsparseL27csrmvn_symm_adaptive_kernelIllddddEEvbT_S1_PKS1_NS_24const_host_device_scalarIT4_EES3_PKT0_PKT1_PKT2_S6_PT3_21rocsparse_index_base_b ; -- Begin function _ZN9rocsparseL27csrmvn_symm_adaptive_kernelIllddddEEvbT_S1_PKS1_NS_24const_host_device_scalarIT4_EES3_PKT0_PKT1_PKT2_S6_PT3_21rocsparse_index_base_b
	.p2align	8
	.type	_ZN9rocsparseL27csrmvn_symm_adaptive_kernelIllddddEEvbT_S1_PKS1_NS_24const_host_device_scalarIT4_EES3_PKT0_PKT1_PKT2_S6_PT3_21rocsparse_index_base_b,@function
_ZN9rocsparseL27csrmvn_symm_adaptive_kernelIllddddEEvbT_S1_PKS1_NS_24const_host_device_scalarIT4_EES3_PKT0_PKT1_PKT2_S6_PT3_21rocsparse_index_base_b: ; @_ZN9rocsparseL27csrmvn_symm_adaptive_kernelIllddddEEvbT_S1_PKS1_NS_24const_host_device_scalarIT4_EES3_PKT0_PKT1_PKT2_S6_PT3_21rocsparse_index_base_b
; %bb.0:
	s_load_dwordx2 s[28:29], s[0:1], 0x58
	s_load_dwordx2 s[8:9], s[0:1], 0x20
	;; [unrolled: 1-line block ×3, first 2 shown]
	s_waitcnt lgkmcnt(0)
	s_bitcmp1_b32 s29, 0
	s_cselect_b64 s[10:11], -1, 0
	s_xor_b64 s[6:7], s[10:11], -1
	s_and_b64 vcc, exec, s[10:11]
	v_mov_b64_e32 v[6:7], s[8:9]
	s_cbranch_vccnz .LBB20_2
; %bb.1:
	v_mov_b64_e32 v[2:3], s[8:9]
	flat_load_dwordx2 v[6:7], v[2:3]
.LBB20_2:
	s_andn2_b64 vcc, exec, s[6:7]
	v_mov_b64_e32 v[2:3], s[4:5]
	s_cbranch_vccnz .LBB20_4
; %bb.3:
	v_mov_b64_e32 v[2:3], s[4:5]
	flat_load_dwordx2 v[2:3], v[2:3]
.LBB20_4:
	s_waitcnt vmcnt(0) lgkmcnt(0)
	v_cmp_neq_f64_e32 vcc, 0, v[6:7]
	v_cmp_neq_f64_e64 s[4:5], 1.0, v[2:3]
	s_or_b64 s[4:5], vcc, s[4:5]
	s_and_saveexec_b64 s[6:7], s[4:5]
	s_cbranch_execz .LBB20_139
; %bb.5:
	s_load_dwordx2 s[4:5], s[0:1], 0x18
	s_ashr_i32 s3, s2, 31
	s_mov_b32 s6, 0
	s_lshl_b64 s[2:3], s[2:3], 3
	s_mov_b32 s7, s6
	s_waitcnt lgkmcnt(0)
	s_add_u32 s2, s4, s2
	v_lshlrev_b32_e32 v16, 3, v0
	v_mov_b64_e32 v[2:3], s[6:7]
	s_addc_u32 s3, s5, s3
	ds_write2st64_b64 v16, v[2:3], v[2:3] offset1:4
	ds_write2st64_b64 v16, v[2:3], v[2:3] offset0:8 offset1:12
	s_waitcnt lgkmcnt(0)
	s_barrier
	s_load_dwordx4 s[20:23], s[2:3], 0x0
	s_load_dwordx8 s[12:19], s[0:1], 0x28
	s_load_dwordx2 s[24:25], s[0:1], 0x50
	s_mov_b64 s[2:3], -1
	s_waitcnt lgkmcnt(0)
	s_sub_u32 s26, s22, s20
	s_subb_u32 s27, s23, s21
	v_cmp_gt_i64_e64 s[4:5], s[26:27], 2
	s_and_b64 vcc, exec, s[4:5]
	s_cbranch_vccnz .LBB20_38
; %bb.6:
	v_mov_b64_e32 v[2:3], s[20:21]
	v_cmp_le_i64_e32 vcc, s[22:23], v[2:3]
	v_subrev_co_u32_e64 v2, s[2:3], s28, v0
	v_mov_b32_e32 v1, 0
	s_nop 0
	v_subb_co_u32_e64 v3, s[2:3], 0, 0, s[2:3]
	s_cbranch_vccnz .LBB20_28
; %bb.7:
	s_movk_i32 s2, 0x100
	v_cmp_gt_u32_e64 s[2:3], s2, v0
	v_cmp_gt_u32_e64 s[4:5], 64, v0
	;; [unrolled: 1-line block ×4, first 2 shown]
	v_cmp_eq_u32_e64 s[10:11], 0, v0
	s_mov_b64 s[30:31], 0x100
	s_mov_b64 s[34:35], 0x800
	v_mov_b64_e32 v[4:5], s[22:23]
	s_mov_b64 s[36:37], s[20:21]
	s_branch .LBB20_9
.LBB20_8:                               ;   in Loop: Header=BB20_9 Depth=1
	s_or_b64 exec, exec, s[40:41]
	s_add_u32 s36, s36, 1
	s_addc_u32 s37, s37, 0
	v_cmp_ge_i64_e32 vcc, s[36:37], v[4:5]
	s_cbranch_vccnz .LBB20_28
.LBB20_9:                               ; =>This Loop Header: Depth=1
                                        ;     Child Loop BB20_11 Depth 2
                                        ;     Child Loop BB20_25 Depth 2
	s_lshl_b64 s[38:39], s[36:37], 3
	s_add_u32 s40, s12, s38
	s_addc_u32 s41, s13, s39
	s_load_dwordx4 s[44:47], s[40:41], 0x0
	v_mov_b64_e32 v[8:9], 0
	s_waitcnt lgkmcnt(0)
	s_sub_u32 s40, s46, s28
	v_lshl_add_u64 v[10:11], s[44:45], 0, v[2:3]
	s_subb_u32 s41, s47, 0
	v_cmp_gt_i64_e32 vcc, s[40:41], v[10:11]
	s_and_saveexec_b64 s[42:43], vcc
	s_cbranch_execz .LBB20_13
; %bb.10:                               ;   in Loop: Header=BB20_9 Depth=1
	v_lshlrev_b64 v[8:9], 3, v[10:11]
	v_lshl_add_u64 v[12:13], s[14:15], 0, v[8:9]
	v_lshl_add_u64 v[14:15], s[16:17], 0, v[8:9]
	v_mov_b64_e32 v[8:9], 0
	s_mov_b64 s[44:45], 0
.LBB20_11:                              ;   Parent Loop BB20_9 Depth=1
                                        ; =>  This Inner Loop Header: Depth=2
	global_load_dwordx2 v[18:19], v[12:13], off
	global_load_dwordx2 v[20:21], v[14:15], off
	v_lshl_add_u64 v[10:11], v[10:11], 0, s[30:31]
	v_lshl_add_u64 v[12:13], v[12:13], 0, s[34:35]
	;; [unrolled: 1-line block ×3, first 2 shown]
	s_waitcnt vmcnt(1)
	v_subrev_co_u32_e32 v18, vcc, s28, v18
	s_nop 1
	v_subbrev_co_u32_e32 v19, vcc, 0, v19, vcc
	v_lshl_add_u64 v[18:19], v[18:19], 3, s[18:19]
	global_load_dwordx2 v[18:19], v[18:19], off
	v_cmp_le_i64_e32 vcc, s[40:41], v[10:11]
	s_or_b64 s[44:45], vcc, s[44:45]
	s_waitcnt vmcnt(0)
	v_fmac_f64_e32 v[8:9], v[20:21], v[18:19]
	s_andn2_b64 exec, exec, s[44:45]
	s_cbranch_execnz .LBB20_11
; %bb.12:                               ;   in Loop: Header=BB20_9 Depth=1
	s_or_b64 exec, exec, s[44:45]
.LBB20_13:                              ;   in Loop: Header=BB20_9 Depth=1
	s_or_b64 exec, exec, s[42:43]
	ds_write_b64 v16, v[8:9]
	s_waitcnt lgkmcnt(0)
	s_barrier
	s_and_saveexec_b64 s[40:41], s[2:3]
	s_cbranch_execz .LBB20_15
; %bb.14:                               ;   in Loop: Header=BB20_9 Depth=1
	ds_read2st64_b64 v[8:11], v16 offset1:4
	ds_read2st64_b64 v[12:15], v16 offset0:8 offset1:12
	s_waitcnt lgkmcnt(0)
	v_add_f64 v[10:11], v[10:11], v[12:13]
	v_add_f64 v[10:11], v[10:11], v[14:15]
	;; [unrolled: 1-line block ×3, first 2 shown]
	ds_write_b64 v16, v[8:9]
.LBB20_15:                              ;   in Loop: Header=BB20_9 Depth=1
	s_or_b64 exec, exec, s[40:41]
	s_waitcnt lgkmcnt(0)
	s_barrier
	s_and_saveexec_b64 s[40:41], s[4:5]
	s_cbranch_execz .LBB20_17
; %bb.16:                               ;   in Loop: Header=BB20_9 Depth=1
	ds_read2st64_b64 v[8:11], v16 offset1:1
	ds_read2st64_b64 v[12:15], v16 offset0:2 offset1:3
	s_waitcnt lgkmcnt(0)
	v_add_f64 v[10:11], v[10:11], v[12:13]
	v_add_f64 v[10:11], v[10:11], v[14:15]
	;; [unrolled: 1-line block ×3, first 2 shown]
	ds_write_b64 v16, v[8:9]
.LBB20_17:                              ;   in Loop: Header=BB20_9 Depth=1
	s_or_b64 exec, exec, s[40:41]
	s_waitcnt lgkmcnt(0)
	s_barrier
	s_and_saveexec_b64 s[40:41], s[6:7]
	s_cbranch_execz .LBB20_19
; %bb.18:                               ;   in Loop: Header=BB20_9 Depth=1
	ds_read2_b64 v[8:11], v16 offset1:16
	ds_read2_b64 v[12:15], v16 offset0:32 offset1:48
	s_waitcnt lgkmcnt(0)
	v_add_f64 v[10:11], v[10:11], v[12:13]
	v_add_f64 v[10:11], v[10:11], v[14:15]
	;; [unrolled: 1-line block ×3, first 2 shown]
	ds_write_b64 v16, v[8:9]
.LBB20_19:                              ;   in Loop: Header=BB20_9 Depth=1
	s_or_b64 exec, exec, s[40:41]
	s_waitcnt lgkmcnt(0)
	s_barrier
	s_and_saveexec_b64 s[40:41], s[8:9]
	s_cbranch_execz .LBB20_21
; %bb.20:                               ;   in Loop: Header=BB20_9 Depth=1
	ds_read2_b64 v[8:11], v16 offset1:4
	ds_read2_b64 v[12:15], v16 offset0:8 offset1:12
	s_waitcnt lgkmcnt(0)
	v_add_f64 v[10:11], v[10:11], v[12:13]
	v_add_f64 v[10:11], v[10:11], v[14:15]
	;; [unrolled: 1-line block ×3, first 2 shown]
	ds_write_b64 v16, v[8:9]
.LBB20_21:                              ;   in Loop: Header=BB20_9 Depth=1
	s_or_b64 exec, exec, s[40:41]
	s_waitcnt lgkmcnt(0)
	s_barrier
	s_and_saveexec_b64 s[40:41], s[10:11]
	s_cbranch_execz .LBB20_23
; %bb.22:                               ;   in Loop: Header=BB20_9 Depth=1
	ds_read2_b64 v[8:11], v1 offset0:1 offset1:2
	ds_read_b64 v[12:13], v1 offset:24
	ds_read_b64 v[14:15], v16
	s_waitcnt lgkmcnt(2)
	v_add_f64 v[8:9], v[8:9], v[10:11]
	s_waitcnt lgkmcnt(1)
	v_add_f64 v[8:9], v[8:9], v[12:13]
	s_waitcnt lgkmcnt(0)
	v_add_f64 v[8:9], v[14:15], v[8:9]
	ds_write_b64 v16, v[8:9]
.LBB20_23:                              ;   in Loop: Header=BB20_9 Depth=1
	s_or_b64 exec, exec, s[40:41]
	s_waitcnt lgkmcnt(0)
	s_barrier
	s_and_saveexec_b64 s[40:41], s[10:11]
	s_cbranch_execz .LBB20_8
; %bb.24:                               ;   in Loop: Header=BB20_9 Depth=1
	ds_read_b64 v[8:9], v1
	s_mov_b64 s[42:43], exec
	s_waitcnt lgkmcnt(0)
	v_mul_f64 v[10:11], v[6:7], v[8:9]
	v_mov_b32_e32 v8, 0
	v_bfrev_b32_e32 v9, 1
.LBB20_25:                              ;   Parent Loop BB20_9 Depth=1
                                        ; =>  This Inner Loop Header: Depth=2
	s_ff1_i32_b64 s29, s[42:43]
	s_lshl_b64 s[46:47], 1, s29
	v_readlane_b32 s45, v11, s29
	v_readlane_b32 s44, v10, s29
	s_andn2_b64 s[42:43], s[42:43], s[46:47]
	s_cmp_lg_u64 s[42:43], 0
	v_add_f64 v[8:9], v[8:9], s[44:45]
	s_cbranch_scc1 .LBB20_25
; %bb.26:                               ;   in Loop: Header=BB20_9 Depth=1
	v_mbcnt_lo_u32_b32 v10, exec_lo, 0
	v_mbcnt_hi_u32_b32 v10, exec_hi, v10
	v_cmp_eq_u32_e32 vcc, 0, v10
	s_and_saveexec_b64 s[42:43], vcc
	s_xor_b64 s[42:43], exec, s[42:43]
	s_cbranch_execz .LBB20_8
; %bb.27:                               ;   in Loop: Header=BB20_9 Depth=1
	s_add_u32 s38, s24, s38
	s_addc_u32 s39, s25, s39
	global_atomic_add_f64 v1, v[8:9], s[38:39]
	s_branch .LBB20_8
.LBB20_28:
	s_lshl_b64 s[2:3], s[20:21], 3
	s_add_u32 s2, s12, s2
	s_addc_u32 s3, s13, s3
	s_lshl_b64 s[4:5], s[22:23], 3
	s_add_u32 s4, s12, s4
	s_addc_u32 s5, s13, s5
	s_load_dwordx2 s[6:7], s[4:5], 0x0
	s_load_dwordx2 s[8:9], s[2:3], 0x0
	s_waitcnt lgkmcnt(0)
	s_sub_u32 s6, s6, s28
	s_subb_u32 s7, s7, 0
	v_lshl_add_u64 v[2:3], s[8:9], 0, v[2:3]
	v_cmp_gt_i64_e32 vcc, s[6:7], v[2:3]
	s_and_saveexec_b64 s[8:9], vcc
	s_cbranch_execz .LBB20_37
; %bb.29:
	s_add_u32 s10, s22, -1
	s_addc_u32 s11, s23, -1
	s_add_u32 s2, s22, -2
	s_addc_u32 s3, s23, -1
	v_mov_b64_e32 v[4:5], s[10:11]
	s_cmp_lg_u64 s[20:21], s[2:3]
	v_cmp_lt_i64_e32 vcc, s[20:21], v[4:5]
	s_cselect_b64 s[2:3], -1, 0
	s_and_b64 s[2:3], vcc, s[2:3]
	v_cndmask_b32_e64 v1, 0, 1, s[2:3]
	s_mov_b64 s[30:31], 0
	v_cmp_ne_u32_e64 s[2:3], 1, v1
	v_mov_b32_e32 v5, 0
	s_mov_b64 s[34:35], 0x100
	s_branch .LBB20_31
.LBB20_30:                              ;   in Loop: Header=BB20_31 Depth=1
	s_or_b64 exec, exec, s[4:5]
	v_lshl_add_u64 v[2:3], v[2:3], 0, s[34:35]
	v_cmp_le_i64_e32 vcc, s[6:7], v[2:3]
	s_or_b64 s[30:31], vcc, s[30:31]
	s_andn2_b64 exec, exec, s[30:31]
	s_cbranch_execz .LBB20_37
.LBB20_31:                              ; =>This Loop Header: Depth=1
                                        ;     Child Loop BB20_33 Depth 2
	s_and_b64 vcc, exec, s[2:3]
	v_mov_b64_e32 v[8:9], s[20:21]
	v_mov_b64_e32 v[10:11], s[10:11]
	s_cbranch_vccnz .LBB20_35
; %bb.32:                               ;   in Loop: Header=BB20_31 Depth=1
	s_mov_b64 s[36:37], 0
	v_mov_b64_e32 v[8:9], s[20:21]
	v_mov_b64_e32 v[10:11], s[10:11]
.LBB20_33:                              ;   Parent Loop BB20_31 Depth=1
                                        ; =>  This Inner Loop Header: Depth=2
	v_lshl_add_u64 v[12:13], v[10:11], 0, v[8:9]
	v_lshrrev_b32_e32 v4, 31, v13
	v_lshl_add_u64 v[12:13], v[12:13], 0, v[4:5]
	v_ashrrev_i64 v[12:13], 1, v[12:13]
	v_lshl_add_u64 v[14:15], v[12:13], 3, s[12:13]
	global_load_dwordx2 v[14:15], v[14:15], off
	s_waitcnt vmcnt(0)
	v_subrev_co_u32_e32 v14, vcc, s28, v14
	s_nop 1
	v_subbrev_co_u32_e32 v15, vcc, 0, v15, vcc
	v_cmp_lt_i64_e32 vcc, v[2:3], v[14:15]
	s_nop 1
	v_cndmask_b32_e32 v11, v11, v13, vcc
	v_cndmask_b32_e32 v10, v10, v12, vcc
	;; [unrolled: 1-line block ×4, first 2 shown]
	v_lshl_add_u64 v[12:13], v[10:11], 0, -1
	v_cmp_ge_i64_e32 vcc, v[8:9], v[10:11]
	v_cmp_eq_u64_e64 s[4:5], v[8:9], v[12:13]
	s_or_b64 s[4:5], vcc, s[4:5]
	s_and_b64 s[4:5], exec, s[4:5]
	s_or_b64 s[36:37], s[4:5], s[36:37]
	s_andn2_b64 exec, exec, s[36:37]
	s_cbranch_execnz .LBB20_33
; %bb.34:                               ;   in Loop: Header=BB20_31 Depth=1
	s_or_b64 exec, exec, s[36:37]
.LBB20_35:                              ;   in Loop: Header=BB20_31 Depth=1
	v_lshl_add_u64 v[12:13], v[10:11], 3, s[12:13]
	global_load_dwordx2 v[12:13], v[12:13], off
	v_lshl_add_u64 v[14:15], v[2:3], 3, s[14:15]
	global_load_dwordx2 v[14:15], v[14:15], off
	s_waitcnt vmcnt(1)
	v_subrev_co_u32_e32 v12, vcc, s28, v12
	s_nop 1
	v_subbrev_co_u32_e32 v13, vcc, 0, v13, vcc
	v_cmp_lt_i64_e32 vcc, v[2:3], v[12:13]
	s_nop 1
	v_cndmask_b32_e32 v11, v11, v9, vcc
	v_cndmask_b32_e32 v10, v10, v8, vcc
	s_waitcnt vmcnt(0)
	v_subrev_co_u32_e32 v8, vcc, s28, v14
	s_nop 1
	v_subbrev_co_u32_e32 v9, vcc, 0, v15, vcc
	v_cmp_ne_u64_e32 vcc, v[8:9], v[10:11]
	s_and_saveexec_b64 s[4:5], vcc
	s_cbranch_execz .LBB20_30
; %bb.36:                               ;   in Loop: Header=BB20_31 Depth=1
	v_lshl_add_u64 v[12:13], v[2:3], 3, s[16:17]
	global_load_dwordx2 v[12:13], v[12:13], off
	v_lshl_add_u64 v[10:11], v[10:11], 3, s[18:19]
	global_load_dwordx2 v[10:11], v[10:11], off
	v_lshl_add_u64 v[8:9], v[8:9], 3, s[24:25]
	s_waitcnt vmcnt(1)
	v_mul_f64 v[12:13], v[6:7], v[12:13]
	s_waitcnt vmcnt(0)
	v_mul_f64 v[10:11], v[12:13], v[10:11]
	global_atomic_add_f64 v[8:9], v[10:11], off
	s_branch .LBB20_30
.LBB20_37:
	s_or_b64 exec, exec, s[8:9]
	s_mov_b64 s[2:3], 0
.LBB20_38:
	s_and_b64 vcc, exec, s[2:3]
	s_cbranch_vccz .LBB20_139
; %bb.39:
	s_load_dword s2, s[0:1], 0x6c
	s_mov_b32 s31, 0
	v_mov_b64_e32 v[2:3], s[26:27]
	s_mov_b64 s[34:35], 0
	s_waitcnt lgkmcnt(0)
	s_and_b32 s30, s2, 0xffff
	v_cmp_lt_u64_e32 vcc, s[30:31], v[2:3]
	s_cbranch_vccnz .LBB20_41
; %bb.40:
	v_cvt_f32_u32_e32 v1, s26
	s_sub_i32 s2, 0, s26
	v_rcp_iflag_f32_e32 v1, v1
	s_nop 0
	v_mul_f32_e32 v1, 0x4f7ffffe, v1
	v_cvt_u32_f32_e32 v1, v1
	s_nop 0
	v_readfirstlane_b32 s3, v1
	s_mul_i32 s2, s2, s3
	s_mul_hi_u32 s2, s3, s2
	s_add_i32 s3, s3, s2
	s_mul_hi_u32 s2, s30, s3
	s_mul_i32 s4, s2, s26
	s_sub_i32 s4, s30, s4
	s_add_i32 s3, s2, 1
	s_sub_i32 s5, s4, s26
	s_cmp_ge_u32 s4, s26
	s_cselect_b32 s2, s3, s2
	s_cselect_b32 s4, s5, s4
	s_add_i32 s3, s2, 1
	s_cmp_ge_u32 s4, s26
	s_cselect_b32 s34, s3, s2
.LBB20_41:
	s_load_dwordx4 s[4:7], s[0:1], 0x8
	s_lshl_b64 s[0:1], s[20:21], 3
	s_add_u32 s10, s12, s0
	s_addc_u32 s11, s13, s1
	s_load_dwordx2 s[8:9], s[10:11], 0x0
	v_subrev_co_u32_e32 v2, vcc, s28, v0
	v_mov_b32_e32 v1, 0
	s_nop 0
	v_subb_co_u32_e64 v3, s[0:1], 0, 0, vcc
	s_waitcnt lgkmcnt(0)
	v_lshl_add_u64 v[4:5], s[8:9], 0, v[2:3]
	s_mov_b64 s[0:1], 0x300
	v_lshl_add_u64 v[2:3], v[4:5], 0, s[0:1]
	v_cmp_le_i64_e64 s[0:1], s[4:5], v[2:3]
	s_and_saveexec_b64 s[2:3], s[0:1]
	s_xor_b64 s[2:3], exec, s[2:3]
	s_cbranch_execnz .LBB20_44
; %bb.42:
	s_andn2_saveexec_b64 s[2:3], s[2:3]
	s_cbranch_execnz .LBB20_48
.LBB20_43:
	s_or_b64 exec, exec, s[2:3]
	v_cmp_gt_i64_e32 vcc, s[6:7], v[0:1]
	s_and_saveexec_b64 s[2:3], vcc
	s_cbranch_execnz .LBB20_49
	s_branch .LBB20_51
.LBB20_44:
	s_lshl_b64 s[4:5], s[22:23], 3
	s_add_u32 s4, s12, s4
	s_addc_u32 s5, s13, s5
	s_load_dwordx2 s[4:5], s[4:5], 0x0
	s_waitcnt lgkmcnt(0)
	s_sub_u32 s4, s4, s8
	s_subb_u32 s5, s5, s9
	v_cmp_gt_i64_e32 vcc, s[4:5], v[0:1]
	s_and_saveexec_b64 s[36:37], vcc
	s_cbranch_execz .LBB20_47
; %bb.45:
	v_lshl_add_u64 v[8:9], v[4:5], 3, s[16:17]
	s_mov_b64 s[38:39], 0
	s_mov_b64 s[40:41], 0x800
	;; [unrolled: 1-line block ×3, first 2 shown]
	v_mov_b32_e32 v12, v16
	v_mov_b64_e32 v[10:11], v[0:1]
.LBB20_46:                              ; =>This Inner Loop Header: Depth=1
	global_load_dwordx2 v[14:15], v[8:9], off
	v_lshl_add_u64 v[10:11], v[10:11], 0, s[42:43]
	v_cmp_le_i64_e32 vcc, s[4:5], v[10:11]
	v_lshl_add_u64 v[8:9], v[8:9], 0, s[40:41]
	s_or_b64 s[38:39], vcc, s[38:39]
	s_waitcnt vmcnt(0)
	v_mul_f64 v[14:15], v[6:7], v[14:15]
	ds_write_b64 v12, v[14:15]
	v_add_u32_e32 v12, 0x800, v12
	s_andn2_b64 exec, exec, s[38:39]
	s_cbranch_execnz .LBB20_46
.LBB20_47:
	s_or_b64 exec, exec, s[36:37]
                                        ; implicit-def: $vgpr6_vgpr7
	s_andn2_saveexec_b64 s[2:3], s[2:3]
	s_cbranch_execz .LBB20_43
.LBB20_48:
	v_lshl_add_u64 v[8:9], v[4:5], 3, s[16:17]
	global_load_dwordx2 v[10:11], v[8:9], off
	global_load_dwordx2 v[12:13], v[8:9], off offset:2048
	v_add_co_u32_e32 v8, vcc, 0x1000, v8
	s_nop 1
	v_addc_co_u32_e32 v9, vcc, 0, v9, vcc
	global_load_dwordx2 v[14:15], v[8:9], off
	global_load_dwordx2 v[18:19], v[8:9], off offset:2048
	s_waitcnt vmcnt(3)
	v_mul_f64 v[8:9], v[6:7], v[10:11]
	s_waitcnt vmcnt(2)
	v_mul_f64 v[10:11], v[6:7], v[12:13]
	ds_write2st64_b64 v16, v[8:9], v[10:11] offset1:4
	s_waitcnt vmcnt(1)
	v_mul_f64 v[8:9], v[6:7], v[14:15]
	s_waitcnt vmcnt(0)
	v_mul_f64 v[6:7], v[6:7], v[18:19]
	ds_write2st64_b64 v16, v[8:9], v[6:7] offset0:8 offset1:12
	s_or_b64 exec, exec, s[2:3]
	v_cmp_gt_i64_e32 vcc, s[6:7], v[0:1]
	s_and_saveexec_b64 s[2:3], vcc
	s_cbranch_execz .LBB20_51
.LBB20_49:
	v_mov_b32_e32 v6, 0x2000
	v_mov_b32_e32 v10, 0
	v_lshl_add_u32 v8, v0, 3, v6
	s_mov_b64 s[4:5], 0
	v_mov_b32_e32 v11, v10
	s_mov_b64 s[16:17], 0x100
	v_mov_b64_e32 v[6:7], v[0:1]
.LBB20_50:                              ; =>This Inner Loop Header: Depth=1
	v_lshl_add_u64 v[6:7], v[6:7], 0, s[16:17]
	v_cmp_le_i64_e32 vcc, s[6:7], v[6:7]
	ds_write_b64 v8, v[10:11]
	s_or_b64 s[4:5], vcc, s[4:5]
	v_add_u32_e32 v8, 0x800, v8
	s_andn2_b64 exec, exec, s[4:5]
	s_cbranch_execnz .LBB20_50
.LBB20_51:
	s_or_b64 exec, exec, s[2:3]
	s_sub_u32 s4, s22, s6
	v_mov_b64_e32 v[6:7], s[6:7]
	s_subb_u32 s5, s23, s7
	v_cmp_ge_i64_e32 vcc, s[22:23], v[6:7]
	s_and_b64 s[2:3], vcc, exec
	s_cselect_b32 s5, s5, 0
	s_cselect_b32 s4, s4, 0
	s_waitcnt lgkmcnt(0)
	s_barrier
	s_and_saveexec_b64 s[2:3], s[0:1]
	s_xor_b64 s[16:17], exec, s[2:3]
	s_cbranch_execz .LBB20_68
; %bb.52:
	s_lshl_b64 s[0:1], s[22:23], 3
	s_add_u32 s0, s12, s0
	s_addc_u32 s1, s13, s1
	s_load_dwordx2 s[0:1], s[0:1], 0x0
	s_waitcnt lgkmcnt(0)
	s_sub_u32 s36, s0, s8
	s_subb_u32 s37, s1, s9
	v_cmp_gt_i64_e32 vcc, s[36:37], v[0:1]
	s_and_saveexec_b64 s[38:39], vcc
	s_cbranch_execz .LBB20_67
; %bb.53:
	s_add_u32 s40, s22, -1
	s_addc_u32 s41, s23, -1
	s_add_u32 s2, s22, -2
	s_addc_u32 s3, s23, -1
	s_cmp_lg_u64 s[20:21], s[2:3]
	s_cselect_b64 s[2:3], -1, 0
	s_sub_u32 s42, s0, s28
	v_cndmask_b32_e64 v2, 0, 1, s[2:3]
	s_subb_u32 s43, s1, 0
	s_mov_b64 s[44:45], 0
	v_cmp_ne_u32_e64 s[0:1], 1, v2
	v_mov_b32_e32 v3, 0
	v_mov_b32_e32 v17, 0x2000
	s_mov_b64 s[46:47], 0
	s_branch .LBB20_56
.LBB20_54:                              ;   in Loop: Header=BB20_56 Depth=1
	s_or_b64 exec, exec, s[2:3]
.LBB20_55:                              ;   in Loop: Header=BB20_56 Depth=1
	s_or_b64 exec, exec, s[48:49]
	v_lshl_add_u64 v[8:9], v[8:9], 3, s[18:19]
	global_load_dwordx2 v[8:9], v[8:9], off
	s_add_u32 s46, s46, 0x100
	s_addc_u32 s47, s47, 0
	v_lshlrev_b32_e32 v2, 3, v6
	v_lshl_add_u64 v[6:7], s[46:47], 0, v[0:1]
	v_cmp_le_i64_e32 vcc, s[36:37], v[6:7]
	s_or_b64 s[44:45], vcc, s[44:45]
	s_waitcnt vmcnt(0) lgkmcnt(0)
	v_mul_f64 v[6:7], v[8:9], v[10:11]
	ds_write_b64 v2, v[6:7]
	s_andn2_b64 exec, exec, s[44:45]
	s_cbranch_execz .LBB20_67
.LBB20_56:                              ; =>This Loop Header: Depth=1
                                        ;     Child Loop BB20_58 Depth 2
	v_lshl_add_u64 v[10:11], s[46:47], 0, v[4:5]
	s_and_b64 vcc, exec, s[0:1]
	v_mov_b64_e32 v[12:13], s[20:21]
	v_mov_b64_e32 v[14:15], s[40:41]
	s_cbranch_vccnz .LBB20_60
; %bb.57:                               ;   in Loop: Header=BB20_56 Depth=1
	s_mov_b64 s[48:49], 0
	v_mov_b64_e32 v[12:13], s[20:21]
	v_mov_b64_e32 v[14:15], s[40:41]
.LBB20_58:                              ;   Parent Loop BB20_56 Depth=1
                                        ; =>  This Inner Loop Header: Depth=2
	v_lshl_add_u64 v[6:7], v[14:15], 0, v[12:13]
	v_lshrrev_b32_e32 v2, 31, v7
	v_lshl_add_u64 v[6:7], v[6:7], 0, v[2:3]
	v_ashrrev_i64 v[6:7], 1, v[6:7]
	v_lshl_add_u64 v[8:9], v[6:7], 3, s[12:13]
	global_load_dwordx2 v[8:9], v[8:9], off
	s_waitcnt vmcnt(0)
	v_subrev_co_u32_e32 v8, vcc, s28, v8
	s_nop 1
	v_subbrev_co_u32_e32 v9, vcc, 0, v9, vcc
	v_cmp_lt_i64_e32 vcc, v[10:11], v[8:9]
	s_nop 1
	v_cndmask_b32_e32 v15, v15, v7, vcc
	v_cndmask_b32_e32 v14, v14, v6, vcc
	;; [unrolled: 1-line block ×4, first 2 shown]
	v_lshl_add_u64 v[6:7], v[14:15], 0, -1
	v_cmp_ge_i64_e32 vcc, v[12:13], v[14:15]
	v_cmp_eq_u64_e64 s[2:3], v[12:13], v[6:7]
	s_or_b64 s[2:3], vcc, s[2:3]
	s_and_b64 s[2:3], exec, s[2:3]
	s_or_b64 s[48:49], s[2:3], s[48:49]
	s_andn2_b64 exec, exec, s[48:49]
	s_cbranch_execnz .LBB20_58
; %bb.59:                               ;   in Loop: Header=BB20_56 Depth=1
	s_or_b64 exec, exec, s[48:49]
.LBB20_60:                              ;   in Loop: Header=BB20_56 Depth=1
	v_lshl_add_u64 v[6:7], v[14:15], 3, s[12:13]
	global_load_dwordx2 v[8:9], v[6:7], off
	v_lshl_add_u64 v[6:7], v[10:11], 3, s[14:15]
	global_load_dwordx2 v[18:19], v[6:7], off
	v_lshl_add_u64 v[6:7], s[46:47], 0, v[0:1]
	v_cmp_le_i64_e32 vcc, s[42:43], v[10:11]
	v_lshlrev_b32_e32 v2, 3, v6
	s_waitcnt vmcnt(1)
	v_subrev_co_u32_e64 v20, s[2:3], s28, v8
	s_nop 1
	v_subbrev_co_u32_e64 v21, s[2:3], 0, v9, s[2:3]
	s_waitcnt vmcnt(0)
	v_subrev_co_u32_e64 v8, s[2:3], s28, v18
	s_nop 1
	v_subbrev_co_u32_e64 v9, s[2:3], 0, v19, s[2:3]
	v_cmp_lt_i64_e64 s[2:3], v[10:11], v[20:21]
                                        ; implicit-def: $vgpr10_vgpr11
	s_nop 1
	v_cndmask_b32_e64 v13, v15, v13, s[2:3]
	v_cndmask_b32_e64 v12, v14, v12, s[2:3]
	v_cmp_eq_u64_e64 s[2:3], v[8:9], v[12:13]
	s_or_b64 s[2:3], s[2:3], vcc
	s_and_saveexec_b64 s[48:49], s[2:3]
	s_xor_b64 s[2:3], exec, s[48:49]
; %bb.61:                               ;   in Loop: Header=BB20_56 Depth=1
	ds_read_b64 v[10:11], v2
                                        ; implicit-def: $vgpr2
                                        ; implicit-def: $vgpr12_vgpr13
; %bb.62:                               ;   in Loop: Header=BB20_56 Depth=1
	s_andn2_saveexec_b64 s[48:49], s[2:3]
	s_cbranch_execz .LBB20_55
; %bb.63:                               ;   in Loop: Header=BB20_56 Depth=1
	v_cmp_gt_i64_e32 vcc, s[4:5], v[8:9]
	v_cmp_le_i64_e64 s[2:3], s[22:23], v[8:9]
	s_or_b64 s[2:3], vcc, s[2:3]
	v_lshl_add_u64 v[12:13], v[12:13], 3, s[18:19]
                                        ; implicit-def: $vgpr10_vgpr11
	s_and_saveexec_b64 s[50:51], s[2:3]
	s_xor_b64 s[2:3], exec, s[50:51]
	s_cbranch_execz .LBB20_65
; %bb.64:                               ;   in Loop: Header=BB20_56 Depth=1
	global_load_dwordx2 v[12:13], v[12:13], off
	s_waitcnt lgkmcnt(0)
	ds_read_b64 v[10:11], v2
	v_lshl_add_u64 v[14:15], v[8:9], 3, s[24:25]
                                        ; implicit-def: $vgpr2
	s_waitcnt vmcnt(0) lgkmcnt(0)
	v_mul_f64 v[12:13], v[10:11], v[12:13]
	global_atomic_add_f64 v[14:15], v[12:13], off
                                        ; implicit-def: $vgpr12_vgpr13
.LBB20_65:                              ;   in Loop: Header=BB20_56 Depth=1
	s_andn2_saveexec_b64 s[2:3], s[2:3]
	s_cbranch_execz .LBB20_54
; %bb.66:                               ;   in Loop: Header=BB20_56 Depth=1
	global_load_dwordx2 v[12:13], v[12:13], off
	s_waitcnt lgkmcnt(0)
	ds_read_b64 v[10:11], v2
	v_subrev_u32_e32 v2, s4, v8
	v_lshl_add_u32 v2, v2, 3, v17
	s_waitcnt vmcnt(0) lgkmcnt(0)
	v_mul_f64 v[12:13], v[10:11], v[12:13]
	ds_add_f64 v2, v[12:13]
	s_branch .LBB20_54
.LBB20_67:
	s_or_b64 exec, exec, s[38:39]
                                        ; implicit-def: $vgpr2_vgpr3
                                        ; implicit-def: $vgpr4_vgpr5
.LBB20_68:
	s_andn2_saveexec_b64 s[16:17], s[16:17]
	s_cbranch_execz .LBB20_110
; %bb.69:
	s_add_u32 s36, s22, -1
	s_addc_u32 s37, s23, -1
	s_add_u32 s0, s22, -2
	s_addc_u32 s1, s23, -1
	s_cmp_lg_u64 s[20:21], s[0:1]
	s_cselect_b64 s[2:3], -1, 0
	s_cmp_eq_u64 s[20:21], s[0:1]
	v_mov_b64_e32 v[8:9], s[20:21]
	v_mov_b64_e32 v[10:11], s[36:37]
	s_cbranch_scc1 .LBB20_73
; %bb.70:
	s_mov_b64 s[38:39], 0
	v_mov_b64_e32 v[8:9], s[20:21]
	v_mov_b64_e32 v[10:11], s[36:37]
	v_mov_b32_e32 v7, 0
.LBB20_71:                              ; =>This Inner Loop Header: Depth=1
	v_lshl_add_u64 v[12:13], v[10:11], 0, v[8:9]
	v_lshrrev_b32_e32 v6, 31, v13
	v_lshl_add_u64 v[12:13], v[12:13], 0, v[6:7]
	v_ashrrev_i64 v[12:13], 1, v[12:13]
	v_lshl_add_u64 v[14:15], v[12:13], 3, s[12:13]
	global_load_dwordx2 v[14:15], v[14:15], off
	s_waitcnt vmcnt(0)
	v_subrev_co_u32_e32 v14, vcc, s28, v14
	s_nop 1
	v_subbrev_co_u32_e32 v15, vcc, 0, v15, vcc
	v_cmp_lt_i64_e32 vcc, v[4:5], v[14:15]
	s_nop 1
	v_cndmask_b32_e32 v11, v11, v13, vcc
	v_cndmask_b32_e32 v10, v10, v12, vcc
	;; [unrolled: 1-line block ×4, first 2 shown]
	v_lshl_add_u64 v[12:13], v[10:11], 0, -1
	v_cmp_ge_i64_e32 vcc, v[8:9], v[10:11]
	v_cmp_eq_u64_e64 s[0:1], v[8:9], v[12:13]
	s_or_b64 s[0:1], vcc, s[0:1]
	s_and_b64 s[0:1], exec, s[0:1]
	s_or_b64 s[38:39], s[0:1], s[38:39]
	s_andn2_b64 exec, exec, s[38:39]
	s_cbranch_execnz .LBB20_71
; %bb.72:
	s_or_b64 exec, exec, s[38:39]
.LBB20_73:
	v_lshl_add_u64 v[6:7], v[10:11], 3, s[12:13]
	global_load_dwordx2 v[12:13], v[6:7], off
	v_lshl_add_u64 v[6:7], v[4:5], 3, s[14:15]
	global_load_dwordx2 v[14:15], v[6:7], off
	s_lshl_b64 s[0:1], s[22:23], 3
	s_add_u32 s14, s12, s0
	s_addc_u32 s15, s13, s1
	s_waitcnt vmcnt(1)
	v_subrev_co_u32_e32 v12, vcc, s28, v12
	s_nop 1
	v_subbrev_co_u32_e32 v13, vcc, 0, v13, vcc
	v_cmp_lt_i64_e32 vcc, v[4:5], v[12:13]
	s_nop 1
	v_cndmask_b32_e32 v11, v11, v9, vcc
	v_cndmask_b32_e32 v10, v10, v8, vcc
	s_waitcnt vmcnt(0)
	v_subrev_co_u32_e32 v8, vcc, s28, v14
	s_nop 1
	v_subbrev_co_u32_e32 v9, vcc, 0, v15, vcc
	v_cmp_ne_u64_e32 vcc, v[8:9], v[10:11]
	s_and_saveexec_b64 s[38:39], vcc
	s_cbranch_execz .LBB20_79
; %bb.74:
	s_load_dwordx2 s[0:1], s[14:15], 0x0
	s_waitcnt lgkmcnt(0)
	s_sub_u32 s0, s0, s28
	s_subb_u32 s1, s1, 0
	v_cmp_gt_i64_e32 vcc, s[0:1], v[4:5]
	s_and_b64 exec, exec, vcc
	s_cbranch_execz .LBB20_79
; %bb.75:
	v_cmp_gt_i64_e32 vcc, s[4:5], v[8:9]
	v_cmp_le_i64_e64 s[0:1], s[22:23], v[8:9]
	s_or_b64 s[0:1], vcc, s[0:1]
	v_lshl_add_u64 v[10:11], v[10:11], 3, s[18:19]
	s_and_saveexec_b64 s[40:41], s[0:1]
	s_xor_b64 s[0:1], exec, s[40:41]
	s_cbranch_execz .LBB20_77
; %bb.76:
	global_load_dwordx2 v[10:11], v[10:11], off
	ds_read_b64 v[12:13], v16
	v_lshl_add_u64 v[14:15], v[8:9], 3, s[24:25]
	s_waitcnt vmcnt(0) lgkmcnt(0)
	v_mul_f64 v[10:11], v[12:13], v[10:11]
	global_atomic_add_f64 v[14:15], v[10:11], off
                                        ; implicit-def: $vgpr10_vgpr11
.LBB20_77:
	s_andn2_saveexec_b64 s[0:1], s[0:1]
	s_cbranch_execz .LBB20_79
; %bb.78:
	global_load_dwordx2 v[10:11], v[10:11], off
	ds_read_b64 v[12:13], v16
	v_subrev_u32_e32 v14, s4, v8
	v_mov_b32_e32 v15, 0x2000
	v_lshl_add_u32 v14, v14, 3, v15
	s_waitcnt vmcnt(0) lgkmcnt(0)
	v_mul_f64 v[10:11], v[12:13], v[10:11]
	ds_add_f64 v14, v[10:11]
.LBB20_79:
	s_or_b64 exec, exec, s[38:39]
	v_lshl_add_u64 v[8:9], v[8:9], 3, s[18:19]
	global_load_dwordx2 v[12:13], v[8:9], off
	ds_read_b64 v[14:15], v16
	s_mov_b64 s[0:1], 0x100
	v_cndmask_b32_e64 v17, 0, 1, s[2:3]
	v_mov_b64_e32 v[10:11], s[20:21]
	v_lshl_add_u64 v[8:9], v[4:5], 0, s[0:1]
	v_cmp_ne_u32_e64 s[0:1], 1, v17
	s_andn2_b64 vcc, exec, s[2:3]
	s_waitcnt vmcnt(0) lgkmcnt(0)
	v_mul_f64 v[12:13], v[12:13], v[14:15]
	ds_write_b64 v16, v[12:13]
	v_mov_b64_e32 v[12:13], s[36:37]
	s_cbranch_vccnz .LBB20_83
; %bb.80:
	s_mov_b64 s[38:39], 0
	v_mov_b64_e32 v[10:11], s[20:21]
	v_mov_b64_e32 v[12:13], s[36:37]
	v_mov_b32_e32 v15, 0
.LBB20_81:                              ; =>This Inner Loop Header: Depth=1
	v_lshl_add_u64 v[18:19], v[12:13], 0, v[10:11]
	v_lshrrev_b32_e32 v14, 31, v19
	v_lshl_add_u64 v[18:19], v[18:19], 0, v[14:15]
	v_ashrrev_i64 v[18:19], 1, v[18:19]
	v_lshl_add_u64 v[20:21], v[18:19], 3, s[12:13]
	global_load_dwordx2 v[20:21], v[20:21], off
	s_waitcnt vmcnt(0)
	v_subrev_co_u32_e32 v20, vcc, s28, v20
	s_nop 1
	v_subbrev_co_u32_e32 v21, vcc, 0, v21, vcc
	v_cmp_lt_i64_e32 vcc, v[8:9], v[20:21]
	s_nop 1
	v_cndmask_b32_e32 v13, v13, v19, vcc
	v_cndmask_b32_e32 v12, v12, v18, vcc
	;; [unrolled: 1-line block ×4, first 2 shown]
	v_lshl_add_u64 v[18:19], v[12:13], 0, -1
	v_cmp_ge_i64_e32 vcc, v[10:11], v[12:13]
	v_cmp_eq_u64_e64 s[2:3], v[10:11], v[18:19]
	s_or_b64 s[2:3], vcc, s[2:3]
	s_and_b64 s[2:3], exec, s[2:3]
	s_or_b64 s[38:39], s[2:3], s[38:39]
	s_andn2_b64 exec, exec, s[38:39]
	s_cbranch_execnz .LBB20_81
; %bb.82:
	s_or_b64 exec, exec, s[38:39]
.LBB20_83:
	v_lshl_add_u64 v[14:15], v[12:13], 3, s[12:13]
	global_load_dwordx2 v[18:19], v[14:15], off
	global_load_dwordx2 v[20:21], v[6:7], off offset:2048
	s_waitcnt vmcnt(1)
	v_subrev_co_u32_e32 v14, vcc, s28, v18
	s_nop 1
	v_subbrev_co_u32_e32 v15, vcc, 0, v19, vcc
	v_cmp_lt_i64_e32 vcc, v[8:9], v[14:15]
	s_nop 1
	v_cndmask_b32_e32 v13, v13, v11, vcc
	v_cndmask_b32_e32 v12, v12, v10, vcc
	s_waitcnt vmcnt(0)
	v_subrev_co_u32_e32 v10, vcc, s28, v20
	s_nop 1
	v_subbrev_co_u32_e32 v11, vcc, 0, v21, vcc
	v_cmp_ne_u64_e32 vcc, v[10:11], v[12:13]
	s_and_saveexec_b64 s[38:39], vcc
	s_cbranch_execz .LBB20_89
; %bb.84:
	s_load_dwordx2 s[2:3], s[14:15], 0x0
	s_waitcnt lgkmcnt(0)
	s_sub_u32 s2, s2, s28
	s_subb_u32 s3, s3, 0
	v_cmp_gt_i64_e32 vcc, s[2:3], v[8:9]
	s_and_b64 exec, exec, vcc
	s_cbranch_execz .LBB20_89
; %bb.85:
	v_cmp_gt_i64_e32 vcc, s[4:5], v[10:11]
	v_cmp_le_i64_e64 s[2:3], s[22:23], v[10:11]
	s_or_b64 s[2:3], vcc, s[2:3]
	v_lshl_add_u64 v[8:9], v[12:13], 3, s[18:19]
	s_and_saveexec_b64 s[40:41], s[2:3]
	s_xor_b64 s[2:3], exec, s[40:41]
	s_cbranch_execz .LBB20_87
; %bb.86:
	global_load_dwordx2 v[8:9], v[8:9], off
	ds_read_b64 v[12:13], v16 offset:2048
	v_lshl_add_u64 v[14:15], v[10:11], 3, s[24:25]
	s_waitcnt vmcnt(0) lgkmcnt(0)
	v_mul_f64 v[8:9], v[12:13], v[8:9]
	global_atomic_add_f64 v[14:15], v[8:9], off
                                        ; implicit-def: $vgpr8_vgpr9
.LBB20_87:
	s_andn2_saveexec_b64 s[2:3], s[2:3]
	s_cbranch_execz .LBB20_89
; %bb.88:
	global_load_dwordx2 v[8:9], v[8:9], off
	ds_read_b64 v[12:13], v16 offset:2048
	v_subrev_u32_e32 v14, s4, v10
	v_mov_b32_e32 v15, 0x2000
	v_lshl_add_u32 v14, v14, 3, v15
	s_waitcnt vmcnt(0) lgkmcnt(0)
	v_mul_f64 v[8:9], v[12:13], v[8:9]
	ds_add_f64 v14, v[8:9]
.LBB20_89:
	s_or_b64 exec, exec, s[38:39]
	v_lshl_add_u64 v[8:9], v[10:11], 3, s[18:19]
	global_load_dwordx2 v[10:11], v[8:9], off
	ds_read_b64 v[12:13], v16 offset:2048
	s_mov_b64 s[2:3], 0x200
	s_and_b64 vcc, exec, s[0:1]
	v_mov_b64_e32 v[8:9], s[20:21]
	v_lshl_add_u64 v[4:5], v[4:5], 0, s[2:3]
	s_waitcnt vmcnt(0) lgkmcnt(0)
	v_mul_f64 v[10:11], v[10:11], v[12:13]
	ds_write_b64 v16, v[10:11] offset:2048
	v_mov_b64_e32 v[10:11], s[36:37]
	s_cbranch_vccnz .LBB20_93
; %bb.90:
	s_mov_b64 s[38:39], 0
	v_mov_b64_e32 v[8:9], s[20:21]
	v_mov_b64_e32 v[10:11], s[36:37]
	v_mov_b32_e32 v13, 0
.LBB20_91:                              ; =>This Inner Loop Header: Depth=1
	v_lshl_add_u64 v[14:15], v[10:11], 0, v[8:9]
	v_lshrrev_b32_e32 v12, 31, v15
	v_lshl_add_u64 v[14:15], v[14:15], 0, v[12:13]
	v_ashrrev_i64 v[14:15], 1, v[14:15]
	v_lshl_add_u64 v[18:19], v[14:15], 3, s[12:13]
	global_load_dwordx2 v[18:19], v[18:19], off
	s_waitcnt vmcnt(0)
	v_subrev_co_u32_e32 v18, vcc, s28, v18
	s_nop 1
	v_subbrev_co_u32_e32 v19, vcc, 0, v19, vcc
	v_cmp_lt_i64_e32 vcc, v[4:5], v[18:19]
	s_nop 1
	v_cndmask_b32_e32 v11, v11, v15, vcc
	v_cndmask_b32_e32 v10, v10, v14, vcc
	;; [unrolled: 1-line block ×4, first 2 shown]
	v_lshl_add_u64 v[14:15], v[10:11], 0, -1
	v_cmp_ge_i64_e32 vcc, v[8:9], v[10:11]
	v_cmp_eq_u64_e64 s[2:3], v[8:9], v[14:15]
	s_or_b64 s[2:3], vcc, s[2:3]
	s_and_b64 s[2:3], exec, s[2:3]
	s_or_b64 s[38:39], s[2:3], s[38:39]
	s_andn2_b64 exec, exec, s[38:39]
	s_cbranch_execnz .LBB20_91
; %bb.92:
	s_or_b64 exec, exec, s[38:39]
.LBB20_93:
	v_lshl_add_u64 v[12:13], v[10:11], 3, s[12:13]
	global_load_dwordx2 v[12:13], v[12:13], off
	v_add_co_u32_e32 v14, vcc, 0x1000, v6
	s_nop 1
	v_addc_co_u32_e32 v15, vcc, 0, v7, vcc
	global_load_dwordx2 v[14:15], v[14:15], off
	s_waitcnt vmcnt(1)
	v_subrev_co_u32_e32 v12, vcc, s28, v12
	s_nop 1
	v_subbrev_co_u32_e32 v13, vcc, 0, v13, vcc
	v_cmp_lt_i64_e32 vcc, v[4:5], v[12:13]
	s_nop 1
	v_cndmask_b32_e32 v11, v11, v9, vcc
	v_cndmask_b32_e32 v10, v10, v8, vcc
	s_waitcnt vmcnt(0)
	v_subrev_co_u32_e32 v8, vcc, s28, v14
	s_nop 1
	v_subbrev_co_u32_e32 v9, vcc, 0, v15, vcc
	v_cmp_ne_u64_e32 vcc, v[8:9], v[10:11]
	s_and_saveexec_b64 s[38:39], vcc
	s_cbranch_execz .LBB20_99
; %bb.94:
	s_load_dwordx2 s[2:3], s[14:15], 0x0
	s_waitcnt lgkmcnt(0)
	s_sub_u32 s2, s2, s28
	s_subb_u32 s3, s3, 0
	v_cmp_gt_i64_e32 vcc, s[2:3], v[4:5]
	s_and_b64 exec, exec, vcc
	s_cbranch_execz .LBB20_99
; %bb.95:
	v_cmp_gt_i64_e32 vcc, s[4:5], v[8:9]
	v_cmp_le_i64_e64 s[2:3], s[22:23], v[8:9]
	s_or_b64 s[2:3], vcc, s[2:3]
	v_lshl_add_u64 v[4:5], v[10:11], 3, s[18:19]
	s_and_saveexec_b64 s[40:41], s[2:3]
	s_xor_b64 s[2:3], exec, s[40:41]
	s_cbranch_execz .LBB20_97
; %bb.96:
	global_load_dwordx2 v[4:5], v[4:5], off
	ds_read_b64 v[10:11], v16 offset:4096
	v_lshl_add_u64 v[12:13], v[8:9], 3, s[24:25]
	s_waitcnt vmcnt(0) lgkmcnt(0)
	v_mul_f64 v[4:5], v[10:11], v[4:5]
	global_atomic_add_f64 v[12:13], v[4:5], off
                                        ; implicit-def: $vgpr4_vgpr5
.LBB20_97:
	s_andn2_saveexec_b64 s[2:3], s[2:3]
	s_cbranch_execz .LBB20_99
; %bb.98:
	global_load_dwordx2 v[4:5], v[4:5], off
	ds_read_b64 v[10:11], v16 offset:4096
	v_subrev_u32_e32 v12, s4, v8
	v_mov_b32_e32 v13, 0x2000
	v_lshl_add_u32 v12, v12, 3, v13
	s_waitcnt vmcnt(0) lgkmcnt(0)
	v_mul_f64 v[4:5], v[10:11], v[4:5]
	ds_add_f64 v12, v[4:5]
.LBB20_99:
	s_or_b64 exec, exec, s[38:39]
	v_lshl_add_u64 v[4:5], v[8:9], 3, s[18:19]
	global_load_dwordx2 v[8:9], v[4:5], off
	ds_read_b64 v[10:11], v16 offset:4096
	s_and_b64 vcc, exec, s[0:1]
	v_mov_b64_e32 v[4:5], s[20:21]
	s_waitcnt vmcnt(0) lgkmcnt(0)
	v_mul_f64 v[8:9], v[8:9], v[10:11]
	ds_write_b64 v16, v[8:9] offset:4096
	v_mov_b64_e32 v[8:9], s[36:37]
	s_cbranch_vccnz .LBB20_103
; %bb.100:
	s_mov_b64 s[2:3], 0
	v_mov_b64_e32 v[4:5], s[20:21]
	v_mov_b64_e32 v[8:9], s[36:37]
	v_mov_b32_e32 v11, 0
.LBB20_101:                             ; =>This Inner Loop Header: Depth=1
	v_lshl_add_u64 v[12:13], v[8:9], 0, v[4:5]
	v_lshrrev_b32_e32 v10, 31, v13
	v_lshl_add_u64 v[12:13], v[12:13], 0, v[10:11]
	v_ashrrev_i64 v[12:13], 1, v[12:13]
	v_lshl_add_u64 v[14:15], v[12:13], 3, s[12:13]
	global_load_dwordx2 v[14:15], v[14:15], off
	s_waitcnt vmcnt(0)
	v_subrev_co_u32_e32 v14, vcc, s28, v14
	s_nop 1
	v_subbrev_co_u32_e32 v15, vcc, 0, v15, vcc
	v_cmp_lt_i64_e32 vcc, v[2:3], v[14:15]
	s_nop 1
	v_cndmask_b32_e32 v9, v9, v13, vcc
	v_cndmask_b32_e32 v8, v8, v12, vcc
	;; [unrolled: 1-line block ×4, first 2 shown]
	v_lshl_add_u64 v[12:13], v[8:9], 0, -1
	v_cmp_ge_i64_e32 vcc, v[4:5], v[8:9]
	v_cmp_eq_u64_e64 s[0:1], v[4:5], v[12:13]
	s_or_b64 s[0:1], vcc, s[0:1]
	s_and_b64 s[0:1], exec, s[0:1]
	s_or_b64 s[2:3], s[0:1], s[2:3]
	s_andn2_b64 exec, exec, s[2:3]
	s_cbranch_execnz .LBB20_101
; %bb.102:
	s_or_b64 exec, exec, s[2:3]
.LBB20_103:
	v_lshl_add_u64 v[10:11], v[8:9], 3, s[12:13]
	global_load_dwordx2 v[10:11], v[10:11], off
	v_add_co_u32_e32 v6, vcc, 0x1000, v6
	s_nop 1
	v_addc_co_u32_e32 v7, vcc, 0, v7, vcc
	global_load_dwordx2 v[12:13], v[6:7], off offset:2048
	s_waitcnt vmcnt(1)
	v_subrev_co_u32_e32 v6, vcc, s28, v10
	s_nop 1
	v_subbrev_co_u32_e32 v7, vcc, 0, v11, vcc
	v_cmp_lt_i64_e32 vcc, v[2:3], v[6:7]
	s_nop 1
	v_cndmask_b32_e32 v7, v9, v5, vcc
	v_cndmask_b32_e32 v6, v8, v4, vcc
	s_waitcnt vmcnt(0)
	v_subrev_co_u32_e32 v4, vcc, s28, v12
	s_nop 1
	v_subbrev_co_u32_e32 v5, vcc, 0, v13, vcc
	v_cmp_ne_u64_e32 vcc, v[4:5], v[6:7]
	s_and_saveexec_b64 s[2:3], vcc
	s_cbranch_execz .LBB20_109
; %bb.104:
	s_load_dwordx2 s[0:1], s[14:15], 0x0
	s_waitcnt lgkmcnt(0)
	s_sub_u32 s0, s0, s28
	s_subb_u32 s1, s1, 0
	v_cmp_gt_i64_e32 vcc, s[0:1], v[2:3]
	s_and_b64 exec, exec, vcc
	s_cbranch_execz .LBB20_109
; %bb.105:
	v_cmp_gt_i64_e32 vcc, s[4:5], v[4:5]
	v_cmp_le_i64_e64 s[0:1], s[22:23], v[4:5]
	s_or_b64 s[0:1], vcc, s[0:1]
	v_lshl_add_u64 v[2:3], v[6:7], 3, s[18:19]
	s_and_saveexec_b64 s[14:15], s[0:1]
	s_xor_b64 s[0:1], exec, s[14:15]
	s_cbranch_execz .LBB20_107
; %bb.106:
	global_load_dwordx2 v[2:3], v[2:3], off
	ds_read_b64 v[6:7], v16 offset:6144
	v_lshl_add_u64 v[8:9], v[4:5], 3, s[24:25]
	s_waitcnt vmcnt(0) lgkmcnt(0)
	v_mul_f64 v[2:3], v[6:7], v[2:3]
	global_atomic_add_f64 v[8:9], v[2:3], off
                                        ; implicit-def: $vgpr2_vgpr3
.LBB20_107:
	s_andn2_saveexec_b64 s[0:1], s[0:1]
	s_cbranch_execz .LBB20_109
; %bb.108:
	global_load_dwordx2 v[2:3], v[2:3], off
	ds_read_b64 v[6:7], v16 offset:6144
	v_subrev_u32_e32 v8, s4, v4
	v_mov_b32_e32 v9, 0x2000
	v_lshl_add_u32 v8, v8, 3, v9
	s_waitcnt vmcnt(0) lgkmcnt(0)
	v_mul_f64 v[2:3], v[6:7], v[2:3]
	ds_add_f64 v8, v[2:3]
.LBB20_109:
	s_or_b64 exec, exec, s[2:3]
	v_lshl_add_u64 v[2:3], v[4:5], 3, s[18:19]
	global_load_dwordx2 v[2:3], v[2:3], off
	ds_read_b64 v[4:5], v16 offset:6144
	s_waitcnt vmcnt(0) lgkmcnt(0)
	v_mul_f64 v[2:3], v[2:3], v[4:5]
	ds_write_b64 v16, v[2:3] offset:6144
.LBB20_110:
	s_or_b64 exec, exec, s[16:17]
	v_mov_b64_e32 v[2:3], s[6:7]
	v_cmp_lt_i64_e32 vcc, s[22:23], v[2:3]
	s_and_b64 s[0:1], vcc, exec
	s_cselect_b32 s16, s22, s6
	s_cselect_b32 s0, s23, s7
	s_sub_u32 s2, s16, s26
	s_subb_u32 s3, s0, s27
	v_cmp_gt_i64_e32 vcc, s[2:3], v[0:1]
	s_waitcnt lgkmcnt(0)
	s_barrier
	s_and_saveexec_b64 s[0:1], vcc
	s_cbranch_execz .LBB20_113
; %bb.111:
	v_mov_b64_e32 v[2:3], s[6:7]
	v_cmp_gt_i64_e32 vcc, s[22:23], v[2:3]
	s_and_b64 s[4:5], vcc, exec
	s_cselect_b32 s5, s23, s7
	s_cselect_b32 s4, s22, s6
	v_lshlrev_b32_e32 v2, 3, v0
	v_mov_b32_e32 v3, 0
	v_lshl_add_u64 v[2:3], s[4:5], 3, v[2:3]
	s_lshl_b64 s[4:5], s[6:7], 3
	v_mov_b32_e32 v4, s5
	v_subrev_co_u32_e32 v2, vcc, s4, v2
	s_mov_b64 s[4:5], 0
	s_nop 0
	v_subb_co_u32_e32 v3, vcc, v3, v4, vcc
	v_mov_b32_e32 v4, 0x2000
	v_lshl_add_u64 v[2:3], s[24:25], 0, v[2:3]
	v_lshl_add_u32 v6, v0, 3, v4
	s_mov_b64 s[6:7], 0x100
	s_mov_b64 s[14:15], 0x800
	v_mov_b64_e32 v[4:5], v[0:1]
.LBB20_112:                             ; =>This Inner Loop Header: Depth=1
	ds_read_b64 v[8:9], v6
	v_lshl_add_u64 v[4:5], v[4:5], 0, s[6:7]
	v_cmp_le_i64_e32 vcc, s[2:3], v[4:5]
	v_add_u32_e32 v6, 0x800, v6
	s_or_b64 s[4:5], vcc, s[4:5]
	s_waitcnt lgkmcnt(0)
	global_atomic_add_f64 v[2:3], v[8:9], off
	v_lshl_add_u64 v[2:3], v[2:3], 0, s[14:15]
	s_andn2_b64 exec, exec, s[4:5]
	s_cbranch_execnz .LBB20_112
.LBB20_113:
	s_or_b64 exec, exec, s[0:1]
	s_add_i32 s0, s34, -1
	s_ashr_i32 s1, s0, 1
	s_or_b32 s0, s1, s0
	s_ashr_i32 s1, s0, 2
	s_or_b32 s0, s1, s0
	;; [unrolled: 2-line block ×5, first 2 shown]
	s_add_i32 s0, s0, 1
	s_ashr_i32 s3, s0, 1
	v_lshl_add_u64 v[6:7], s[20:21], 0, v[0:1]
	s_cmp_gt_i32 s3, 1
	s_mov_b64 s[0:1], -1
	s_barrier
	s_cbranch_scc1 .LBB20_122
; %bb.114:
	v_cmp_gt_i64_e32 vcc, s[22:23], v[6:7]
	s_and_saveexec_b64 s[0:1], vcc
	s_cbranch_execz .LBB20_121
; %bb.115:
	s_sub_i32 s4, s16, s22
	s_lshl_b32 s4, s4, 3
	s_add_i32 s16, s4, 0x2000
	s_lshl_b32 s4, s8, 3
	s_sub_i32 s17, 0, s4
	s_mov_b64 s[4:5], 0
	v_mov_b64_e32 v[8:9], v[6:7]
	s_branch .LBB20_117
.LBB20_116:                             ;   in Loop: Header=BB20_117 Depth=1
	s_or_b64 exec, exec, s[6:7]
	v_lshl_add_u32 v2, v8, 3, s16
	ds_read_b64 v[2:3], v2
	v_lshl_add_u64 v[4:5], v[8:9], 3, s[24:25]
	v_lshl_add_u64 v[8:9], v[8:9], 0, s[30:31]
	v_cmp_le_i64_e32 vcc, s[22:23], v[8:9]
	s_or_b64 s[4:5], vcc, s[4:5]
	s_waitcnt lgkmcnt(0)
	v_add_f64 v[2:3], v[10:11], v[2:3]
	global_atomic_add_f64 v[4:5], v[2:3], off
	s_andn2_b64 exec, exec, s[4:5]
	s_cbranch_execz .LBB20_121
.LBB20_117:                             ; =>This Loop Header: Depth=1
                                        ;     Child Loop BB20_119 Depth 2
	v_lshl_add_u64 v[2:3], v[8:9], 3, s[12:13]
	global_load_dwordx4 v[2:5], v[2:3], off
	v_mov_b64_e32 v[10:11], 0
	s_waitcnt vmcnt(0)
	v_cmp_lt_i64_e32 vcc, v[2:3], v[4:5]
	s_and_saveexec_b64 s[6:7], vcc
	s_cbranch_execz .LBB20_116
; %bb.118:                              ;   in Loop: Header=BB20_117 Depth=1
	v_mov_b32_e32 v10, s9
	v_subrev_co_u32_e32 v4, vcc, s8, v4
	s_mov_b64 s[14:15], 0
	s_nop 0
	v_subb_co_u32_e32 v5, vcc, v5, v10, vcc
	v_subrev_co_u32_e32 v12, vcc, s8, v2
	v_lshl_add_u32 v2, v2, 3, s17
	s_nop 0
	v_subb_co_u32_e32 v13, vcc, v3, v10, vcc
	v_mov_b64_e32 v[10:11], 0
.LBB20_119:                             ;   Parent Loop BB20_117 Depth=1
                                        ; =>  This Inner Loop Header: Depth=2
	ds_read_b64 v[14:15], v2
	v_lshl_add_u64 v[12:13], v[12:13], 0, 1
	v_cmp_ge_i64_e32 vcc, v[12:13], v[4:5]
	v_add_u32_e32 v2, 8, v2
	s_or_b64 s[14:15], vcc, s[14:15]
	s_waitcnt lgkmcnt(0)
	v_add_f64 v[10:11], v[10:11], v[14:15]
	s_andn2_b64 exec, exec, s[14:15]
	s_cbranch_execnz .LBB20_119
; %bb.120:                              ;   in Loop: Header=BB20_117 Depth=1
	s_or_b64 exec, exec, s[14:15]
	s_branch .LBB20_116
.LBB20_121:
	s_or_b64 exec, exec, s[0:1]
	s_mov_b64 s[0:1], 0
.LBB20_122:
	s_andn2_b64 vcc, exec, s[0:1]
	s_cbranch_vccnz .LBB20_139
; %bb.123:
	v_cvt_f32_u32_e32 v2, s3
	s_sub_i32 s12, 0, s3
	v_mov_b32_e32 v5, 0
	v_mov_b32_e32 v12, s9
	v_rcp_iflag_f32_e32 v2, v2
	s_nop 0
	v_mul_f32_e32 v2, 0x4f7ffffe, v2
	v_cvt_u32_f32_e32 v2, v2
	v_mul_lo_u32 v3, s12, v2
	v_mul_hi_u32 v3, v2, v3
	v_add_u32_e32 v2, v2, v3
	v_mul_hi_u32 v2, v0, v2
	v_mul_lo_u32 v3, v2, s3
	v_sub_u32_e32 v3, v0, v3
	v_add_u32_e32 v4, 1, v2
	v_cmp_le_u32_e32 vcc, s3, v3
	s_nop 1
	v_cndmask_b32_e32 v2, v2, v4, vcc
	v_subrev_u32_e32 v4, s3, v3
	v_cndmask_b32_e32 v3, v3, v4, vcc
	v_add_u32_e32 v4, 1, v2
	v_cmp_le_u32_e32 vcc, s3, v3
	s_nop 1
	v_cndmask_b32_e32 v4, v2, v4, vcc
	v_lshl_add_u64 v[2:3], v[4:5], 3, s[10:11]
	global_load_dwordx4 v[8:11], v[2:3], off
	v_mov_b32_e32 v3, s9
	s_waitcnt vmcnt(0)
	v_subrev_co_u32_e32 v2, vcc, s8, v8
	s_nop 1
	v_subb_co_u32_e32 v3, vcc, v9, v3, vcc
	v_subrev_co_u32_e32 v14, vcc, s8, v10
	v_mov_b32_e32 v10, v5
	s_nop 0
	v_subb_co_u32_e32 v15, vcc, v11, v12, vcc
	v_sub_co_u32_e32 v8, vcc, v14, v2
	s_nop 1
	v_subb_co_u32_e32 v9, vcc, v15, v3, vcc
	v_mov_b32_e32 v11, v9
	v_cmp_ne_u64_e32 vcc, 0, v[10:11]
                                        ; implicit-def: $vgpr10_vgpr11
	s_and_saveexec_b64 s[0:1], vcc
	s_xor_b64 s[4:5], exec, s[0:1]
	s_cbranch_execz .LBB20_125
; %bb.124:
	s_add_u32 s0, s3, 0
	s_addc_u32 s1, 0, 0
	s_xor_b64 s[6:7], s[0:1], 0
	v_cvt_f32_u32_e32 v10, s6
	v_cvt_f32_u32_e32 v11, s7
	s_sub_u32 s8, 0, s6
	s_subb_u32 s9, 0, s7
	v_ashrrev_i32_e32 v12, 31, v9
	v_fmamk_f32 v10, v11, 0x4f800000, v10
	v_rcp_f32_e32 v10, v10
	v_mov_b32_e32 v13, v12
	v_lshl_add_u64 v[8:9], v[8:9], 0, v[12:13]
	v_xor_b32_e32 v17, v8, v12
	v_mul_f32_e32 v10, 0x5f7ffffc, v10
	v_mul_f32_e32 v11, 0x2f800000, v10
	v_trunc_f32_e32 v11, v11
	v_fmamk_f32 v10, v11, 0xcf800000, v10
	v_cvt_u32_f32_e32 v11, v11
	v_cvt_u32_f32_e32 v10, v10
	v_xor_b32_e32 v13, v9, v12
	v_readfirstlane_b32 s10, v11
	v_readfirstlane_b32 s0, v10
	s_mul_i32 s1, s8, s10
	s_mul_hi_u32 s13, s8, s0
	s_mul_i32 s11, s9, s0
	s_add_i32 s1, s13, s1
	s_mul_i32 s14, s8, s0
	s_add_i32 s1, s1, s11
	s_mul_i32 s13, s0, s1
	s_mul_hi_u32 s15, s0, s14
	s_mul_hi_u32 s11, s0, s1
	s_add_u32 s13, s15, s13
	s_addc_u32 s11, 0, s11
	s_mul_hi_u32 s16, s10, s14
	s_mul_i32 s14, s10, s14
	s_add_u32 s13, s13, s14
	s_mul_hi_u32 s15, s10, s1
	s_addc_u32 s11, s11, s16
	s_addc_u32 s13, s15, 0
	s_mul_i32 s1, s10, s1
	s_add_u32 s1, s11, s1
	s_addc_u32 s11, 0, s13
	s_add_u32 s13, s0, s1
	s_cselect_b64 s[0:1], -1, 0
	s_cmp_lg_u64 s[0:1], 0
	s_addc_u32 s10, s10, s11
	s_mul_i32 s0, s8, s10
	s_mul_hi_u32 s1, s8, s13
	s_add_i32 s0, s1, s0
	s_mul_i32 s9, s9, s13
	s_add_i32 s0, s0, s9
	s_mul_i32 s8, s8, s13
	s_mul_hi_u32 s9, s10, s8
	s_mul_i32 s11, s10, s8
	s_mul_i32 s15, s13, s0
	s_mul_hi_u32 s8, s13, s8
	s_mul_hi_u32 s14, s13, s0
	s_add_u32 s8, s8, s15
	s_addc_u32 s14, 0, s14
	s_add_u32 s8, s8, s11
	s_mul_hi_u32 s1, s10, s0
	s_addc_u32 s8, s14, s9
	s_addc_u32 s1, s1, 0
	s_mul_i32 s0, s10, s0
	s_add_u32 s0, s8, s0
	s_addc_u32 s8, 0, s1
	s_add_u32 s9, s13, s0
	s_cselect_b64 s[0:1], -1, 0
	s_cmp_lg_u64 s[0:1], 0
	s_addc_u32 s8, s10, s8
	v_mad_u64_u32 v[8:9], s[0:1], v17, s8, 0
	v_mul_hi_u32 v10, v17, s9
	v_mov_b32_e32 v11, v5
	v_lshl_add_u64 v[8:9], v[10:11], 0, v[8:9]
	v_mad_u64_u32 v[18:19], s[0:1], v13, s9, 0
	v_add_co_u32_e32 v8, vcc, v8, v18
	v_mad_u64_u32 v[10:11], s[0:1], v13, s8, 0
	s_nop 0
	v_addc_co_u32_e32 v8, vcc, v9, v19, vcc
	v_mov_b32_e32 v9, v5
	s_nop 0
	v_addc_co_u32_e32 v11, vcc, 0, v11, vcc
	v_lshl_add_u64 v[8:9], v[8:9], 0, v[10:11]
	v_mul_lo_u32 v18, s7, v8
	v_mul_lo_u32 v19, s6, v9
	v_mad_u64_u32 v[10:11], s[0:1], s6, v8, 0
	v_add3_u32 v20, v11, v19, v18
	v_sub_u32_e32 v11, v13, v20
	v_mov_b32_e32 v18, s7
	v_sub_co_u32_e32 v17, vcc, v17, v10
	s_nop 1
	v_subb_co_u32_e64 v10, s[0:1], v11, v18, vcc
	v_subrev_co_u32_e64 v11, s[0:1], s6, v17
	v_subb_co_u32_e32 v13, vcc, v13, v20, vcc
	s_nop 0
	v_subbrev_co_u32_e64 v10, s[0:1], 0, v10, s[0:1]
	v_cmp_le_u32_e64 s[0:1], s7, v10
	v_cmp_le_u32_e32 vcc, s7, v13
	s_nop 0
	v_cndmask_b32_e64 v18, 0, -1, s[0:1]
	v_cmp_le_u32_e64 s[0:1], s6, v11
	s_nop 1
	v_cndmask_b32_e64 v11, 0, -1, s[0:1]
	v_cmp_eq_u32_e64 s[0:1], s7, v10
	s_nop 1
	v_cndmask_b32_e64 v21, v18, v11, s[0:1]
	v_lshl_add_u64 v[10:11], v[8:9], 0, 2
	v_lshl_add_u64 v[18:19], v[8:9], 0, 1
	v_cmp_ne_u32_e64 s[0:1], 0, v21
	s_nop 1
	v_cndmask_b32_e64 v11, v19, v11, s[0:1]
	v_cndmask_b32_e64 v19, 0, -1, vcc
	v_cmp_le_u32_e32 vcc, s6, v17
	v_cndmask_b32_e64 v10, v18, v10, s[0:1]
	s_nop 0
	v_cndmask_b32_e64 v17, 0, -1, vcc
	v_cmp_eq_u32_e32 vcc, s7, v13
	s_nop 1
	v_cndmask_b32_e32 v13, v19, v17, vcc
	v_cmp_ne_u32_e32 vcc, 0, v13
	s_nop 1
	v_cndmask_b32_e32 v8, v8, v10, vcc
	v_cndmask_b32_e32 v9, v9, v11, vcc
	v_xor_b32_e32 v8, v8, v12
	v_xor_b32_e32 v9, v9, v12
	v_sub_co_u32_e32 v10, vcc, v8, v12
                                        ; implicit-def: $vgpr8
	s_nop 1
	v_subb_co_u32_e32 v11, vcc, v9, v12, vcc
.LBB20_125:
	s_andn2_saveexec_b64 s[0:1], s[4:5]
	s_cbranch_execz .LBB20_127
; %bb.126:
	v_cvt_f32_u32_e32 v9, s3
	v_rcp_iflag_f32_e32 v9, v9
	s_nop 0
	v_mul_f32_e32 v9, 0x4f7ffffe, v9
	v_cvt_u32_f32_e32 v9, v9
	v_mul_lo_u32 v10, s12, v9
	v_mul_hi_u32 v10, v9, v10
	v_add_u32_e32 v9, v9, v10
	v_mul_hi_u32 v9, v8, v9
	v_mul_lo_u32 v10, v9, s3
	v_sub_u32_e32 v8, v8, v10
	v_add_u32_e32 v11, 1, v9
	v_subrev_u32_e32 v10, s3, v8
	v_cmp_le_u32_e32 vcc, s3, v8
	s_nop 1
	v_cndmask_b32_e32 v8, v8, v10, vcc
	v_cndmask_b32_e32 v9, v9, v11, vcc
	v_add_u32_e32 v10, 1, v9
	v_cmp_le_u32_e32 vcc, s3, v8
	v_mov_b32_e32 v11, 0
	s_nop 0
	v_cndmask_b32_e32 v10, v9, v10, vcc
.LBB20_127:
	s_or_b64 exec, exec, s[0:1]
	v_cmp_gt_i64_e32 vcc, s[26:27], v[4:5]
	v_mov_b64_e32 v[4:5], 0
	s_and_saveexec_b64 s[0:1], vcc
	s_cbranch_execz .LBB20_135
; %bb.128:
	s_add_i32 s4, s3, -1
	v_and_b32_e32 v8, s4, v0
	s_mov_b64 s[4:5], 0
	v_cmp_lt_i64_e32 vcc, 0, v[10:11]
	v_mov_b64_e32 v[4:5], 0
	v_lshlrev_b32_e32 v17, 3, v8
	s_and_saveexec_b64 s[6:7], vcc
	s_cbranch_execz .LBB20_132
; %bb.129:
	v_lshl_add_u32 v9, v2, 3, v17
	s_lshl_b32 s8, s3, 3
	v_mov_b64_e32 v[4:5], 0
	v_mov_b64_e32 v[12:13], v[10:11]
.LBB20_130:                             ; =>This Inner Loop Header: Depth=1
	ds_read_b64 v[18:19], v9
	v_lshl_add_u64 v[12:13], v[12:13], 0, -1
	v_cmp_eq_u64_e32 vcc, 0, v[12:13]
	v_add_u32_e32 v9, s8, v9
	s_or_b64 s[4:5], vcc, s[4:5]
	s_waitcnt lgkmcnt(0)
	v_add_f64 v[4:5], v[4:5], v[18:19]
	s_andn2_b64 exec, exec, s[4:5]
	s_cbranch_execnz .LBB20_130
; %bb.131:
	s_or_b64 exec, exec, s[4:5]
.LBB20_132:
	s_or_b64 exec, exec, s[6:7]
	v_mad_u64_u32 v[2:3], s[4:5], v10, s3, v[2:3]
	v_mov_b32_e32 v10, v3
	v_mad_u64_u32 v[10:11], s[4:5], v11, s3, v[10:11]
	v_sub_co_u32_e32 v12, vcc, v14, v2
	v_mov_b32_e32 v9, 0
	s_nop 0
	v_subb_co_u32_e32 v13, vcc, v15, v10, vcc
	v_cmp_gt_i64_e32 vcc, v[12:13], v[8:9]
	s_and_saveexec_b64 s[4:5], vcc
	s_cbranch_execz .LBB20_134
; %bb.133:
	v_lshl_add_u32 v2, v2, 3, v17
	ds_read_b64 v[2:3], v2
	s_waitcnt lgkmcnt(0)
	v_add_f64 v[4:5], v[4:5], v[2:3]
.LBB20_134:
	s_or_b64 exec, exec, s[4:5]
.LBB20_135:
	s_or_b64 exec, exec, s[0:1]
	v_cmp_gt_i64_e32 vcc, s[26:27], v[0:1]
	s_barrier
	ds_write_b64 v16, v[4:5]
	s_waitcnt lgkmcnt(0)
	s_barrier
	s_and_b64 exec, exec, vcc
	s_cbranch_execz .LBB20_139
; %bb.136:
	v_mul_lo_u32 v1, s3, v0
	v_lshlrev_b32_e32 v1, 3, v1
	v_mov_b64_e32 v[2:3], 0
.LBB20_137:                             ; =>This Inner Loop Header: Depth=1
	ds_read_b64 v[4:5], v1
	s_add_i32 s3, s3, -1
	v_add_u32_e32 v1, 8, v1
	s_cmp_eq_u32 s3, 0
	s_waitcnt lgkmcnt(0)
	v_add_f64 v[2:3], v[2:3], v[4:5]
	s_cbranch_scc0 .LBB20_137
; %bb.138:
	s_lshl_b32 s0, s2, 3
	s_addk_i32 s0, 0x2000
	v_lshl_add_u32 v0, v0, 3, s0
	ds_read_b64 v[0:1], v0
	s_waitcnt lgkmcnt(0)
	v_add_f64 v[0:1], v[2:3], v[0:1]
	v_lshl_add_u64 v[2:3], v[6:7], 3, s[24:25]
	global_atomic_add_f64 v[2:3], v[0:1], off
.LBB20_139:
	s_endpgm
	.section	.rodata,"a",@progbits
	.p2align	6, 0x0
	.amdhsa_kernel _ZN9rocsparseL27csrmvn_symm_adaptive_kernelIllddddEEvbT_S1_PKS1_NS_24const_host_device_scalarIT4_EES3_PKT0_PKT1_PKT2_S6_PT3_21rocsparse_index_base_b
		.amdhsa_group_segment_fixed_size 8192
		.amdhsa_private_segment_fixed_size 0
		.amdhsa_kernarg_size 352
		.amdhsa_user_sgpr_count 2
		.amdhsa_user_sgpr_dispatch_ptr 0
		.amdhsa_user_sgpr_queue_ptr 0
		.amdhsa_user_sgpr_kernarg_segment_ptr 1
		.amdhsa_user_sgpr_dispatch_id 0
		.amdhsa_user_sgpr_kernarg_preload_length 0
		.amdhsa_user_sgpr_kernarg_preload_offset 0
		.amdhsa_user_sgpr_private_segment_size 0
		.amdhsa_uses_dynamic_stack 0
		.amdhsa_enable_private_segment 0
		.amdhsa_system_sgpr_workgroup_id_x 1
		.amdhsa_system_sgpr_workgroup_id_y 0
		.amdhsa_system_sgpr_workgroup_id_z 0
		.amdhsa_system_sgpr_workgroup_info 0
		.amdhsa_system_vgpr_workitem_id 0
		.amdhsa_next_free_vgpr 22
		.amdhsa_next_free_sgpr 52
		.amdhsa_accum_offset 24
		.amdhsa_reserve_vcc 1
		.amdhsa_float_round_mode_32 0
		.amdhsa_float_round_mode_16_64 0
		.amdhsa_float_denorm_mode_32 3
		.amdhsa_float_denorm_mode_16_64 3
		.amdhsa_dx10_clamp 1
		.amdhsa_ieee_mode 1
		.amdhsa_fp16_overflow 0
		.amdhsa_tg_split 0
		.amdhsa_exception_fp_ieee_invalid_op 0
		.amdhsa_exception_fp_denorm_src 0
		.amdhsa_exception_fp_ieee_div_zero 0
		.amdhsa_exception_fp_ieee_overflow 0
		.amdhsa_exception_fp_ieee_underflow 0
		.amdhsa_exception_fp_ieee_inexact 0
		.amdhsa_exception_int_div_zero 0
	.end_amdhsa_kernel
	.section	.text._ZN9rocsparseL27csrmvn_symm_adaptive_kernelIllddddEEvbT_S1_PKS1_NS_24const_host_device_scalarIT4_EES3_PKT0_PKT1_PKT2_S6_PT3_21rocsparse_index_base_b,"axG",@progbits,_ZN9rocsparseL27csrmvn_symm_adaptive_kernelIllddddEEvbT_S1_PKS1_NS_24const_host_device_scalarIT4_EES3_PKT0_PKT1_PKT2_S6_PT3_21rocsparse_index_base_b,comdat
.Lfunc_end20:
	.size	_ZN9rocsparseL27csrmvn_symm_adaptive_kernelIllddddEEvbT_S1_PKS1_NS_24const_host_device_scalarIT4_EES3_PKT0_PKT1_PKT2_S6_PT3_21rocsparse_index_base_b, .Lfunc_end20-_ZN9rocsparseL27csrmvn_symm_adaptive_kernelIllddddEEvbT_S1_PKS1_NS_24const_host_device_scalarIT4_EES3_PKT0_PKT1_PKT2_S6_PT3_21rocsparse_index_base_b
                                        ; -- End function
	.set _ZN9rocsparseL27csrmvn_symm_adaptive_kernelIllddddEEvbT_S1_PKS1_NS_24const_host_device_scalarIT4_EES3_PKT0_PKT1_PKT2_S6_PT3_21rocsparse_index_base_b.num_vgpr, 22
	.set _ZN9rocsparseL27csrmvn_symm_adaptive_kernelIllddddEEvbT_S1_PKS1_NS_24const_host_device_scalarIT4_EES3_PKT0_PKT1_PKT2_S6_PT3_21rocsparse_index_base_b.num_agpr, 0
	.set _ZN9rocsparseL27csrmvn_symm_adaptive_kernelIllddddEEvbT_S1_PKS1_NS_24const_host_device_scalarIT4_EES3_PKT0_PKT1_PKT2_S6_PT3_21rocsparse_index_base_b.numbered_sgpr, 52
	.set _ZN9rocsparseL27csrmvn_symm_adaptive_kernelIllddddEEvbT_S1_PKS1_NS_24const_host_device_scalarIT4_EES3_PKT0_PKT1_PKT2_S6_PT3_21rocsparse_index_base_b.num_named_barrier, 0
	.set _ZN9rocsparseL27csrmvn_symm_adaptive_kernelIllddddEEvbT_S1_PKS1_NS_24const_host_device_scalarIT4_EES3_PKT0_PKT1_PKT2_S6_PT3_21rocsparse_index_base_b.private_seg_size, 0
	.set _ZN9rocsparseL27csrmvn_symm_adaptive_kernelIllddddEEvbT_S1_PKS1_NS_24const_host_device_scalarIT4_EES3_PKT0_PKT1_PKT2_S6_PT3_21rocsparse_index_base_b.uses_vcc, 1
	.set _ZN9rocsparseL27csrmvn_symm_adaptive_kernelIllddddEEvbT_S1_PKS1_NS_24const_host_device_scalarIT4_EES3_PKT0_PKT1_PKT2_S6_PT3_21rocsparse_index_base_b.uses_flat_scratch, 0
	.set _ZN9rocsparseL27csrmvn_symm_adaptive_kernelIllddddEEvbT_S1_PKS1_NS_24const_host_device_scalarIT4_EES3_PKT0_PKT1_PKT2_S6_PT3_21rocsparse_index_base_b.has_dyn_sized_stack, 0
	.set _ZN9rocsparseL27csrmvn_symm_adaptive_kernelIllddddEEvbT_S1_PKS1_NS_24const_host_device_scalarIT4_EES3_PKT0_PKT1_PKT2_S6_PT3_21rocsparse_index_base_b.has_recursion, 0
	.set _ZN9rocsparseL27csrmvn_symm_adaptive_kernelIllddddEEvbT_S1_PKS1_NS_24const_host_device_scalarIT4_EES3_PKT0_PKT1_PKT2_S6_PT3_21rocsparse_index_base_b.has_indirect_call, 0
	.section	.AMDGPU.csdata,"",@progbits
; Kernel info:
; codeLenInByte = 6836
; TotalNumSgprs: 58
; NumVgprs: 22
; NumAgprs: 0
; TotalNumVgprs: 22
; ScratchSize: 0
; MemoryBound: 0
; FloatMode: 240
; IeeeMode: 1
; LDSByteSize: 8192 bytes/workgroup (compile time only)
; SGPRBlocks: 7
; VGPRBlocks: 2
; NumSGPRsForWavesPerEU: 58
; NumVGPRsForWavesPerEU: 22
; AccumOffset: 24
; Occupancy: 8
; WaveLimiterHint : 1
; COMPUTE_PGM_RSRC2:SCRATCH_EN: 0
; COMPUTE_PGM_RSRC2:USER_SGPR: 2
; COMPUTE_PGM_RSRC2:TRAP_HANDLER: 0
; COMPUTE_PGM_RSRC2:TGID_X_EN: 1
; COMPUTE_PGM_RSRC2:TGID_Y_EN: 0
; COMPUTE_PGM_RSRC2:TGID_Z_EN: 0
; COMPUTE_PGM_RSRC2:TIDIG_COMP_CNT: 0
; COMPUTE_PGM_RSRC3_GFX90A:ACCUM_OFFSET: 5
; COMPUTE_PGM_RSRC3_GFX90A:TG_SPLIT: 0
	.section	.text._ZL33csrmvn_symm_large_adaptive_kernelIllddddEvbT_PKS0_N9rocsparse24const_host_device_scalarIT4_EES2_PKT0_PKT1_PKT2_S6_PT3_21rocsparse_index_base_b,"axG",@progbits,_ZL33csrmvn_symm_large_adaptive_kernelIllddddEvbT_PKS0_N9rocsparse24const_host_device_scalarIT4_EES2_PKT0_PKT1_PKT2_S6_PT3_21rocsparse_index_base_b,comdat
	.globl	_ZL33csrmvn_symm_large_adaptive_kernelIllddddEvbT_PKS0_N9rocsparse24const_host_device_scalarIT4_EES2_PKT0_PKT1_PKT2_S6_PT3_21rocsparse_index_base_b ; -- Begin function _ZL33csrmvn_symm_large_adaptive_kernelIllddddEvbT_PKS0_N9rocsparse24const_host_device_scalarIT4_EES2_PKT0_PKT1_PKT2_S6_PT3_21rocsparse_index_base_b
	.p2align	8
	.type	_ZL33csrmvn_symm_large_adaptive_kernelIllddddEvbT_PKS0_N9rocsparse24const_host_device_scalarIT4_EES2_PKT0_PKT1_PKT2_S6_PT3_21rocsparse_index_base_b,@function
_ZL33csrmvn_symm_large_adaptive_kernelIllddddEvbT_PKS0_N9rocsparse24const_host_device_scalarIT4_EES2_PKT0_PKT1_PKT2_S6_PT3_21rocsparse_index_base_b: ; @_ZL33csrmvn_symm_large_adaptive_kernelIllddddEvbT_PKS0_N9rocsparse24const_host_device_scalarIT4_EES2_PKT0_PKT1_PKT2_S6_PT3_21rocsparse_index_base_b
; %bb.0:
	s_load_dwordx2 s[10:11], s[0:1], 0x50
	s_load_dwordx2 s[8:9], s[0:1], 0x18
	;; [unrolled: 1-line block ×3, first 2 shown]
	s_waitcnt lgkmcnt(0)
	s_bitcmp1_b32 s11, 0
	s_cselect_b64 s[12:13], -1, 0
	s_xor_b64 s[6:7], s[12:13], -1
	s_and_b64 vcc, exec, s[12:13]
	v_mov_b64_e32 v[2:3], s[8:9]
	s_cbranch_vccnz .LBB21_2
; %bb.1:
	v_mov_b64_e32 v[2:3], s[8:9]
	flat_load_dwordx2 v[2:3], v[2:3]
.LBB21_2:
	s_andn2_b64 vcc, exec, s[6:7]
	v_mov_b64_e32 v[4:5], s[4:5]
	s_cbranch_vccnz .LBB21_4
; %bb.3:
	v_mov_b64_e32 v[4:5], s[4:5]
	flat_load_dwordx2 v[4:5], v[4:5]
.LBB21_4:
	s_waitcnt vmcnt(0) lgkmcnt(0)
	v_cmp_neq_f64_e32 vcc, 0, v[2:3]
	v_cmp_neq_f64_e64 s[4:5], 1.0, v[4:5]
	s_or_b64 s[4:5], vcc, s[4:5]
	s_and_saveexec_b64 s[6:7], s[4:5]
	s_cbranch_execz .LBB21_36
; %bb.5:
	s_load_dwordx2 s[4:5], s[0:1], 0x10
	s_ashr_i32 s3, s2, 31
	s_mov_b32 s6, 0
	s_lshl_b64 s[2:3], s[2:3], 3
	s_mov_b32 s7, s6
	s_waitcnt lgkmcnt(0)
	s_add_u32 s2, s4, s2
	v_lshlrev_b32_e32 v14, 3, v0
	v_mov_b64_e32 v[4:5], s[6:7]
	s_addc_u32 s3, s5, s3
	ds_write2st64_b64 v14, v[4:5], v[4:5] offset1:4
	ds_write2st64_b64 v14, v[4:5], v[4:5] offset0:8 offset1:12
	s_waitcnt lgkmcnt(0)
	s_barrier
	s_load_dwordx4 s[20:23], s[2:3], 0x0
	s_load_dwordx8 s[12:19], s[0:1], 0x20
	s_load_dwordx2 s[24:25], s[0:1], 0x48
	v_mov_b32_e32 v15, 0
	s_waitcnt lgkmcnt(0)
	v_mov_b64_e32 v[4:5], s[22:23]
	v_cmp_ge_i64_e32 vcc, s[20:21], v[4:5]
	v_subrev_co_u32_e64 v4, s[0:1], s10, v0
	s_nop 1
	v_subb_co_u32_e64 v5, s[0:1], 0, 0, s[0:1]
	s_cbranch_vccnz .LBB21_27
; %bb.6:
	s_movk_i32 s0, 0x100
	v_cmp_gt_u32_e64 s[0:1], s0, v0
	v_cmp_gt_u32_e64 s[2:3], 64, v0
	;; [unrolled: 1-line block ×4, first 2 shown]
	v_cmp_eq_u32_e64 s[8:9], 0, v0
	s_mov_b64 s[26:27], 0x100
	s_mov_b64 s[28:29], 0x800
	v_mov_b64_e32 v[0:1], s[22:23]
	s_mov_b64 s[30:31], s[20:21]
	s_branch .LBB21_8
.LBB21_7:                               ;   in Loop: Header=BB21_8 Depth=1
	s_or_b64 exec, exec, s[36:37]
	s_add_u32 s30, s30, 1
	s_addc_u32 s31, s31, 0
	v_cmp_ge_i64_e32 vcc, s[30:31], v[0:1]
	s_cbranch_vccnz .LBB21_27
.LBB21_8:                               ; =>This Loop Header: Depth=1
                                        ;     Child Loop BB21_10 Depth 2
                                        ;     Child Loop BB21_24 Depth 2
	s_lshl_b64 s[34:35], s[30:31], 3
	s_add_u32 s36, s12, s34
	s_addc_u32 s37, s13, s35
	s_load_dwordx4 s[40:43], s[36:37], 0x0
	v_mov_b64_e32 v[6:7], 0
	s_waitcnt lgkmcnt(0)
	s_sub_u32 s36, s42, s10
	v_lshl_add_u64 v[8:9], s[40:41], 0, v[4:5]
	s_subb_u32 s37, s43, 0
	v_cmp_gt_i64_e32 vcc, s[36:37], v[8:9]
	s_and_saveexec_b64 s[38:39], vcc
	s_cbranch_execz .LBB21_12
; %bb.9:                                ;   in Loop: Header=BB21_8 Depth=1
	v_lshlrev_b64 v[6:7], 3, v[8:9]
	v_lshl_add_u64 v[10:11], s[14:15], 0, v[6:7]
	v_lshl_add_u64 v[12:13], s[16:17], 0, v[6:7]
	v_mov_b64_e32 v[6:7], 0
	s_mov_b64 s[40:41], 0
.LBB21_10:                              ;   Parent Loop BB21_8 Depth=1
                                        ; =>  This Inner Loop Header: Depth=2
	global_load_dwordx2 v[16:17], v[10:11], off
	global_load_dwordx2 v[18:19], v[12:13], off
	v_lshl_add_u64 v[8:9], v[8:9], 0, s[26:27]
	v_lshl_add_u64 v[10:11], v[10:11], 0, s[28:29]
	;; [unrolled: 1-line block ×3, first 2 shown]
	s_waitcnt vmcnt(1)
	v_subrev_co_u32_e32 v16, vcc, s10, v16
	s_nop 1
	v_subbrev_co_u32_e32 v17, vcc, 0, v17, vcc
	v_lshl_add_u64 v[16:17], v[16:17], 3, s[18:19]
	global_load_dwordx2 v[16:17], v[16:17], off
	v_cmp_le_i64_e32 vcc, s[36:37], v[8:9]
	s_or_b64 s[40:41], vcc, s[40:41]
	s_waitcnt vmcnt(0)
	v_fmac_f64_e32 v[6:7], v[18:19], v[16:17]
	s_andn2_b64 exec, exec, s[40:41]
	s_cbranch_execnz .LBB21_10
; %bb.11:                               ;   in Loop: Header=BB21_8 Depth=1
	s_or_b64 exec, exec, s[40:41]
.LBB21_12:                              ;   in Loop: Header=BB21_8 Depth=1
	s_or_b64 exec, exec, s[38:39]
	ds_write_b64 v14, v[6:7]
	s_waitcnt lgkmcnt(0)
	s_barrier
	s_and_saveexec_b64 s[36:37], s[0:1]
	s_cbranch_execz .LBB21_14
; %bb.13:                               ;   in Loop: Header=BB21_8 Depth=1
	ds_read2st64_b64 v[6:9], v14 offset1:4
	ds_read2st64_b64 v[10:13], v14 offset0:8 offset1:12
	s_waitcnt lgkmcnt(0)
	v_add_f64 v[8:9], v[8:9], v[10:11]
	v_add_f64 v[8:9], v[8:9], v[12:13]
	;; [unrolled: 1-line block ×3, first 2 shown]
	ds_write_b64 v14, v[6:7]
.LBB21_14:                              ;   in Loop: Header=BB21_8 Depth=1
	s_or_b64 exec, exec, s[36:37]
	s_waitcnt lgkmcnt(0)
	s_barrier
	s_and_saveexec_b64 s[36:37], s[2:3]
	s_cbranch_execz .LBB21_16
; %bb.15:                               ;   in Loop: Header=BB21_8 Depth=1
	ds_read2st64_b64 v[6:9], v14 offset1:1
	ds_read2st64_b64 v[10:13], v14 offset0:2 offset1:3
	s_waitcnt lgkmcnt(0)
	v_add_f64 v[8:9], v[8:9], v[10:11]
	v_add_f64 v[8:9], v[8:9], v[12:13]
	;; [unrolled: 1-line block ×3, first 2 shown]
	ds_write_b64 v14, v[6:7]
.LBB21_16:                              ;   in Loop: Header=BB21_8 Depth=1
	s_or_b64 exec, exec, s[36:37]
	s_waitcnt lgkmcnt(0)
	s_barrier
	s_and_saveexec_b64 s[36:37], s[4:5]
	s_cbranch_execz .LBB21_18
; %bb.17:                               ;   in Loop: Header=BB21_8 Depth=1
	ds_read2_b64 v[6:9], v14 offset1:16
	ds_read2_b64 v[10:13], v14 offset0:32 offset1:48
	s_waitcnt lgkmcnt(0)
	v_add_f64 v[8:9], v[8:9], v[10:11]
	v_add_f64 v[8:9], v[8:9], v[12:13]
	;; [unrolled: 1-line block ×3, first 2 shown]
	ds_write_b64 v14, v[6:7]
.LBB21_18:                              ;   in Loop: Header=BB21_8 Depth=1
	s_or_b64 exec, exec, s[36:37]
	s_waitcnt lgkmcnt(0)
	s_barrier
	s_and_saveexec_b64 s[36:37], s[6:7]
	s_cbranch_execz .LBB21_20
; %bb.19:                               ;   in Loop: Header=BB21_8 Depth=1
	ds_read2_b64 v[6:9], v14 offset1:4
	ds_read2_b64 v[10:13], v14 offset0:8 offset1:12
	s_waitcnt lgkmcnt(0)
	v_add_f64 v[8:9], v[8:9], v[10:11]
	v_add_f64 v[8:9], v[8:9], v[12:13]
	;; [unrolled: 1-line block ×3, first 2 shown]
	ds_write_b64 v14, v[6:7]
.LBB21_20:                              ;   in Loop: Header=BB21_8 Depth=1
	s_or_b64 exec, exec, s[36:37]
	s_waitcnt lgkmcnt(0)
	s_barrier
	s_and_saveexec_b64 s[36:37], s[8:9]
	s_cbranch_execz .LBB21_22
; %bb.21:                               ;   in Loop: Header=BB21_8 Depth=1
	ds_read2_b64 v[6:9], v15 offset0:1 offset1:2
	ds_read_b64 v[10:11], v15 offset:24
	ds_read_b64 v[12:13], v14
	s_waitcnt lgkmcnt(2)
	v_add_f64 v[6:7], v[6:7], v[8:9]
	s_waitcnt lgkmcnt(1)
	v_add_f64 v[6:7], v[6:7], v[10:11]
	;; [unrolled: 2-line block ×3, first 2 shown]
	ds_write_b64 v14, v[6:7]
.LBB21_22:                              ;   in Loop: Header=BB21_8 Depth=1
	s_or_b64 exec, exec, s[36:37]
	s_waitcnt lgkmcnt(0)
	s_barrier
	s_and_saveexec_b64 s[36:37], s[8:9]
	s_cbranch_execz .LBB21_7
; %bb.23:                               ;   in Loop: Header=BB21_8 Depth=1
	ds_read_b64 v[6:7], v15
	s_mov_b64 s[38:39], exec
	s_waitcnt lgkmcnt(0)
	v_mul_f64 v[8:9], v[2:3], v[6:7]
	v_mov_b32_e32 v6, 0
	v_bfrev_b32_e32 v7, 1
.LBB21_24:                              ;   Parent Loop BB21_8 Depth=1
                                        ; =>  This Inner Loop Header: Depth=2
	s_ff1_i32_b64 s11, s[38:39]
	s_lshl_b64 s[42:43], 1, s11
	v_readlane_b32 s41, v9, s11
	v_readlane_b32 s40, v8, s11
	s_andn2_b64 s[38:39], s[38:39], s[42:43]
	s_cmp_lg_u64 s[38:39], 0
	v_add_f64 v[6:7], v[6:7], s[40:41]
	s_cbranch_scc1 .LBB21_24
; %bb.25:                               ;   in Loop: Header=BB21_8 Depth=1
	v_mbcnt_lo_u32_b32 v8, exec_lo, 0
	v_mbcnt_hi_u32_b32 v8, exec_hi, v8
	v_cmp_eq_u32_e32 vcc, 0, v8
	s_and_saveexec_b64 s[38:39], vcc
	s_xor_b64 s[38:39], exec, s[38:39]
	s_cbranch_execz .LBB21_7
; %bb.26:                               ;   in Loop: Header=BB21_8 Depth=1
	s_add_u32 s34, s24, s34
	s_addc_u32 s35, s25, s35
	global_atomic_add_f64 v15, v[6:7], s[34:35]
	s_branch .LBB21_7
.LBB21_27:
	s_lshl_b64 s[0:1], s[20:21], 3
	s_add_u32 s0, s12, s0
	s_addc_u32 s1, s13, s1
	s_lshl_b64 s[2:3], s[22:23], 3
	s_add_u32 s2, s12, s2
	s_addc_u32 s3, s13, s3
	s_load_dwordx2 s[4:5], s[2:3], 0x0
	s_load_dwordx2 s[6:7], s[0:1], 0x0
	s_waitcnt lgkmcnt(0)
	s_sub_u32 s4, s4, s10
	s_subb_u32 s5, s5, 0
	v_lshl_add_u64 v[0:1], s[6:7], 0, v[4:5]
	v_cmp_gt_i64_e32 vcc, s[4:5], v[0:1]
	s_and_b64 exec, exec, vcc
	s_cbranch_execz .LBB21_36
; %bb.28:
	s_add_u32 s6, s22, -1
	s_addc_u32 s7, s23, -1
	s_add_u32 s0, s22, -2
	s_addc_u32 s1, s23, -1
	v_mov_b64_e32 v[4:5], s[6:7]
	s_cmp_lg_u64 s[20:21], s[0:1]
	v_cmp_lt_i64_e32 vcc, s[20:21], v[4:5]
	s_cselect_b64 s[0:1], -1, 0
	s_and_b64 s[0:1], vcc, s[0:1]
	v_cndmask_b32_e64 v4, 0, 1, s[0:1]
	s_mov_b64 s[8:9], 0
	v_cmp_ne_u32_e64 s[0:1], 1, v4
	v_mov_b32_e32 v5, 0
	s_mov_b64 s[22:23], 0x100
	s_branch .LBB21_30
.LBB21_29:                              ;   in Loop: Header=BB21_30 Depth=1
	s_or_b64 exec, exec, s[2:3]
	v_lshl_add_u64 v[0:1], v[0:1], 0, s[22:23]
	v_cmp_le_i64_e32 vcc, s[4:5], v[0:1]
	s_or_b64 s[8:9], vcc, s[8:9]
	s_andn2_b64 exec, exec, s[8:9]
	s_cbranch_execz .LBB21_36
.LBB21_30:                              ; =>This Loop Header: Depth=1
                                        ;     Child Loop BB21_32 Depth 2
	s_and_b64 vcc, exec, s[0:1]
	v_mov_b64_e32 v[6:7], s[20:21]
	v_mov_b64_e32 v[8:9], s[6:7]
	s_cbranch_vccnz .LBB21_34
; %bb.31:                               ;   in Loop: Header=BB21_30 Depth=1
	s_mov_b64 s[26:27], 0
	v_mov_b64_e32 v[6:7], s[20:21]
	v_mov_b64_e32 v[8:9], s[6:7]
.LBB21_32:                              ;   Parent Loop BB21_30 Depth=1
                                        ; =>  This Inner Loop Header: Depth=2
	v_lshl_add_u64 v[10:11], v[8:9], 0, v[6:7]
	v_lshrrev_b32_e32 v4, 31, v11
	v_lshl_add_u64 v[10:11], v[10:11], 0, v[4:5]
	v_ashrrev_i64 v[10:11], 1, v[10:11]
	v_lshl_add_u64 v[12:13], v[10:11], 3, s[12:13]
	global_load_dwordx2 v[12:13], v[12:13], off
	s_waitcnt vmcnt(0)
	v_subrev_co_u32_e32 v12, vcc, s10, v12
	s_nop 1
	v_subbrev_co_u32_e32 v13, vcc, 0, v13, vcc
	v_cmp_lt_i64_e32 vcc, v[0:1], v[12:13]
	s_nop 1
	v_cndmask_b32_e32 v9, v9, v11, vcc
	v_cndmask_b32_e32 v8, v8, v10, vcc
	;; [unrolled: 1-line block ×4, first 2 shown]
	v_lshl_add_u64 v[10:11], v[8:9], 0, -1
	v_cmp_ge_i64_e32 vcc, v[6:7], v[8:9]
	v_cmp_eq_u64_e64 s[2:3], v[6:7], v[10:11]
	s_or_b64 s[2:3], vcc, s[2:3]
	s_and_b64 s[2:3], exec, s[2:3]
	s_or_b64 s[26:27], s[2:3], s[26:27]
	s_andn2_b64 exec, exec, s[26:27]
	s_cbranch_execnz .LBB21_32
; %bb.33:                               ;   in Loop: Header=BB21_30 Depth=1
	s_or_b64 exec, exec, s[26:27]
.LBB21_34:                              ;   in Loop: Header=BB21_30 Depth=1
	v_lshl_add_u64 v[10:11], v[8:9], 3, s[12:13]
	global_load_dwordx2 v[10:11], v[10:11], off
	v_lshl_add_u64 v[12:13], v[0:1], 3, s[14:15]
	global_load_dwordx2 v[12:13], v[12:13], off
	s_waitcnt vmcnt(1)
	v_subrev_co_u32_e32 v10, vcc, s10, v10
	s_nop 1
	v_subbrev_co_u32_e32 v11, vcc, 0, v11, vcc
	v_cmp_lt_i64_e32 vcc, v[0:1], v[10:11]
	s_nop 1
	v_cndmask_b32_e32 v9, v9, v7, vcc
	v_cndmask_b32_e32 v8, v8, v6, vcc
	s_waitcnt vmcnt(0)
	v_subrev_co_u32_e32 v6, vcc, s10, v12
	s_nop 1
	v_subbrev_co_u32_e32 v7, vcc, 0, v13, vcc
	v_cmp_ne_u64_e32 vcc, v[6:7], v[8:9]
	s_and_saveexec_b64 s[2:3], vcc
	s_cbranch_execz .LBB21_29
; %bb.35:                               ;   in Loop: Header=BB21_30 Depth=1
	v_lshl_add_u64 v[10:11], v[0:1], 3, s[16:17]
	global_load_dwordx2 v[10:11], v[10:11], off
	v_lshl_add_u64 v[8:9], v[8:9], 3, s[18:19]
	global_load_dwordx2 v[8:9], v[8:9], off
	v_lshl_add_u64 v[6:7], v[6:7], 3, s[24:25]
	s_waitcnt vmcnt(1)
	v_mul_f64 v[10:11], v[2:3], v[10:11]
	s_waitcnt vmcnt(0)
	v_mul_f64 v[8:9], v[10:11], v[8:9]
	global_atomic_add_f64 v[6:7], v[8:9], off
	s_branch .LBB21_29
.LBB21_36:
	s_endpgm
	.section	.rodata,"a",@progbits
	.p2align	6, 0x0
	.amdhsa_kernel _ZL33csrmvn_symm_large_adaptive_kernelIllddddEvbT_PKS0_N9rocsparse24const_host_device_scalarIT4_EES2_PKT0_PKT1_PKT2_S6_PT3_21rocsparse_index_base_b
		.amdhsa_group_segment_fixed_size 8192
		.amdhsa_private_segment_fixed_size 0
		.amdhsa_kernarg_size 88
		.amdhsa_user_sgpr_count 2
		.amdhsa_user_sgpr_dispatch_ptr 0
		.amdhsa_user_sgpr_queue_ptr 0
		.amdhsa_user_sgpr_kernarg_segment_ptr 1
		.amdhsa_user_sgpr_dispatch_id 0
		.amdhsa_user_sgpr_kernarg_preload_length 0
		.amdhsa_user_sgpr_kernarg_preload_offset 0
		.amdhsa_user_sgpr_private_segment_size 0
		.amdhsa_uses_dynamic_stack 0
		.amdhsa_enable_private_segment 0
		.amdhsa_system_sgpr_workgroup_id_x 1
		.amdhsa_system_sgpr_workgroup_id_y 0
		.amdhsa_system_sgpr_workgroup_id_z 0
		.amdhsa_system_sgpr_workgroup_info 0
		.amdhsa_system_vgpr_workitem_id 0
		.amdhsa_next_free_vgpr 20
		.amdhsa_next_free_sgpr 44
		.amdhsa_accum_offset 20
		.amdhsa_reserve_vcc 1
		.amdhsa_float_round_mode_32 0
		.amdhsa_float_round_mode_16_64 0
		.amdhsa_float_denorm_mode_32 3
		.amdhsa_float_denorm_mode_16_64 3
		.amdhsa_dx10_clamp 1
		.amdhsa_ieee_mode 1
		.amdhsa_fp16_overflow 0
		.amdhsa_tg_split 0
		.amdhsa_exception_fp_ieee_invalid_op 0
		.amdhsa_exception_fp_denorm_src 0
		.amdhsa_exception_fp_ieee_div_zero 0
		.amdhsa_exception_fp_ieee_overflow 0
		.amdhsa_exception_fp_ieee_underflow 0
		.amdhsa_exception_fp_ieee_inexact 0
		.amdhsa_exception_int_div_zero 0
	.end_amdhsa_kernel
	.section	.text._ZL33csrmvn_symm_large_adaptive_kernelIllddddEvbT_PKS0_N9rocsparse24const_host_device_scalarIT4_EES2_PKT0_PKT1_PKT2_S6_PT3_21rocsparse_index_base_b,"axG",@progbits,_ZL33csrmvn_symm_large_adaptive_kernelIllddddEvbT_PKS0_N9rocsparse24const_host_device_scalarIT4_EES2_PKT0_PKT1_PKT2_S6_PT3_21rocsparse_index_base_b,comdat
.Lfunc_end21:
	.size	_ZL33csrmvn_symm_large_adaptive_kernelIllddddEvbT_PKS0_N9rocsparse24const_host_device_scalarIT4_EES2_PKT0_PKT1_PKT2_S6_PT3_21rocsparse_index_base_b, .Lfunc_end21-_ZL33csrmvn_symm_large_adaptive_kernelIllddddEvbT_PKS0_N9rocsparse24const_host_device_scalarIT4_EES2_PKT0_PKT1_PKT2_S6_PT3_21rocsparse_index_base_b
                                        ; -- End function
	.set _ZL33csrmvn_symm_large_adaptive_kernelIllddddEvbT_PKS0_N9rocsparse24const_host_device_scalarIT4_EES2_PKT0_PKT1_PKT2_S6_PT3_21rocsparse_index_base_b.num_vgpr, 20
	.set _ZL33csrmvn_symm_large_adaptive_kernelIllddddEvbT_PKS0_N9rocsparse24const_host_device_scalarIT4_EES2_PKT0_PKT1_PKT2_S6_PT3_21rocsparse_index_base_b.num_agpr, 0
	.set _ZL33csrmvn_symm_large_adaptive_kernelIllddddEvbT_PKS0_N9rocsparse24const_host_device_scalarIT4_EES2_PKT0_PKT1_PKT2_S6_PT3_21rocsparse_index_base_b.numbered_sgpr, 44
	.set _ZL33csrmvn_symm_large_adaptive_kernelIllddddEvbT_PKS0_N9rocsparse24const_host_device_scalarIT4_EES2_PKT0_PKT1_PKT2_S6_PT3_21rocsparse_index_base_b.num_named_barrier, 0
	.set _ZL33csrmvn_symm_large_adaptive_kernelIllddddEvbT_PKS0_N9rocsparse24const_host_device_scalarIT4_EES2_PKT0_PKT1_PKT2_S6_PT3_21rocsparse_index_base_b.private_seg_size, 0
	.set _ZL33csrmvn_symm_large_adaptive_kernelIllddddEvbT_PKS0_N9rocsparse24const_host_device_scalarIT4_EES2_PKT0_PKT1_PKT2_S6_PT3_21rocsparse_index_base_b.uses_vcc, 1
	.set _ZL33csrmvn_symm_large_adaptive_kernelIllddddEvbT_PKS0_N9rocsparse24const_host_device_scalarIT4_EES2_PKT0_PKT1_PKT2_S6_PT3_21rocsparse_index_base_b.uses_flat_scratch, 0
	.set _ZL33csrmvn_symm_large_adaptive_kernelIllddddEvbT_PKS0_N9rocsparse24const_host_device_scalarIT4_EES2_PKT0_PKT1_PKT2_S6_PT3_21rocsparse_index_base_b.has_dyn_sized_stack, 0
	.set _ZL33csrmvn_symm_large_adaptive_kernelIllddddEvbT_PKS0_N9rocsparse24const_host_device_scalarIT4_EES2_PKT0_PKT1_PKT2_S6_PT3_21rocsparse_index_base_b.has_recursion, 0
	.set _ZL33csrmvn_symm_large_adaptive_kernelIllddddEvbT_PKS0_N9rocsparse24const_host_device_scalarIT4_EES2_PKT0_PKT1_PKT2_S6_PT3_21rocsparse_index_base_b.has_indirect_call, 0
	.section	.AMDGPU.csdata,"",@progbits
; Kernel info:
; codeLenInByte = 1560
; TotalNumSgprs: 50
; NumVgprs: 20
; NumAgprs: 0
; TotalNumVgprs: 20
; ScratchSize: 0
; MemoryBound: 0
; FloatMode: 240
; IeeeMode: 1
; LDSByteSize: 8192 bytes/workgroup (compile time only)
; SGPRBlocks: 6
; VGPRBlocks: 2
; NumSGPRsForWavesPerEU: 50
; NumVGPRsForWavesPerEU: 20
; AccumOffset: 20
; Occupancy: 8
; WaveLimiterHint : 1
; COMPUTE_PGM_RSRC2:SCRATCH_EN: 0
; COMPUTE_PGM_RSRC2:USER_SGPR: 2
; COMPUTE_PGM_RSRC2:TRAP_HANDLER: 0
; COMPUTE_PGM_RSRC2:TGID_X_EN: 1
; COMPUTE_PGM_RSRC2:TGID_Y_EN: 0
; COMPUTE_PGM_RSRC2:TGID_Z_EN: 0
; COMPUTE_PGM_RSRC2:TIDIG_COMP_CNT: 0
; COMPUTE_PGM_RSRC3_GFX90A:ACCUM_OFFSET: 4
; COMPUTE_PGM_RSRC3_GFX90A:TG_SPLIT: 0
	.section	.text._ZN9rocsparseL22csrmvn_adaptive_kernelIii21rocsparse_complex_numIfES2_S2_S2_EEvbT_PKS3_PjPKT0_NS_24const_host_device_scalarIT4_EES5_S9_PKT1_PKT2_SC_PT3_21rocsparse_index_base_b,"axG",@progbits,_ZN9rocsparseL22csrmvn_adaptive_kernelIii21rocsparse_complex_numIfES2_S2_S2_EEvbT_PKS3_PjPKT0_NS_24const_host_device_scalarIT4_EES5_S9_PKT1_PKT2_SC_PT3_21rocsparse_index_base_b,comdat
	.globl	_ZN9rocsparseL22csrmvn_adaptive_kernelIii21rocsparse_complex_numIfES2_S2_S2_EEvbT_PKS3_PjPKT0_NS_24const_host_device_scalarIT4_EES5_S9_PKT1_PKT2_SC_PT3_21rocsparse_index_base_b ; -- Begin function _ZN9rocsparseL22csrmvn_adaptive_kernelIii21rocsparse_complex_numIfES2_S2_S2_EEvbT_PKS3_PjPKT0_NS_24const_host_device_scalarIT4_EES5_S9_PKT1_PKT2_SC_PT3_21rocsparse_index_base_b
	.p2align	8
	.type	_ZN9rocsparseL22csrmvn_adaptive_kernelIii21rocsparse_complex_numIfES2_S2_S2_EEvbT_PKS3_PjPKT0_NS_24const_host_device_scalarIT4_EES5_S9_PKT1_PKT2_SC_PT3_21rocsparse_index_base_b,@function
_ZN9rocsparseL22csrmvn_adaptive_kernelIii21rocsparse_complex_numIfES2_S2_S2_EEvbT_PKS3_PjPKT0_NS_24const_host_device_scalarIT4_EES5_S9_PKT1_PKT2_SC_PT3_21rocsparse_index_base_b: ; @_ZN9rocsparseL22csrmvn_adaptive_kernelIii21rocsparse_complex_numIfES2_S2_S2_EEvbT_PKS3_PjPKT0_NS_24const_host_device_scalarIT4_EES5_S9_PKT1_PKT2_SC_PT3_21rocsparse_index_base_b
; %bb.0:
	s_load_dwordx2 s[4:5], s[0:1], 0x20
	s_load_dwordx2 s[42:43], s[0:1], 0x58
	s_add_u32 s3, s0, 32
	s_addc_u32 s8, s1, 0
	s_load_dwordx2 s[6:7], s[0:1], 0x48
	s_add_u32 s9, s0, 0x48
	s_addc_u32 s10, s1, 0
	s_waitcnt lgkmcnt(0)
	s_bitcmp1_b32 s43, 0
	s_cselect_b32 s5, s8, s5
	s_cselect_b32 s3, s3, s4
	v_mov_b32_e32 v2, s3
	v_mov_b32_e32 v3, s5
	s_cselect_b32 s3, s10, s7
	s_cselect_b32 s4, s9, s6
	flat_load_dwordx2 v[4:5], v[2:3]
	v_mov_b32_e32 v2, s4
	v_mov_b32_e32 v3, s3
	flat_load_dwordx2 v[2:3], v[2:3]
	s_waitcnt vmcnt(0) lgkmcnt(0)
	v_cmp_neq_f32_e32 vcc, 0, v4
	v_cmp_neq_f32_e64 s[4:5], 0, v5
	s_or_b64 s[4:5], vcc, s[4:5]
	v_cmp_neq_f32_e64 s[8:9], 1.0, v2
	v_cmp_neq_f32_e64 s[6:7], 0, v3
	s_or_b64 s[8:9], s[8:9], s[6:7]
	s_or_b64 s[4:5], s[4:5], s[8:9]
	s_and_saveexec_b64 s[8:9], s[4:5]
	s_cbranch_execz .LBB22_119
; %bb.1:
	s_load_dwordx4 s[36:39], s[0:1], 0x0
	s_load_dwordx2 s[8:9], s[0:1], 0x18
	s_waitcnt lgkmcnt(0)
	s_bitcmp1_b32 s36, 0
	s_cselect_b64 s[4:5], -1, 0
	s_ashr_i32 s3, s2, 31
	s_lshl_b64 s[46:47], s[2:3], 2
	s_add_u32 s10, s38, s46
	s_addc_u32 s11, s39, s47
	s_load_dwordx2 s[38:39], s[10:11], 0x0
	s_load_dwordx2 s[34:35], s[0:1], 0x50
	s_load_dwordx8 s[24:31], s[0:1], 0x28
	s_waitcnt lgkmcnt(0)
	s_sub_i32 s3, s39, s38
	s_add_u32 s8, s8, s46
	s_mov_b32 s44, s38
	s_addc_u32 s9, s9, s47
	s_ashr_i32 s45, s38, 31
	s_load_dword s33, s[8:9], 0x0
	s_lshl_b64 s[8:9], s[44:45], 2
	s_add_u32 s40, s24, s8
	s_addc_u32 s41, s25, s9
	s_load_dword s36, s[40:41], 0x0
	s_cmp_lt_i32 s3, 2
	s_mov_b64 s[8:9], -1
	s_cbranch_scc0 .LBB22_68
; %bb.2:
	s_cmp_lg_u32 s3, 1
	s_cselect_b64 s[8:9], -1, 0
	s_waitcnt lgkmcnt(0)
	s_cmp_lg_u32 s33, 0
	s_cselect_b64 s[10:11], -1, 0
	s_or_b64 s[8:9], s[8:9], s[10:11]
	s_mov_b64 s[22:23], -1
	s_and_b64 vcc, exec, s[8:9]
	v_cmp_gt_u32_e64 s[8:9], 64, v0
	v_cmp_gt_u32_e64 s[10:11], 32, v0
	v_cmp_gt_u32_e64 s[12:13], 16, v0
	v_cmp_gt_u32_e64 s[14:15], 8, v0
	v_cmp_gt_u32_e64 s[16:17], 4, v0
	v_cmp_gt_u32_e64 s[18:19], 2, v0
	v_cmp_eq_u32_e64 s[20:21], 0, v0
	s_cbranch_vccnz .LBB22_30
; %bb.3:
	v_cmp_neq_f32_e64 s[22:23], 0, v2
	s_or_b64 s[48:49], s[22:23], s[6:7]
	s_movk_i32 s3, 0x80
	s_add_u32 s50, s28, 4
	v_subrev_u32_e32 v1, s42, v0
	v_xor_b32_e32 v6, 0x80000000, v5
	v_lshlrev_b32_e32 v18, 3, v0
	v_cmp_gt_u32_e32 vcc, s3, v0
	v_xor_b32_e32 v8, 0x80000000, v3
	v_mov_b32_e32 v9, v2
	v_mov_b32_e32 v7, v4
	s_addc_u32 s51, s29, 0
	s_mov_b64 s[52:53], 0x800
	s_mov_b64 s[54:55], 0x400
	v_mov_b32_e32 v19, 0
	s_mov_b32 s56, s38
	s_branch .LBB22_6
.LBB22_4:                               ;   in Loop: Header=BB22_6 Depth=1
	s_or_b64 exec, exec, s[58:59]
	s_lshl_b64 s[58:59], s[56:57], 3
	s_add_u32 s58, s34, s58
	s_addc_u32 s59, s35, s59
	s_waitcnt lgkmcnt(0)
	global_store_dwordx2 v19, v[10:11], s[58:59]
.LBB22_5:                               ;   in Loop: Header=BB22_6 Depth=1
	s_or_b64 exec, exec, s[22:23]
	s_add_i32 s56, s56, 1
	s_cmp_ge_i32 s56, s39
	s_cbranch_scc1 .LBB22_29
.LBB22_6:                               ; =>This Loop Header: Depth=1
                                        ;     Child Loop BB22_8 Depth 2
	s_ashr_i32 s57, s56, 31
	s_lshl_b64 s[22:23], s[56:57], 2
	s_add_u32 s22, s24, s22
	s_addc_u32 s23, s25, s23
	s_load_dwordx2 s[58:59], s[22:23], 0x0
	v_mov_b32_e32 v11, 0
	v_mov_b32_e32 v10, 0
	s_waitcnt lgkmcnt(0)
	s_sub_i32 s3, s59, s42
	v_add_u32_e32 v12, s58, v1
	v_cmp_gt_i32_e64 s[22:23], s3, v12
	s_and_saveexec_b64 s[58:59], s[22:23]
	s_cbranch_execz .LBB22_10
; %bb.7:                                ;   in Loop: Header=BB22_6 Depth=1
	v_ashrrev_i32_e32 v13, 31, v12
	v_mov_b32_e32 v10, 0
	v_lshl_add_u64 v[14:15], v[12:13], 3, s[50:51]
	v_lshl_add_u64 v[16:17], v[12:13], 2, s[26:27]
	s_mov_b64 s[60:61], 0
	v_mov_b32_e32 v11, v10
.LBB22_8:                               ;   Parent Loop BB22_6 Depth=1
                                        ; =>  This Inner Loop Header: Depth=2
	global_load_dword v13, v[16:17], off
	global_load_dwordx2 v[20:21], v[14:15], off offset:-4
	v_add_u32_e32 v12, 0x100, v12
	v_cmp_le_i32_e64 s[22:23], s3, v12
	v_lshl_add_u64 v[14:15], v[14:15], 0, s[52:53]
	v_lshl_add_u64 v[16:17], v[16:17], 0, s[54:55]
	s_or_b64 s[60:61], s[22:23], s[60:61]
	s_waitcnt vmcnt(1)
	v_subrev_u32_e32 v22, s42, v13
	v_ashrrev_i32_e32 v23, 31, v22
	v_lshl_add_u64 v[22:23], v[22:23], 3, s[30:31]
	global_load_dwordx2 v[22:23], v[22:23], off
	s_waitcnt vmcnt(1)
	v_cndmask_b32_e64 v24, v21, -v21, s[4:5]
	v_pk_mul_f32 v[24:25], v[24:25], v[6:7] op_sel_hi:[0,1]
	v_pk_fma_f32 v[20:21], v[4:5], v[20:21], v[24:25] op_sel_hi:[1,0,1]
	s_nop 0
	v_xor_b32_e32 v24, 0x80000000, v21
	v_mov_b32_e32 v25, v20
	s_waitcnt vmcnt(0)
	v_pk_fma_f32 v[10:11], v[20:21], v[22:23], v[10:11] op_sel_hi:[1,0,1]
	s_nop 0
	v_pk_fma_f32 v[10:11], v[24:25], v[22:23], v[10:11] op_sel:[0,1,0]
	s_andn2_b64 exec, exec, s[60:61]
	s_cbranch_execnz .LBB22_8
; %bb.9:                                ;   in Loop: Header=BB22_6 Depth=1
	s_or_b64 exec, exec, s[60:61]
.LBB22_10:                              ;   in Loop: Header=BB22_6 Depth=1
	s_or_b64 exec, exec, s[58:59]
	ds_write_b64 v18, v[10:11]
	s_waitcnt lgkmcnt(0)
	s_barrier
	s_and_saveexec_b64 s[22:23], vcc
	s_cbranch_execz .LBB22_12
; %bb.11:                               ;   in Loop: Header=BB22_6 Depth=1
	ds_read2st64_b64 v[10:13], v18 offset1:2
	s_waitcnt lgkmcnt(0)
	v_pk_add_f32 v[10:11], v[12:13], v[10:11]
	ds_write_b64 v18, v[10:11]
.LBB22_12:                              ;   in Loop: Header=BB22_6 Depth=1
	s_or_b64 exec, exec, s[22:23]
	s_waitcnt lgkmcnt(0)
	s_barrier
	s_and_saveexec_b64 s[22:23], s[8:9]
	s_cbranch_execz .LBB22_14
; %bb.13:                               ;   in Loop: Header=BB22_6 Depth=1
	ds_read2st64_b64 v[10:13], v18 offset1:1
	s_waitcnt lgkmcnt(0)
	v_pk_add_f32 v[10:11], v[12:13], v[10:11]
	ds_write_b64 v18, v[10:11]
.LBB22_14:                              ;   in Loop: Header=BB22_6 Depth=1
	s_or_b64 exec, exec, s[22:23]
	s_waitcnt lgkmcnt(0)
	s_barrier
	s_and_saveexec_b64 s[22:23], s[10:11]
	s_cbranch_execz .LBB22_16
; %bb.15:                               ;   in Loop: Header=BB22_6 Depth=1
	ds_read2_b64 v[10:13], v18 offset1:32
	s_waitcnt lgkmcnt(0)
	v_pk_add_f32 v[10:11], v[12:13], v[10:11]
	ds_write_b64 v18, v[10:11]
.LBB22_16:                              ;   in Loop: Header=BB22_6 Depth=1
	s_or_b64 exec, exec, s[22:23]
	s_waitcnt lgkmcnt(0)
	s_barrier
	s_and_saveexec_b64 s[22:23], s[12:13]
	s_cbranch_execz .LBB22_18
; %bb.17:                               ;   in Loop: Header=BB22_6 Depth=1
	ds_read2_b64 v[10:13], v18 offset1:16
	s_waitcnt lgkmcnt(0)
	v_pk_add_f32 v[10:11], v[12:13], v[10:11]
	ds_write_b64 v18, v[10:11]
.LBB22_18:                              ;   in Loop: Header=BB22_6 Depth=1
	;; [unrolled: 11-line block ×6, first 2 shown]
	s_or_b64 exec, exec, s[22:23]
	s_waitcnt lgkmcnt(0)
	s_barrier
	s_and_saveexec_b64 s[22:23], s[20:21]
	s_cbranch_execz .LBB22_5
; %bb.27:                               ;   in Loop: Header=BB22_6 Depth=1
	ds_read_b64 v[10:11], v19
	s_and_saveexec_b64 s[58:59], s[48:49]
	s_cbranch_execz .LBB22_4
; %bb.28:                               ;   in Loop: Header=BB22_6 Depth=1
	s_lshl_b64 s[60:61], s[56:57], 3
	s_add_u32 s60, s34, s60
	s_addc_u32 s61, s35, s61
	global_load_dwordx2 v[12:13], v19, s[60:61]
	s_waitcnt vmcnt(0) lgkmcnt(0)
	v_pk_fma_f32 v[10:11], v[2:3], v[12:13], v[10:11] op_sel_hi:[1,0,1]
	s_nop 0
	v_pk_fma_f32 v[10:11], v[8:9], v[12:13], v[10:11] op_sel:[0,1,0]
	s_branch .LBB22_4
.LBB22_29:
	s_mov_b64 s[22:23], 0
.LBB22_30:
	s_and_b64 vcc, exec, s[22:23]
	s_cbranch_vccz .LBB22_67
; %bb.31:
	s_load_dwordx2 s[8:9], s[0:1], 0x10
	s_sub_i32 s2, s2, s33
	v_mov_b32_e32 v6, 0
	v_or_b32_e32 v7, s33, v0
	v_cmp_eq_u32_e32 vcc, 0, v7
	s_waitcnt lgkmcnt(0)
	s_add_u32 s0, s8, s46
	s_addc_u32 s1, s9, s47
	global_load_dword v1, v6, s[0:1]
	v_mov_b32_e32 v7, v6
	s_and_saveexec_b64 s[10:11], vcc
	s_cbranch_execz .LBB22_35
; %bb.32:
	s_lshl_b64 s[14:15], s[44:45], 3
	s_add_u32 s14, s34, s14
	s_addc_u32 s15, s35, s15
	global_load_dwordx2 v[6:7], v6, s[14:15]
	s_mov_b64 s[12:13], exec
	v_mbcnt_lo_u32_b32 v12, s12, 0
	v_add_f32_e32 v11, -1.0, v2
	v_xor_b32_e32 v10, 0x80000000, v3
	v_mbcnt_hi_u32_b32 v12, s13, v12
	v_mov_b32_e32 v9, v3
	v_mov_b32_e32 v8, v11
	v_cmp_eq_u32_e32 vcc, 0, v12
	s_waitcnt vmcnt(0) expcnt(0) lgkmcnt(0)
	v_pk_mul_f32 v[10:11], v[6:7], v[10:11] op_sel:[1,0]
	s_and_saveexec_b64 s[14:15], vcc
	s_cbranch_execz .LBB22_34
; %bb.33:
	s_ashr_i32 s3, s2, 31
	s_lshl_b64 s[16:17], s[2:3], 2
	s_add_u32 s16, s8, s16
	s_addc_u32 s17, s9, s17
	s_bcnt1_i32_b64 s3, s[12:13]
	s_and_b32 s3, s3, 1
	v_mov_b32_e32 v12, 0
	v_mov_b32_e32 v13, s3
	global_atomic_xor v12, v13, s[16:17]
.LBB22_34:
	s_or_b64 exec, exec, s[14:15]
	v_pk_fma_f32 v[6:7], v[8:9], v[6:7], v[10:11] op_sel_hi:[1,0,1]
.LBB22_35:
	s_or_b64 exec, exec, s[10:11]
	s_load_dword s10, s[40:41], 0x4
	s_mul_i32 s3, s33, 0xc00
	s_sub_i32 s11, s36, s42
	s_add_i32 s3, s11, s3
	v_add_u32_e32 v8, s3, v0
	s_waitcnt lgkmcnt(0)
	s_sub_i32 s12, s10, s42
	v_cmp_gt_i32_e32 vcc, s12, v8
	s_and_saveexec_b64 s[10:11], vcc
	s_cbranch_execz .LBB22_39
; %bb.36:
	v_ashrrev_i32_e32 v9, 31, v8
	s_addk_i32 s3, 0xc00
	v_lshl_add_u64 v[12:13], v[8:9], 3, s[28:29]
	s_min_i32 s3, s3, s12
	v_xor_b32_e32 v10, 0x80000000, v5
	v_mov_b32_e32 v11, v4
	v_lshl_add_u64 v[12:13], v[12:13], 0, 4
	v_lshl_add_u64 v[14:15], v[8:9], 2, s[26:27]
	s_mov_b64 s[12:13], 0
	s_mov_b64 s[14:15], 0x800
	;; [unrolled: 1-line block ×3, first 2 shown]
.LBB22_37:                              ; =>This Inner Loop Header: Depth=1
	global_load_dword v9, v[14:15], off
	global_load_dwordx2 v[16:17], v[12:13], off offset:-4
	v_add_u32_e32 v8, 0x100, v8
	v_cmp_le_i32_e32 vcc, s3, v8
	v_lshl_add_u64 v[12:13], v[12:13], 0, s[14:15]
	v_lshl_add_u64 v[14:15], v[14:15], 0, s[16:17]
	s_or_b64 s[12:13], vcc, s[12:13]
	s_waitcnt vmcnt(1)
	v_subrev_u32_e32 v18, s42, v9
	v_ashrrev_i32_e32 v19, 31, v18
	v_lshl_add_u64 v[18:19], v[18:19], 3, s[30:31]
	global_load_dwordx2 v[18:19], v[18:19], off
	s_waitcnt vmcnt(1)
	v_cndmask_b32_e64 v20, v17, -v17, s[4:5]
	v_pk_mul_f32 v[20:21], v[20:21], v[10:11] op_sel_hi:[0,1]
	v_pk_fma_f32 v[16:17], v[4:5], v[16:17], v[20:21] op_sel_hi:[1,0,1]
	s_nop 0
	v_xor_b32_e32 v20, 0x80000000, v17
	v_mov_b32_e32 v21, v16
	s_waitcnt vmcnt(0)
	v_pk_fma_f32 v[6:7], v[16:17], v[18:19], v[6:7] op_sel_hi:[1,0,1]
	s_nop 0
	v_pk_fma_f32 v[6:7], v[20:21], v[18:19], v[6:7] op_sel:[0,1,0]
	s_andn2_b64 exec, exec, s[12:13]
	s_cbranch_execnz .LBB22_37
; %bb.38:
	s_or_b64 exec, exec, s[12:13]
.LBB22_39:
	s_or_b64 exec, exec, s[10:11]
	s_movk_i32 s3, 0x80
	v_lshlrev_b32_e32 v8, 3, v0
	v_cmp_gt_u32_e32 vcc, s3, v0
	ds_write_b64 v8, v[6:7]
	s_waitcnt lgkmcnt(0)
	s_barrier
	s_and_saveexec_b64 s[10:11], vcc
	s_cbranch_execz .LBB22_41
; %bb.40:
	ds_read2st64_b64 v[10:13], v8 offset1:2
	s_waitcnt lgkmcnt(0)
	v_pk_add_f32 v[6:7], v[12:13], v[10:11]
	ds_write_b64 v8, v[6:7]
.LBB22_41:
	s_or_b64 exec, exec, s[10:11]
	v_cmp_gt_u32_e32 vcc, 64, v0
	s_waitcnt lgkmcnt(0)
	s_barrier
	s_and_saveexec_b64 s[10:11], vcc
	s_cbranch_execz .LBB22_43
; %bb.42:
	ds_read2st64_b64 v[10:13], v8 offset1:1
	s_waitcnt lgkmcnt(0)
	v_pk_add_f32 v[6:7], v[12:13], v[10:11]
	ds_write_b64 v8, v[6:7]
.LBB22_43:
	s_or_b64 exec, exec, s[10:11]
	v_cmp_gt_u32_e32 vcc, 32, v0
	s_waitcnt lgkmcnt(0)
	s_barrier
	s_and_saveexec_b64 s[10:11], vcc
	s_cbranch_execz .LBB22_45
; %bb.44:
	ds_read2_b64 v[10:13], v8 offset1:32
	s_waitcnt lgkmcnt(0)
	v_pk_add_f32 v[6:7], v[12:13], v[10:11]
	ds_write_b64 v8, v[6:7]
.LBB22_45:
	s_or_b64 exec, exec, s[10:11]
	v_cmp_gt_u32_e32 vcc, 16, v0
	s_waitcnt lgkmcnt(0)
	s_barrier
	s_and_saveexec_b64 s[10:11], vcc
	s_cbranch_execz .LBB22_47
; %bb.46:
	ds_read2_b64 v[10:13], v8 offset1:16
	s_waitcnt lgkmcnt(0)
	v_pk_add_f32 v[6:7], v[12:13], v[10:11]
	ds_write_b64 v8, v[6:7]
.LBB22_47:
	;; [unrolled: 12-line block ×5, first 2 shown]
	s_or_b64 exec, exec, s[10:11]
	v_cmp_eq_u32_e32 vcc, 0, v0
	s_waitcnt lgkmcnt(0)
	s_barrier
	s_and_saveexec_b64 s[10:11], vcc
	s_cbranch_execz .LBB22_55
; %bb.54:
	v_mov_b32_e32 v10, 0
	ds_read2_b64 v[6:9], v10 offset1:1
	s_waitcnt lgkmcnt(0)
	v_pk_add_f32 v[6:7], v[8:9], v[6:7]
	ds_write_b64 v10, v[6:7]
.LBB22_55:
	s_or_b64 exec, exec, s[10:11]
	s_waitcnt lgkmcnt(0)
	s_barrier
	s_and_saveexec_b64 s[10:11], vcc
	s_cbranch_execz .LBB22_66
; %bb.56:
	s_cmp_eq_u32 s33, 0
	s_cbranch_scc1 .LBB22_62
; %bb.57:
	s_ashr_i32 s3, s2, 31
	s_lshl_b64 s[2:3], s[2:3], 2
	s_add_u32 s2, s8, s2
	s_addc_u32 s3, s9, s3
	v_mov_b32_e32 v6, 0
	s_branch .LBB22_59
.LBB22_58:                              ;   in Loop: Header=BB22_59 Depth=1
	s_or_b64 exec, exec, s[8:9]
	s_waitcnt vmcnt(0)
	v_readfirstlane_b32 s8, v7
	s_nop 1
	v_cmp_eq_u32_e32 vcc, s8, v1
	s_cbranch_vccz .LBB22_61
.LBB22_59:                              ; =>This Inner Loop Header: Depth=1
	v_mbcnt_lo_u32_b32 v7, exec_lo, 0
	v_mbcnt_hi_u32_b32 v7, exec_hi, v7
	v_cmp_eq_u32_e32 vcc, 0, v7
                                        ; implicit-def: $vgpr7
	s_and_saveexec_b64 s[8:9], vcc
	s_cbranch_execz .LBB22_58
; %bb.60:                               ;   in Loop: Header=BB22_59 Depth=1
	global_load_dword v7, v6, s[2:3] sc1
	s_branch .LBB22_58
.LBB22_61:
	v_mov_b32_e32 v1, 0
	global_load_ushort v6, v1, s[0:1]
	s_waitcnt vmcnt(0)
	v_xor_b32_e32 v6, 1, v6
	global_store_short v1, v6, s[0:1]
.LBB22_62:
	s_waitcnt vmcnt(0)
	v_mov_b32_e32 v1, 0
	ds_read_b64 v[6:7], v1
	s_mov_b64 s[2:3], exec
	s_lshl_b64 s[0:1], s[44:45], 3
	v_mbcnt_lo_u32_b32 v8, s2, 0
	s_add_u32 s0, s34, s0
	v_mbcnt_hi_u32_b32 v8, s3, v8
	s_addc_u32 s1, s35, s1
	v_cmp_eq_u32_e32 vcc, 0, v8
	s_and_saveexec_b64 s[8:9], vcc
	s_cbranch_execz .LBB22_64
; %bb.63:
	s_bcnt1_i32_b64 s2, s[2:3]
	v_cvt_f32_ubyte0_e32 v8, s2
	s_waitcnt lgkmcnt(0)
	v_mul_f32_e32 v6, v6, v8
	global_atomic_add_f32 v1, v6, s[0:1]
.LBB22_64:
	s_or_b64 exec, exec, s[8:9]
	s_mov_b64 s[2:3], exec
	v_mbcnt_lo_u32_b32 v1, s2, 0
	v_mbcnt_hi_u32_b32 v1, s3, v1
	v_cmp_eq_u32_e32 vcc, 0, v1
	s_and_b64 s[8:9], exec, vcc
	s_mov_b64 exec, s[8:9]
	s_cbranch_execz .LBB22_66
; %bb.65:
	s_bcnt1_i32_b64 s2, s[2:3]
	v_cvt_f32_ubyte0_e32 v1, s2
	s_waitcnt lgkmcnt(0)
	v_mul_f32_e32 v1, v7, v1
	v_mov_b32_e32 v6, 0
	global_atomic_add_f32 v6, v1, s[0:1] offset:4
.LBB22_66:
	s_or_b64 exec, exec, s[10:11]
.LBB22_67:
	s_mov_b64 s[8:9], 0
.LBB22_68:
	s_andn2_b64 vcc, exec, s[8:9]
	s_cbranch_vccnz .LBB22_119
; %bb.69:
	s_waitcnt vmcnt(0)
	v_subrev_u32_e32 v1, s42, v0
	s_waitcnt lgkmcnt(0)
	v_add_u32_e32 v6, s36, v1
	v_add_u32_e32 v1, 0x300, v6
	v_cmp_le_i32_e32 vcc, s37, v1
	s_and_saveexec_b64 s[0:1], vcc
	s_xor_b64 s[0:1], exec, s[0:1]
	s_cbranch_execz .LBB22_81
; %bb.70:
	s_ashr_i32 s3, s39, 31
	s_mov_b32 s2, s39
	s_lshl_b64 s[2:3], s[2:3], 2
	s_add_u32 s2, s24, s2
	s_addc_u32 s3, s25, s3
	s_load_dword s2, s[2:3], 0x0
	s_waitcnt lgkmcnt(0)
	s_sub_i32 s16, s2, s42
	v_cmp_gt_i32_e32 vcc, s16, v6
	s_and_saveexec_b64 s[2:3], vcc
	s_cbranch_execz .LBB22_80
; %bb.71:
	v_add_u32_e32 v1, s36, v0
	v_subrev_u32_e32 v1, s42, v1
	v_add_u32_e32 v1, 0x100, v1
	v_max_i32_e32 v1, s16, v1
	v_not_b32_e32 v7, v0
	v_add3_u32 v1, s42, v1, v7
	v_subrev_u32_e32 v7, s36, v1
	s_movk_i32 s8, 0xb00
	s_movk_i32 s10, 0xaff
	v_cmp_gt_u32_e64 s[8:9], s8, v7
	v_cmp_lt_u32_e32 vcc, s10, v7
	v_mov_b32_e32 v1, 0
	s_and_saveexec_b64 s[10:11], vcc
	s_cbranch_execz .LBB22_77
; %bb.72:
	v_and_b32_e32 v1, 0xffffff00, v7
	v_add_u32_e32 v1, v6, v1
	v_cmp_ge_i32_e32 vcc, v1, v6
	s_mov_b64 s[14:15], -1
	v_mov_b32_e32 v1, 0
	s_and_saveexec_b64 s[12:13], vcc
	s_cbranch_execz .LBB22_76
; %bb.73:
	v_lshrrev_b32_e32 v1, 8, v7
	v_add_u32_e32 v7, 1, v1
	v_and_b32_e32 v14, 0x1fffffe, v7
	v_xor_b32_e32 v8, 0x80000000, v5
	v_lshlrev_b32_e32 v15, 3, v0
	v_mov_b32_e32 v9, v8
	v_mov_b32_e32 v1, v6
	;; [unrolled: 1-line block ×6, first 2 shown]
	s_mov_b32 s17, s42
	s_movk_i32 s18, 0x100
	s_mov_b32 s19, 0
	s_mov_b64 s[14:15], 0
	v_mov_b32_e32 v16, v14
.LBB22_74:                              ; =>This Inner Loop Header: Depth=1
	v_add_u32_e32 v18, s19, v6
	v_add_u32_e32 v20, s18, v1
	v_ashrrev_i32_e32 v19, 31, v18
	v_ashrrev_i32_e32 v21, 31, v20
	v_lshl_add_u64 v[22:23], v[18:19], 2, s[26:27]
	v_lshl_add_u64 v[24:25], v[20:21], 2, s[26:27]
	global_load_dword v17, v[22:23], off
	global_load_dword v26, v[24:25], off
	v_lshl_add_u64 v[18:19], v[18:19], 3, s[28:29]
	v_lshl_add_u64 v[20:21], v[20:21], 3, s[28:29]
	global_load_dwordx2 v[22:23], v[18:19], off
	global_load_dwordx2 v[24:25], v[20:21], off
	v_add_u32_e32 v16, -2, v16
	s_addk_i32 s19, 0x200
	s_addk_i32 s18, 0x200
	v_cmp_eq_u32_e32 vcc, 0, v16
	s_or_b64 s[14:15], vcc, s[14:15]
	s_waitcnt vmcnt(3)
	v_subrev_u32_e32 v18, s42, v17
	s_waitcnt vmcnt(2)
	v_subrev_u32_e32 v20, s17, v26
	v_ashrrev_i32_e32 v19, 31, v18
	v_ashrrev_i32_e32 v21, 31, v20
	v_lshl_add_u64 v[18:19], v[18:19], 3, s[30:31]
	v_lshl_add_u64 v[20:21], v[20:21], 3, s[30:31]
	global_load_dwordx2 v[28:29], v[18:19], off
	global_load_dwordx2 v[26:27], v[20:21], off
	s_waitcnt vmcnt(2)
	v_mov_b32_e32 v19, v24
	v_mov_b32_e32 v24, v23
	v_pk_add_f32 v[20:21], v[24:25], 0 neg_lo:[1,1] neg_hi:[1,1]
	v_mov_b32_e32 v18, v22
	v_cndmask_b32_e64 v21, v25, v21, s[4:5]
	v_cndmask_b32_e64 v20, v23, v20, s[4:5]
	v_pk_mul_f32 v[22:23], v[20:21], v[8:9]
	v_pk_mul_f32 v[20:21], v[10:11], v[20:21]
	v_pk_fma_f32 v[22:23], v[10:11], v[18:19], v[22:23]
	v_pk_fma_f32 v[18:19], v[12:13], v[18:19], v[20:21]
	s_waitcnt vmcnt(1)
	v_mov_b32_e32 v20, v28
	s_waitcnt vmcnt(0)
	v_mov_b32_e32 v21, v26
	v_mov_b32_e32 v26, v29
	v_pk_mul_f32 v[24:25], v[26:27], v[18:19] neg_lo:[0,1] neg_hi:[0,1]
	v_pk_mul_f32 v[26:27], v[26:27], v[22:23]
	v_pk_fma_f32 v[22:23], v[22:23], v[20:21], v[24:25]
	v_pk_fma_f32 v[18:19], v[18:19], v[20:21], v[26:27]
	v_mov_b32_e32 v20, v22
	v_mov_b32_e32 v21, v18
	;; [unrolled: 1-line block ×3, first 2 shown]
	ds_write2st64_b64 v15, v[20:21], v[18:19] offset1:4
	v_add_u32_e32 v15, 0x1000, v15
	s_andn2_b64 exec, exec, s[14:15]
	s_cbranch_execnz .LBB22_74
; %bb.75:
	s_or_b64 exec, exec, s[14:15]
	v_cmp_ne_u32_e32 vcc, v7, v14
	v_lshlrev_b32_e32 v1, 8, v14
	s_orn2_b64 s[14:15], vcc, exec
.LBB22_76:
	s_or_b64 exec, exec, s[12:13]
	s_andn2_b64 s[8:9], s[8:9], exec
	s_and_b64 s[12:13], s[14:15], exec
	s_or_b64 s[8:9], s[8:9], s[12:13]
.LBB22_77:
	s_or_b64 exec, exec, s[10:11]
	s_and_b64 exec, exec, s[8:9]
	s_cbranch_execz .LBB22_80
; %bb.78:
	v_add3_u32 v8, v0, v1, s36
	v_lshlrev_b32_e32 v1, 3, v1
	v_xor_b32_e32 v6, 0x80000000, v5
	v_mov_b32_e32 v7, v4
	v_subrev_u32_e32 v8, s42, v8
	v_lshl_add_u32 v1, v0, 3, v1
	s_mov_b64 s[8:9], 0
.LBB22_79:                              ; =>This Inner Loop Header: Depth=1
	v_ashrrev_i32_e32 v9, 31, v8
	v_lshl_add_u64 v[10:11], v[8:9], 2, s[26:27]
	global_load_dword v12, v[10:11], off
	v_lshl_add_u64 v[10:11], v[8:9], 3, s[28:29]
	global_load_dwordx2 v[10:11], v[10:11], off
	v_add_u32_e32 v8, 0x100, v8
	v_cmp_le_i32_e32 vcc, s16, v8
	s_or_b64 s[8:9], vcc, s[8:9]
	s_waitcnt vmcnt(1)
	v_subrev_u32_e32 v12, s42, v12
	v_ashrrev_i32_e32 v13, 31, v12
	v_lshl_add_u64 v[12:13], v[12:13], 3, s[30:31]
	global_load_dwordx2 v[12:13], v[12:13], off
	s_waitcnt vmcnt(1)
	v_cndmask_b32_e64 v14, v11, -v11, s[4:5]
	v_pk_mul_f32 v[14:15], v[14:15], v[6:7] op_sel_hi:[0,1]
	v_pk_fma_f32 v[10:11], v[4:5], v[10:11], v[14:15] op_sel_hi:[1,0,1]
	s_nop 0
	v_xor_b32_e32 v14, 0x80000000, v11
	v_mov_b32_e32 v15, v10
	s_waitcnt vmcnt(0)
	v_pk_mul_f32 v[14:15], v[12:13], v[14:15] op_sel:[1,0]
	s_nop 0
	v_pk_fma_f32 v[10:11], v[10:11], v[12:13], v[14:15] op_sel_hi:[1,0,1]
	ds_write_b64 v1, v[10:11]
	v_add_u32_e32 v1, 0x800, v1
	s_andn2_b64 exec, exec, s[8:9]
	s_cbranch_execnz .LBB22_79
.LBB22_80:
	s_or_b64 exec, exec, s[2:3]
                                        ; implicit-def: $vgpr4_vgpr5
                                        ; implicit-def: $vgpr6
.LBB22_81:
	s_or_saveexec_b64 s[0:1], s[0:1]
	v_lshlrev_b32_e32 v12, 3, v0
	s_xor_b64 exec, exec, s[0:1]
	s_cbranch_execz .LBB22_83
; %bb.82:
	v_ashrrev_i32_e32 v7, 31, v6
	v_lshl_add_u64 v[8:9], v[6:7], 2, s[26:27]
	global_load_dword v1, v[8:9], off
	global_load_dword v13, v[8:9], off offset:1024
	global_load_dword v19, v[8:9], off offset:2048
	;; [unrolled: 1-line block ×3, first 2 shown]
	s_movk_i32 s2, 0x1000
	v_lshl_add_u64 v[6:7], v[6:7], 3, s[28:29]
	global_load_dwordx2 v[8:9], v[6:7], off
	global_load_dwordx2 v[10:11], v[6:7], off offset:2048
	v_add_co_u32_e32 v6, vcc, s2, v6
	s_waitcnt vmcnt(4)
	v_subrev_u32_e32 v18, s42, v13
	v_addc_co_u32_e32 v7, vcc, 0, v7, vcc
	global_load_dwordx2 v[14:15], v[6:7], off
	global_load_dwordx2 v[16:17], v[6:7], off offset:2048
	v_subrev_u32_e32 v6, s42, v1
	s_waitcnt vmcnt(5)
	v_subrev_u32_e32 v20, s42, v19
	s_waitcnt vmcnt(4)
	v_subrev_u32_e32 v22, s42, v21
	v_ashrrev_i32_e32 v7, 31, v6
	v_ashrrev_i32_e32 v19, 31, v18
	;; [unrolled: 1-line block ×4, first 2 shown]
	v_lshl_add_u64 v[6:7], v[6:7], 3, s[30:31]
	v_lshl_add_u64 v[18:19], v[18:19], 3, s[30:31]
	;; [unrolled: 1-line block ×4, first 2 shown]
	global_load_dwordx2 v[24:25], v[6:7], off
	global_load_dwordx2 v[26:27], v[18:19], off
	;; [unrolled: 1-line block ×4, first 2 shown]
	v_xor_b32_e32 v6, 0x80000000, v5
	v_mov_b32_e32 v7, v4
	s_waitcnt vmcnt(7)
	v_cndmask_b32_e64 v18, v9, -v9, s[4:5]
	s_waitcnt vmcnt(6)
	v_cndmask_b32_e64 v20, v11, -v11, s[4:5]
	v_pk_mul_f32 v[18:19], v[18:19], v[6:7] op_sel_hi:[0,1]
	v_pk_mul_f32 v[20:21], v[20:21], v[6:7] op_sel_hi:[0,1]
	v_pk_fma_f32 v[8:9], v[4:5], v[8:9], v[18:19] op_sel_hi:[1,0,1]
	v_pk_fma_f32 v[10:11], v[4:5], v[10:11], v[20:21] op_sel_hi:[1,0,1]
	v_xor_b32_e32 v20, 0x80000000, v9
	v_mov_b32_e32 v21, v8
	s_waitcnt vmcnt(5)
	v_cndmask_b32_e64 v22, v15, -v15, s[4:5]
	s_waitcnt vmcnt(4)
	v_cndmask_b32_e64 v32, v17, -v17, s[4:5]
	v_pk_mul_f32 v[18:19], v[22:23], v[6:7] op_sel_hi:[0,1]
	v_pk_mul_f32 v[6:7], v[32:33], v[6:7] op_sel_hi:[0,1]
	v_xor_b32_e32 v22, 0x80000000, v11
	v_mov_b32_e32 v23, v10
	v_pk_fma_f32 v[14:15], v[4:5], v[14:15], v[18:19] op_sel_hi:[1,0,1]
	v_pk_fma_f32 v[4:5], v[4:5], v[16:17], v[6:7] op_sel_hi:[1,0,1]
	v_xor_b32_e32 v6, 0x80000000, v15
	v_mov_b32_e32 v7, v14
	v_xor_b32_e32 v16, 0x80000000, v5
	v_mov_b32_e32 v17, v4
	s_waitcnt vmcnt(3)
	v_pk_mul_f32 v[18:19], v[24:25], v[20:21] op_sel:[1,0]
	s_waitcnt vmcnt(2)
	v_pk_mul_f32 v[20:21], v[26:27], v[22:23] op_sel:[1,0]
	;; [unrolled: 2-line block ×4, first 2 shown]
	v_pk_fma_f32 v[8:9], v[8:9], v[24:25], v[18:19] op_sel_hi:[1,0,1]
	v_pk_fma_f32 v[10:11], v[10:11], v[26:27], v[20:21] op_sel_hi:[1,0,1]
	v_pk_fma_f32 v[6:7], v[14:15], v[28:29], v[6:7] op_sel_hi:[1,0,1]
	v_pk_fma_f32 v[4:5], v[4:5], v[30:31], v[16:17] op_sel_hi:[1,0,1]
	ds_write2st64_b64 v12, v[8:9], v[10:11] offset1:4
	ds_write2st64_b64 v12, v[6:7], v[4:5] offset0:8 offset1:12
.LBB22_83:
	s_or_b64 exec, exec, s[0:1]
	s_cmp_lt_i32 s33, 2
	s_mov_b64 s[0:1], -1
	s_waitcnt lgkmcnt(0)
	s_barrier
	s_cbranch_scc0 .LBB22_94
; %bb.84:
	v_add_u32_e32 v4, s38, v0
	v_cmp_gt_i32_e32 vcc, s39, v4
	s_and_saveexec_b64 s[0:1], vcc
	s_cbranch_execz .LBB22_93
; %bb.85:
	v_cmp_neq_f32_e32 vcc, 0, v2
	s_lshl_b32 s4, s36, 3
	s_or_b64 s[2:3], vcc, s[6:7]
	v_xor_b32_e32 v6, 0x80000000, v3
	v_mov_b32_e32 v7, v2
	s_sub_i32 s12, 0, s4
	s_mov_b64 s[4:5], 0
	v_mov_b32_e32 v14, 0
	s_branch .LBB22_87
.LBB22_86:                              ;   in Loop: Header=BB22_87 Depth=1
	s_or_b64 exec, exec, s[8:9]
	v_add_u32_e32 v4, 0x100, v4
	v_cmp_le_i32_e32 vcc, s39, v4
	s_or_b64 s[4:5], vcc, s[4:5]
	global_store_dwordx2 v[10:11], v[8:9], off
	s_andn2_b64 exec, exec, s[4:5]
	s_cbranch_execz .LBB22_93
.LBB22_87:                              ; =>This Loop Header: Depth=1
                                        ;     Child Loop BB22_89 Depth 2
	v_ashrrev_i32_e32 v5, 31, v4
	v_lshl_add_u64 v[8:9], v[4:5], 2, s[24:25]
	global_load_dwordx2 v[10:11], v[8:9], off
	v_mov_b32_e32 v15, v14
	v_mov_b64_e32 v[8:9], v[14:15]
	s_waitcnt vmcnt(0)
	v_cmp_lt_i32_e32 vcc, v10, v11
	s_and_saveexec_b64 s[8:9], vcc
	s_cbranch_execz .LBB22_91
; %bb.88:                               ;   in Loop: Header=BB22_87 Depth=1
	v_mov_b32_e32 v8, 0
	v_subrev_u32_e32 v1, s36, v11
	v_subrev_u32_e32 v11, s36, v10
	v_lshl_add_u32 v10, v10, 3, s12
	s_mov_b64 s[10:11], 0
	v_mov_b32_e32 v9, v8
.LBB22_89:                              ;   Parent Loop BB22_87 Depth=1
                                        ; =>  This Inner Loop Header: Depth=2
	ds_read_b64 v[16:17], v10
	v_add_u32_e32 v11, 1, v11
	v_cmp_ge_i32_e32 vcc, v11, v1
	v_add_u32_e32 v10, 8, v10
	s_or_b64 s[10:11], vcc, s[10:11]
	s_waitcnt lgkmcnt(0)
	v_pk_add_f32 v[8:9], v[8:9], v[16:17]
	s_andn2_b64 exec, exec, s[10:11]
	s_cbranch_execnz .LBB22_89
; %bb.90:                               ;   in Loop: Header=BB22_87 Depth=1
	s_or_b64 exec, exec, s[10:11]
.LBB22_91:                              ;   in Loop: Header=BB22_87 Depth=1
	s_or_b64 exec, exec, s[8:9]
	v_lshl_add_u64 v[10:11], v[4:5], 3, s[34:35]
	s_and_saveexec_b64 s[8:9], s[2:3]
	s_cbranch_execz .LBB22_86
; %bb.92:                               ;   in Loop: Header=BB22_87 Depth=1
	global_load_dwordx2 v[16:17], v[10:11], off
	s_waitcnt vmcnt(0)
	v_pk_fma_f32 v[8:9], v[2:3], v[16:17], v[8:9] op_sel_hi:[1,0,1]
	s_nop 0
	v_pk_fma_f32 v[8:9], v[6:7], v[16:17], v[8:9] op_sel:[0,1,0]
	s_branch .LBB22_86
.LBB22_93:
	s_or_b64 exec, exec, s[0:1]
	s_mov_b64 s[0:1], 0
.LBB22_94:
	s_andn2_b64 vcc, exec, s[0:1]
	s_cbranch_vccnz .LBB22_119
; %bb.95:
	s_flbit_i32_b32 s0, s33
	s_xor_b32 s0, s0, 31
	v_lshrrev_b32_e32 v6, s0, v0
	s_add_i32 s0, s33, -1
	v_add_u32_e32 v4, s38, v6
	v_and_b32_e32 v5, s0, v0
	v_mov_b32_e32 v0, 0
	v_cmp_le_i32_e32 vcc, s39, v4
	v_cmp_gt_i32_e64 s[0:1], s39, v4
	v_mov_b32_e32 v1, v0
	s_and_saveexec_b64 s[2:3], s[0:1]
	s_cbranch_execz .LBB22_101
; %bb.96:
	v_lshlrev_b32_e32 v1, 2, v6
	global_load_dwordx2 v[8:9], v1, s[40:41]
	v_subrev_u32_e32 v1, s36, v5
	s_waitcnt vmcnt(0)
	v_subrev_u32_e32 v6, s36, v9
	v_add_u32_e32 v7, v8, v1
	v_cmp_lt_i32_e64 s[0:1], v7, v6
	v_mov_b32_e32 v1, v0
	s_and_saveexec_b64 s[4:5], s[0:1]
	s_cbranch_execz .LBB22_100
; %bb.97:
	v_mov_b32_e32 v0, 0
	v_lshlrev_b32_e32 v8, 3, v7
	s_lshl_b32 s10, s33, 3
	s_mov_b64 s[8:9], 0
	v_mov_b32_e32 v1, v0
.LBB22_98:                              ; =>This Inner Loop Header: Depth=1
	ds_read_b64 v[10:11], v8
	v_add_u32_e32 v7, s33, v7
	v_cmp_ge_i32_e64 s[0:1], v7, v6
	v_add_u32_e32 v8, s10, v8
	s_or_b64 s[8:9], s[0:1], s[8:9]
	s_waitcnt lgkmcnt(0)
	v_pk_add_f32 v[0:1], v[0:1], v[10:11]
	s_andn2_b64 exec, exec, s[8:9]
	s_cbranch_execnz .LBB22_98
; %bb.99:
	s_or_b64 exec, exec, s[8:9]
.LBB22_100:
	s_or_b64 exec, exec, s[4:5]
.LBB22_101:
	s_or_b64 exec, exec, s[2:3]
	s_cmpk_lt_u32 s33, 0x81
	s_barrier
	ds_write_b64 v12, v[0:1]
	s_waitcnt lgkmcnt(0)
	s_barrier
	s_cbranch_scc1 .LBB22_103
; %bb.102:
	ds_read_b64 v[6:7], v12 offset:1024
	s_waitcnt lgkmcnt(0)
	s_barrier
	v_pk_add_f32 v[0:1], v[0:1], v[6:7]
	ds_write_b64 v12, v[0:1]
.LBB22_103:
	s_cmpk_lt_u32 s33, 0x41
	s_waitcnt lgkmcnt(0)
	s_barrier
	s_cbranch_scc1 .LBB22_105
; %bb.104:
	ds_read_b64 v[6:7], v12 offset:512
	s_waitcnt lgkmcnt(0)
	s_barrier
	v_pk_add_f32 v[0:1], v[0:1], v[6:7]
	ds_write_b64 v12, v[0:1]
.LBB22_105:
	s_cmp_lt_u32 s33, 33
	s_waitcnt lgkmcnt(0)
	s_barrier
	s_cbranch_scc1 .LBB22_107
; %bb.106:
	ds_read_b64 v[6:7], v12 offset:256
	s_waitcnt lgkmcnt(0)
	s_barrier
	v_pk_add_f32 v[0:1], v[0:1], v[6:7]
	ds_write_b64 v12, v[0:1]
.LBB22_107:
	s_cmp_lt_u32 s33, 17
	;; [unrolled: 11-line block ×4, first 2 shown]
	s_waitcnt lgkmcnt(0)
	s_barrier
	s_cbranch_scc1 .LBB22_113
; %bb.112:
	ds_read_b64 v[6:7], v12 offset:32
	s_waitcnt lgkmcnt(0)
	s_barrier
	v_pk_add_f32 v[0:1], v[0:1], v[6:7]
	ds_write_b64 v12, v[0:1]
.LBB22_113:
	s_cmp_eq_u32 s33, 2
	s_waitcnt lgkmcnt(0)
	s_barrier
	s_cbranch_scc1 .LBB22_115
; %bb.114:
	ds_read_b64 v[6:7], v12 offset:16
	s_waitcnt lgkmcnt(0)
	s_barrier
	v_pk_add_f32 v[0:1], v[0:1], v[6:7]
	ds_write_b64 v12, v[0:1]
.LBB22_115:
	s_waitcnt lgkmcnt(0)
	s_barrier
	ds_read_b64 v[6:7], v12 offset:8
	v_cmp_eq_u32_e64 s[0:1], 0, v5
	s_xor_b64 s[2:3], vcc, -1
	s_and_b64 s[0:1], s[0:1], s[2:3]
	s_waitcnt lgkmcnt(0)
	v_pk_add_f32 v[0:1], v[0:1], v[6:7]
	s_barrier
	ds_write_b64 v12, v[0:1]
	s_and_b64 exec, exec, s[0:1]
	s_cbranch_execz .LBB22_119
; %bb.116:
	v_ashrrev_i32_e32 v5, 31, v4
	v_cmp_neq_f32_e32 vcc, 0, v2
	s_or_b64 s[2:3], vcc, s[6:7]
	v_lshl_add_u64 v[4:5], v[4:5], 3, s[34:35]
	s_and_saveexec_b64 s[0:1], s[2:3]
	s_cbranch_execz .LBB22_118
; %bb.117:
	global_load_dwordx2 v[6:7], v[4:5], off
	v_xor_b32_e32 v8, 0x80000000, v3
	v_mov_b32_e32 v9, v2
	s_waitcnt vmcnt(0)
	v_pk_fma_f32 v[0:1], v[2:3], v[6:7], v[0:1] op_sel_hi:[1,0,1]
	s_nop 0
	v_pk_fma_f32 v[0:1], v[8:9], v[6:7], v[0:1] op_sel:[0,1,0]
.LBB22_118:
	s_or_b64 exec, exec, s[0:1]
	global_store_dwordx2 v[4:5], v[0:1], off
.LBB22_119:
	s_endpgm
	.section	.rodata,"a",@progbits
	.p2align	6, 0x0
	.amdhsa_kernel _ZN9rocsparseL22csrmvn_adaptive_kernelIii21rocsparse_complex_numIfES2_S2_S2_EEvbT_PKS3_PjPKT0_NS_24const_host_device_scalarIT4_EES5_S9_PKT1_PKT2_SC_PT3_21rocsparse_index_base_b
		.amdhsa_group_segment_fixed_size 8192
		.amdhsa_private_segment_fixed_size 0
		.amdhsa_kernarg_size 96
		.amdhsa_user_sgpr_count 2
		.amdhsa_user_sgpr_dispatch_ptr 0
		.amdhsa_user_sgpr_queue_ptr 0
		.amdhsa_user_sgpr_kernarg_segment_ptr 1
		.amdhsa_user_sgpr_dispatch_id 0
		.amdhsa_user_sgpr_kernarg_preload_length 0
		.amdhsa_user_sgpr_kernarg_preload_offset 0
		.amdhsa_user_sgpr_private_segment_size 0
		.amdhsa_uses_dynamic_stack 0
		.amdhsa_enable_private_segment 0
		.amdhsa_system_sgpr_workgroup_id_x 1
		.amdhsa_system_sgpr_workgroup_id_y 0
		.amdhsa_system_sgpr_workgroup_id_z 0
		.amdhsa_system_sgpr_workgroup_info 0
		.amdhsa_system_vgpr_workitem_id 0
		.amdhsa_next_free_vgpr 34
		.amdhsa_next_free_sgpr 62
		.amdhsa_accum_offset 36
		.amdhsa_reserve_vcc 1
		.amdhsa_float_round_mode_32 0
		.amdhsa_float_round_mode_16_64 0
		.amdhsa_float_denorm_mode_32 3
		.amdhsa_float_denorm_mode_16_64 3
		.amdhsa_dx10_clamp 1
		.amdhsa_ieee_mode 1
		.amdhsa_fp16_overflow 0
		.amdhsa_tg_split 0
		.amdhsa_exception_fp_ieee_invalid_op 0
		.amdhsa_exception_fp_denorm_src 0
		.amdhsa_exception_fp_ieee_div_zero 0
		.amdhsa_exception_fp_ieee_overflow 0
		.amdhsa_exception_fp_ieee_underflow 0
		.amdhsa_exception_fp_ieee_inexact 0
		.amdhsa_exception_int_div_zero 0
	.end_amdhsa_kernel
	.section	.text._ZN9rocsparseL22csrmvn_adaptive_kernelIii21rocsparse_complex_numIfES2_S2_S2_EEvbT_PKS3_PjPKT0_NS_24const_host_device_scalarIT4_EES5_S9_PKT1_PKT2_SC_PT3_21rocsparse_index_base_b,"axG",@progbits,_ZN9rocsparseL22csrmvn_adaptive_kernelIii21rocsparse_complex_numIfES2_S2_S2_EEvbT_PKS3_PjPKT0_NS_24const_host_device_scalarIT4_EES5_S9_PKT1_PKT2_SC_PT3_21rocsparse_index_base_b,comdat
.Lfunc_end22:
	.size	_ZN9rocsparseL22csrmvn_adaptive_kernelIii21rocsparse_complex_numIfES2_S2_S2_EEvbT_PKS3_PjPKT0_NS_24const_host_device_scalarIT4_EES5_S9_PKT1_PKT2_SC_PT3_21rocsparse_index_base_b, .Lfunc_end22-_ZN9rocsparseL22csrmvn_adaptive_kernelIii21rocsparse_complex_numIfES2_S2_S2_EEvbT_PKS3_PjPKT0_NS_24const_host_device_scalarIT4_EES5_S9_PKT1_PKT2_SC_PT3_21rocsparse_index_base_b
                                        ; -- End function
	.set _ZN9rocsparseL22csrmvn_adaptive_kernelIii21rocsparse_complex_numIfES2_S2_S2_EEvbT_PKS3_PjPKT0_NS_24const_host_device_scalarIT4_EES5_S9_PKT1_PKT2_SC_PT3_21rocsparse_index_base_b.num_vgpr, 34
	.set _ZN9rocsparseL22csrmvn_adaptive_kernelIii21rocsparse_complex_numIfES2_S2_S2_EEvbT_PKS3_PjPKT0_NS_24const_host_device_scalarIT4_EES5_S9_PKT1_PKT2_SC_PT3_21rocsparse_index_base_b.num_agpr, 0
	.set _ZN9rocsparseL22csrmvn_adaptive_kernelIii21rocsparse_complex_numIfES2_S2_S2_EEvbT_PKS3_PjPKT0_NS_24const_host_device_scalarIT4_EES5_S9_PKT1_PKT2_SC_PT3_21rocsparse_index_base_b.numbered_sgpr, 62
	.set _ZN9rocsparseL22csrmvn_adaptive_kernelIii21rocsparse_complex_numIfES2_S2_S2_EEvbT_PKS3_PjPKT0_NS_24const_host_device_scalarIT4_EES5_S9_PKT1_PKT2_SC_PT3_21rocsparse_index_base_b.num_named_barrier, 0
	.set _ZN9rocsparseL22csrmvn_adaptive_kernelIii21rocsparse_complex_numIfES2_S2_S2_EEvbT_PKS3_PjPKT0_NS_24const_host_device_scalarIT4_EES5_S9_PKT1_PKT2_SC_PT3_21rocsparse_index_base_b.private_seg_size, 0
	.set _ZN9rocsparseL22csrmvn_adaptive_kernelIii21rocsparse_complex_numIfES2_S2_S2_EEvbT_PKS3_PjPKT0_NS_24const_host_device_scalarIT4_EES5_S9_PKT1_PKT2_SC_PT3_21rocsparse_index_base_b.uses_vcc, 1
	.set _ZN9rocsparseL22csrmvn_adaptive_kernelIii21rocsparse_complex_numIfES2_S2_S2_EEvbT_PKS3_PjPKT0_NS_24const_host_device_scalarIT4_EES5_S9_PKT1_PKT2_SC_PT3_21rocsparse_index_base_b.uses_flat_scratch, 0
	.set _ZN9rocsparseL22csrmvn_adaptive_kernelIii21rocsparse_complex_numIfES2_S2_S2_EEvbT_PKS3_PjPKT0_NS_24const_host_device_scalarIT4_EES5_S9_PKT1_PKT2_SC_PT3_21rocsparse_index_base_b.has_dyn_sized_stack, 0
	.set _ZN9rocsparseL22csrmvn_adaptive_kernelIii21rocsparse_complex_numIfES2_S2_S2_EEvbT_PKS3_PjPKT0_NS_24const_host_device_scalarIT4_EES5_S9_PKT1_PKT2_SC_PT3_21rocsparse_index_base_b.has_recursion, 0
	.set _ZN9rocsparseL22csrmvn_adaptive_kernelIii21rocsparse_complex_numIfES2_S2_S2_EEvbT_PKS3_PjPKT0_NS_24const_host_device_scalarIT4_EES5_S9_PKT1_PKT2_SC_PT3_21rocsparse_index_base_b.has_indirect_call, 0
	.section	.AMDGPU.csdata,"",@progbits
; Kernel info:
; codeLenInByte = 4776
; TotalNumSgprs: 68
; NumVgprs: 34
; NumAgprs: 0
; TotalNumVgprs: 34
; ScratchSize: 0
; MemoryBound: 0
; FloatMode: 240
; IeeeMode: 1
; LDSByteSize: 8192 bytes/workgroup (compile time only)
; SGPRBlocks: 8
; VGPRBlocks: 4
; NumSGPRsForWavesPerEU: 68
; NumVGPRsForWavesPerEU: 34
; AccumOffset: 36
; Occupancy: 8
; WaveLimiterHint : 1
; COMPUTE_PGM_RSRC2:SCRATCH_EN: 0
; COMPUTE_PGM_RSRC2:USER_SGPR: 2
; COMPUTE_PGM_RSRC2:TRAP_HANDLER: 0
; COMPUTE_PGM_RSRC2:TGID_X_EN: 1
; COMPUTE_PGM_RSRC2:TGID_Y_EN: 0
; COMPUTE_PGM_RSRC2:TGID_Z_EN: 0
; COMPUTE_PGM_RSRC2:TIDIG_COMP_CNT: 0
; COMPUTE_PGM_RSRC3_GFX90A:ACCUM_OFFSET: 8
; COMPUTE_PGM_RSRC3_GFX90A:TG_SPLIT: 0
	.section	.text._ZN9rocsparseL22partial_scale_y_kernelIi21rocsparse_complex_numIfES2_EEvT_S3_S3_NS_24const_host_device_scalarIT1_EEPT0_b,"axG",@progbits,_ZN9rocsparseL22partial_scale_y_kernelIi21rocsparse_complex_numIfES2_EEvT_S3_S3_NS_24const_host_device_scalarIT1_EEPT0_b,comdat
	.globl	_ZN9rocsparseL22partial_scale_y_kernelIi21rocsparse_complex_numIfES2_EEvT_S3_S3_NS_24const_host_device_scalarIT1_EEPT0_b ; -- Begin function _ZN9rocsparseL22partial_scale_y_kernelIi21rocsparse_complex_numIfES2_EEvT_S3_S3_NS_24const_host_device_scalarIT1_EEPT0_b
	.p2align	8
	.type	_ZN9rocsparseL22partial_scale_y_kernelIi21rocsparse_complex_numIfES2_EEvT_S3_S3_NS_24const_host_device_scalarIT1_EEPT0_b,@function
_ZN9rocsparseL22partial_scale_y_kernelIi21rocsparse_complex_numIfES2_EEvT_S3_S3_NS_24const_host_device_scalarIT1_EEPT0_b: ; @_ZN9rocsparseL22partial_scale_y_kernelIi21rocsparse_complex_numIfES2_EEvT_S3_S3_NS_24const_host_device_scalarIT1_EEPT0_b
; %bb.0:
	s_load_dword s3, s[0:1], 0x20
	s_load_dwordx2 s[4:5], s[0:1], 0x10
	s_add_u32 s6, s0, 16
	s_addc_u32 s7, s1, 0
	s_waitcnt lgkmcnt(0)
	s_bitcmp1_b32 s3, 0
	s_cselect_b32 s3, s7, s5
	s_cselect_b32 s4, s6, s4
	v_mov_b32_e32 v2, s4
	v_mov_b32_e32 v3, s3
	flat_load_dwordx2 v[2:3], v[2:3]
	s_waitcnt vmcnt(0) lgkmcnt(0)
	v_cmp_neq_f32_e32 vcc, 1.0, v2
	v_cmp_neq_f32_e64 s[4:5], 0, v3
	s_or_b64 s[4:5], vcc, s[4:5]
	s_and_saveexec_b64 s[6:7], s[4:5]
	s_cbranch_execz .LBB23_13
; %bb.1:
	s_load_dwordx4 s[4:7], s[0:1], 0x0
	v_lshl_or_b32 v0, s2, 8, v0
	s_waitcnt lgkmcnt(0)
	s_add_i32 s2, s5, s4
	s_sub_i32 s2, s2, s6
	v_cmp_gt_i32_e32 vcc, s2, v0
	s_and_b64 exec, exec, vcc
	s_cbranch_execz .LBB23_13
; %bb.2:
	s_load_dwordx2 s[8:9], s[0:1], 0x18
	v_cmp_neq_f32_e64 s[0:1], 0, v2
	v_cmp_neq_f32_e64 s[2:3], 0, v3
	v_cmp_le_i32_e32 vcc, s5, v0
	s_or_b64 s[0:1], s[0:1], s[2:3]
	s_and_saveexec_b64 s[2:3], vcc
	s_xor_b64 s[2:3], exec, s[2:3]
	s_cbranch_execz .LBB23_8
; %bb.3:
	v_subrev_u32_e32 v0, s5, v0
	v_add_u32_e32 v0, s6, v0
	v_ashrrev_i32_e32 v1, 31, v0
	s_waitcnt lgkmcnt(0)
	v_lshl_add_u64 v[0:1], v[0:1], 3, s[8:9]
	s_and_saveexec_b64 s[4:5], s[0:1]
	s_xor_b64 s[4:5], exec, s[4:5]
	s_cbranch_execz .LBB23_5
; %bb.4:
	global_load_dwordx2 v[4:5], v[0:1], off
	v_mov_b32_e32 v6, v3
	s_waitcnt vmcnt(0)
	v_xor_b32_e32 v8, 0x80000000, v5
	v_mov_b32_e32 v9, v4
	v_pk_mul_f32 v[6:7], v[6:7], v[8:9] op_sel_hi:[0,1]
	v_pk_fma_f32 v[2:3], v[4:5], v[2:3], v[6:7] op_sel_hi:[1,0,1]
	global_store_dwordx2 v[0:1], v[2:3], off
                                        ; implicit-def: $vgpr0_vgpr1
.LBB23_5:
	s_andn2_saveexec_b64 s[4:5], s[4:5]
	s_cbranch_execz .LBB23_7
; %bb.6:
	v_mov_b32_e32 v2, 0
	v_mov_b32_e32 v3, v2
	global_store_dwordx2 v[0:1], v[2:3], off
.LBB23_7:
	s_or_b64 exec, exec, s[4:5]
                                        ; implicit-def: $vgpr0
                                        ; implicit-def: $vgpr3
.LBB23_8:
	s_andn2_saveexec_b64 s[2:3], s[2:3]
	s_cbranch_execz .LBB23_13
; %bb.9:
	v_ashrrev_i32_e32 v1, 31, v0
	s_waitcnt lgkmcnt(0)
	v_lshl_add_u64 v[0:1], v[0:1], 3, s[8:9]
	s_and_saveexec_b64 s[2:3], s[0:1]
	s_xor_b64 s[0:1], exec, s[2:3]
	s_cbranch_execz .LBB23_11
; %bb.10:
	global_load_dwordx2 v[4:5], v[0:1], off
	v_mov_b32_e32 v6, v3
	s_waitcnt vmcnt(0)
	v_xor_b32_e32 v8, 0x80000000, v5
	v_mov_b32_e32 v9, v4
	v_pk_mul_f32 v[6:7], v[6:7], v[8:9] op_sel_hi:[0,1]
	v_pk_fma_f32 v[2:3], v[4:5], v[2:3], v[6:7] op_sel_hi:[1,0,1]
	global_store_dwordx2 v[0:1], v[2:3], off
                                        ; implicit-def: $vgpr0_vgpr1
.LBB23_11:
	s_andn2_saveexec_b64 s[0:1], s[0:1]
	s_cbranch_execz .LBB23_13
; %bb.12:
	v_mov_b32_e32 v2, 0
	v_mov_b32_e32 v3, v2
	global_store_dwordx2 v[0:1], v[2:3], off
.LBB23_13:
	s_endpgm
	.section	.rodata,"a",@progbits
	.p2align	6, 0x0
	.amdhsa_kernel _ZN9rocsparseL22partial_scale_y_kernelIi21rocsparse_complex_numIfES2_EEvT_S3_S3_NS_24const_host_device_scalarIT1_EEPT0_b
		.amdhsa_group_segment_fixed_size 0
		.amdhsa_private_segment_fixed_size 0
		.amdhsa_kernarg_size 36
		.amdhsa_user_sgpr_count 2
		.amdhsa_user_sgpr_dispatch_ptr 0
		.amdhsa_user_sgpr_queue_ptr 0
		.amdhsa_user_sgpr_kernarg_segment_ptr 1
		.amdhsa_user_sgpr_dispatch_id 0
		.amdhsa_user_sgpr_kernarg_preload_length 0
		.amdhsa_user_sgpr_kernarg_preload_offset 0
		.amdhsa_user_sgpr_private_segment_size 0
		.amdhsa_uses_dynamic_stack 0
		.amdhsa_enable_private_segment 0
		.amdhsa_system_sgpr_workgroup_id_x 1
		.amdhsa_system_sgpr_workgroup_id_y 0
		.amdhsa_system_sgpr_workgroup_id_z 0
		.amdhsa_system_sgpr_workgroup_info 0
		.amdhsa_system_vgpr_workitem_id 0
		.amdhsa_next_free_vgpr 10
		.amdhsa_next_free_sgpr 10
		.amdhsa_accum_offset 12
		.amdhsa_reserve_vcc 1
		.amdhsa_float_round_mode_32 0
		.amdhsa_float_round_mode_16_64 0
		.amdhsa_float_denorm_mode_32 3
		.amdhsa_float_denorm_mode_16_64 3
		.amdhsa_dx10_clamp 1
		.amdhsa_ieee_mode 1
		.amdhsa_fp16_overflow 0
		.amdhsa_tg_split 0
		.amdhsa_exception_fp_ieee_invalid_op 0
		.amdhsa_exception_fp_denorm_src 0
		.amdhsa_exception_fp_ieee_div_zero 0
		.amdhsa_exception_fp_ieee_overflow 0
		.amdhsa_exception_fp_ieee_underflow 0
		.amdhsa_exception_fp_ieee_inexact 0
		.amdhsa_exception_int_div_zero 0
	.end_amdhsa_kernel
	.section	.text._ZN9rocsparseL22partial_scale_y_kernelIi21rocsparse_complex_numIfES2_EEvT_S3_S3_NS_24const_host_device_scalarIT1_EEPT0_b,"axG",@progbits,_ZN9rocsparseL22partial_scale_y_kernelIi21rocsparse_complex_numIfES2_EEvT_S3_S3_NS_24const_host_device_scalarIT1_EEPT0_b,comdat
.Lfunc_end23:
	.size	_ZN9rocsparseL22partial_scale_y_kernelIi21rocsparse_complex_numIfES2_EEvT_S3_S3_NS_24const_host_device_scalarIT1_EEPT0_b, .Lfunc_end23-_ZN9rocsparseL22partial_scale_y_kernelIi21rocsparse_complex_numIfES2_EEvT_S3_S3_NS_24const_host_device_scalarIT1_EEPT0_b
                                        ; -- End function
	.set _ZN9rocsparseL22partial_scale_y_kernelIi21rocsparse_complex_numIfES2_EEvT_S3_S3_NS_24const_host_device_scalarIT1_EEPT0_b.num_vgpr, 10
	.set _ZN9rocsparseL22partial_scale_y_kernelIi21rocsparse_complex_numIfES2_EEvT_S3_S3_NS_24const_host_device_scalarIT1_EEPT0_b.num_agpr, 0
	.set _ZN9rocsparseL22partial_scale_y_kernelIi21rocsparse_complex_numIfES2_EEvT_S3_S3_NS_24const_host_device_scalarIT1_EEPT0_b.numbered_sgpr, 10
	.set _ZN9rocsparseL22partial_scale_y_kernelIi21rocsparse_complex_numIfES2_EEvT_S3_S3_NS_24const_host_device_scalarIT1_EEPT0_b.num_named_barrier, 0
	.set _ZN9rocsparseL22partial_scale_y_kernelIi21rocsparse_complex_numIfES2_EEvT_S3_S3_NS_24const_host_device_scalarIT1_EEPT0_b.private_seg_size, 0
	.set _ZN9rocsparseL22partial_scale_y_kernelIi21rocsparse_complex_numIfES2_EEvT_S3_S3_NS_24const_host_device_scalarIT1_EEPT0_b.uses_vcc, 1
	.set _ZN9rocsparseL22partial_scale_y_kernelIi21rocsparse_complex_numIfES2_EEvT_S3_S3_NS_24const_host_device_scalarIT1_EEPT0_b.uses_flat_scratch, 0
	.set _ZN9rocsparseL22partial_scale_y_kernelIi21rocsparse_complex_numIfES2_EEvT_S3_S3_NS_24const_host_device_scalarIT1_EEPT0_b.has_dyn_sized_stack, 0
	.set _ZN9rocsparseL22partial_scale_y_kernelIi21rocsparse_complex_numIfES2_EEvT_S3_S3_NS_24const_host_device_scalarIT1_EEPT0_b.has_recursion, 0
	.set _ZN9rocsparseL22partial_scale_y_kernelIi21rocsparse_complex_numIfES2_EEvT_S3_S3_NS_24const_host_device_scalarIT1_EEPT0_b.has_indirect_call, 0
	.section	.AMDGPU.csdata,"",@progbits
; Kernel info:
; codeLenInByte = 400
; TotalNumSgprs: 16
; NumVgprs: 10
; NumAgprs: 0
; TotalNumVgprs: 10
; ScratchSize: 0
; MemoryBound: 0
; FloatMode: 240
; IeeeMode: 1
; LDSByteSize: 0 bytes/workgroup (compile time only)
; SGPRBlocks: 1
; VGPRBlocks: 1
; NumSGPRsForWavesPerEU: 16
; NumVGPRsForWavesPerEU: 10
; AccumOffset: 12
; Occupancy: 8
; WaveLimiterHint : 0
; COMPUTE_PGM_RSRC2:SCRATCH_EN: 0
; COMPUTE_PGM_RSRC2:USER_SGPR: 2
; COMPUTE_PGM_RSRC2:TRAP_HANDLER: 0
; COMPUTE_PGM_RSRC2:TGID_X_EN: 1
; COMPUTE_PGM_RSRC2:TGID_Y_EN: 0
; COMPUTE_PGM_RSRC2:TGID_Z_EN: 0
; COMPUTE_PGM_RSRC2:TIDIG_COMP_CNT: 0
; COMPUTE_PGM_RSRC3_GFX90A:ACCUM_OFFSET: 2
; COMPUTE_PGM_RSRC3_GFX90A:TG_SPLIT: 0
	.section	.text._ZN9rocsparseL27csrmvn_symm_adaptive_kernelIii21rocsparse_complex_numIfES2_S2_S2_EEvbT_S3_PKS3_NS_24const_host_device_scalarIT4_EES5_PKT0_PKT1_PKT2_S8_PT3_21rocsparse_index_base_b,"axG",@progbits,_ZN9rocsparseL27csrmvn_symm_adaptive_kernelIii21rocsparse_complex_numIfES2_S2_S2_EEvbT_S3_PKS3_NS_24const_host_device_scalarIT4_EES5_PKT0_PKT1_PKT2_S8_PT3_21rocsparse_index_base_b,comdat
	.globl	_ZN9rocsparseL27csrmvn_symm_adaptive_kernelIii21rocsparse_complex_numIfES2_S2_S2_EEvbT_S3_PKS3_NS_24const_host_device_scalarIT4_EES5_PKT0_PKT1_PKT2_S8_PT3_21rocsparse_index_base_b ; -- Begin function _ZN9rocsparseL27csrmvn_symm_adaptive_kernelIii21rocsparse_complex_numIfES2_S2_S2_EEvbT_S3_PKS3_NS_24const_host_device_scalarIT4_EES5_PKT0_PKT1_PKT2_S8_PT3_21rocsparse_index_base_b
	.p2align	8
	.type	_ZN9rocsparseL27csrmvn_symm_adaptive_kernelIii21rocsparse_complex_numIfES2_S2_S2_EEvbT_S3_PKS3_NS_24const_host_device_scalarIT4_EES5_PKT0_PKT1_PKT2_S8_PT3_21rocsparse_index_base_b,@function
_ZN9rocsparseL27csrmvn_symm_adaptive_kernelIii21rocsparse_complex_numIfES2_S2_S2_EEvbT_S3_PKS3_NS_24const_host_device_scalarIT4_EES5_PKT0_PKT1_PKT2_S8_PT3_21rocsparse_index_base_b: ; @_ZN9rocsparseL27csrmvn_symm_adaptive_kernelIii21rocsparse_complex_numIfES2_S2_S2_EEvbT_S3_PKS3_NS_24const_host_device_scalarIT4_EES5_PKT0_PKT1_PKT2_S8_PT3_21rocsparse_index_base_b
; %bb.0:
	s_load_dwordx2 s[28:29], s[0:1], 0x50
	s_load_dwordx2 s[4:5], s[0:1], 0x18
	s_add_u32 s3, s0, 24
	s_addc_u32 s10, s1, 0
	s_waitcnt lgkmcnt(0)
	s_bitcmp1_b32 s29, 0
	s_cselect_b64 s[8:9], -1, 0
	s_and_b64 s[6:7], s[8:9], exec
	s_cselect_b32 s5, s10, s5
	s_cselect_b32 s3, s3, s4
	v_mov_b32_e32 v2, s3
	v_mov_b32_e32 v3, s5
	flat_load_dwordx2 v[4:5], v[2:3]
	s_waitcnt vmcnt(0) lgkmcnt(0)
	v_cmp_eq_f32_e32 vcc, 0, v4
	v_cmp_eq_f32_e64 s[4:5], 0, v5
	s_and_b64 s[10:11], vcc, s[4:5]
	s_mov_b64 s[4:5], -1
	s_and_saveexec_b64 s[6:7], s[10:11]
	s_cbranch_execz .LBB24_2
; %bb.1:
	s_load_dwordx2 s[4:5], s[0:1], 0x40
	s_add_u32 s3, s0, 64
	s_addc_u32 s10, s1, 0
	s_and_b64 s[8:9], s[8:9], exec
	s_waitcnt lgkmcnt(0)
	s_cselect_b32 s5, s10, s5
	s_cselect_b32 s3, s3, s4
	v_mov_b32_e32 v2, s3
	v_mov_b32_e32 v3, s5
	flat_load_dwordx2 v[2:3], v[2:3]
	s_waitcnt vmcnt(0) lgkmcnt(0)
	v_cmp_neq_f32_e32 vcc, 1.0, v2
	v_cmp_neq_f32_e64 s[4:5], 0, v3
	s_or_b64 s[4:5], vcc, s[4:5]
	s_orn2_b64 s[4:5], s[4:5], exec
.LBB24_2:
	s_or_b64 exec, exec, s[6:7]
	s_and_saveexec_b64 s[6:7], s[4:5]
	s_cbranch_execz .LBB24_140
; %bb.3:
	s_load_dwordx4 s[20:23], s[0:1], 0x0
	s_load_dwordx2 s[4:5], s[0:1], 0x10
	s_mov_b32 s6, 0
	s_mov_b32 s7, s6
	v_lshlrev_b32_e32 v12, 3, v0
	s_waitcnt lgkmcnt(0)
	s_bitcmp1_b32 s20, 0
	s_cselect_b64 s[10:11], -1, 0
	s_ashr_i32 s3, s2, 31
	s_lshl_b64 s[2:3], s[2:3], 2
	s_add_u32 s2, s4, s2
	v_mov_b64_e32 v[2:3], s[6:7]
	s_addc_u32 s3, s5, s3
	ds_write2st64_b64 v12, v[2:3], v[2:3] offset1:4
	ds_write2st64_b64 v12, v[2:3], v[2:3] offset0:8 offset1:12
	s_waitcnt lgkmcnt(0)
	s_barrier
	s_load_dwordx2 s[26:27], s[2:3], 0x0
	s_load_dwordx8 s[12:19], s[0:1], 0x20
	s_load_dwordx2 s[24:25], s[0:1], 0x48
	s_mov_b64 s[2:3], -1
	v_subrev_u32_e32 v1, s28, v0
	s_waitcnt lgkmcnt(0)
	s_sub_i32 s23, s27, s26
	s_cmp_gt_i32 s23, 2
	s_cbranch_scc1 .LBB24_38
; %bb.4:
	s_cmp_le_i32 s27, s26
	s_cbranch_scc1 .LBB24_28
; %bb.5:
	s_add_u32 s30, s16, 4
	v_cmp_gt_u32_e32 vcc, 64, v0
	v_cmp_gt_u32_e64 s[4:5], 16, v0
	v_cmp_gt_u32_e64 s[6:7], 4, v0
	v_cmp_eq_u32_e64 s[8:9], 0, v0
	s_addc_u32 s31, s17, 0
	s_mov_b64 s[34:35], 0x400
	s_mov_b64 s[36:37], 0x800
	v_mov_b32_e32 v13, 0
	s_mov_b32 s38, s26
	s_branch .LBB24_7
.LBB24_6:                               ;   in Loop: Header=BB24_7 Depth=1
	s_or_b64 exec, exec, s[40:41]
	s_add_i32 s38, s38, 1
	s_cmp_ge_i32 s38, s27
	s_cbranch_scc1 .LBB24_28
.LBB24_7:                               ; =>This Loop Header: Depth=1
                                        ;     Child Loop BB24_9 Depth 2
                                        ;     Child Loop BB24_21 Depth 2
	;; [unrolled: 1-line block ×3, first 2 shown]
	s_ashr_i32 s39, s38, 31
	s_lshl_b64 s[2:3], s[38:39], 2
	s_add_u32 s2, s12, s2
	s_addc_u32 s3, s13, s3
	s_load_dwordx2 s[40:41], s[2:3], 0x0
	v_mov_b32_e32 v3, 0
	v_mov_b32_e32 v2, 0
	s_waitcnt lgkmcnt(0)
	v_add_u32_e32 v6, s40, v1
	s_sub_i32 s20, s41, s28
	v_cmp_gt_i32_e64 s[2:3], s20, v6
	s_and_saveexec_b64 s[40:41], s[2:3]
	s_cbranch_execz .LBB24_11
; %bb.8:                                ;   in Loop: Header=BB24_7 Depth=1
	v_ashrrev_i32_e32 v7, 31, v6
	v_mov_b32_e32 v2, 0
	v_lshl_add_u64 v[8:9], v[6:7], 2, s[14:15]
	v_lshl_add_u64 v[10:11], v[6:7], 3, s[30:31]
	s_mov_b64 s[42:43], 0
	v_mov_b32_e32 v3, v2
.LBB24_9:                               ;   Parent Loop BB24_7 Depth=1
                                        ; =>  This Inner Loop Header: Depth=2
	global_load_dword v7, v[8:9], off
	global_load_dwordx2 v[14:15], v[10:11], off offset:-4
	v_add_u32_e32 v6, 0x100, v6
	v_cmp_le_i32_e64 s[2:3], s20, v6
	v_lshl_add_u64 v[8:9], v[8:9], 0, s[34:35]
	v_lshl_add_u64 v[10:11], v[10:11], 0, s[36:37]
	s_or_b64 s[42:43], s[2:3], s[42:43]
	s_waitcnt vmcnt(1)
	v_subrev_u32_e32 v16, s28, v7
	v_ashrrev_i32_e32 v17, 31, v16
	v_lshl_add_u64 v[16:17], v[16:17], 3, s[18:19]
	global_load_dwordx2 v[16:17], v[16:17], off
	s_waitcnt vmcnt(1)
	v_cndmask_b32_e64 v15, v15, -v15, s[10:11]
	v_mov_b32_e32 v19, v14
	v_xor_b32_e32 v18, 0x80000000, v15
	s_waitcnt vmcnt(0)
	v_pk_fma_f32 v[2:3], v[14:15], v[16:17], v[2:3] op_sel_hi:[1,0,1]
	s_nop 0
	v_pk_fma_f32 v[2:3], v[18:19], v[16:17], v[2:3] op_sel:[0,1,0]
	s_andn2_b64 exec, exec, s[42:43]
	s_cbranch_execnz .LBB24_9
; %bb.10:                               ;   in Loop: Header=BB24_7 Depth=1
	s_or_b64 exec, exec, s[42:43]
.LBB24_11:                              ;   in Loop: Header=BB24_7 Depth=1
	s_or_b64 exec, exec, s[40:41]
	ds_write_b64 v12, v[2:3]
	s_waitcnt lgkmcnt(0)
	s_barrier
	ds_read2st64_b64 v[6:9], v12 offset1:4
	ds_read2st64_b64 v[14:17], v12 offset0:8 offset1:12
	s_waitcnt lgkmcnt(0)
	v_pk_add_f32 v[2:3], v[14:15], v[8:9]
	s_nop 0
	v_pk_add_f32 v[2:3], v[16:17], v[2:3]
	s_nop 0
	v_pk_add_f32 v[2:3], v[2:3], v[6:7]
	ds_write_b64 v12, v[2:3]
	s_waitcnt lgkmcnt(0)
	s_barrier
	s_and_saveexec_b64 s[2:3], vcc
	s_cbranch_execz .LBB24_13
; %bb.12:                               ;   in Loop: Header=BB24_7 Depth=1
	ds_read2st64_b64 v[6:9], v12 offset1:1
	ds_read2st64_b64 v[14:17], v12 offset0:2 offset1:3
	s_waitcnt lgkmcnt(0)
	v_pk_add_f32 v[2:3], v[14:15], v[8:9]
	s_nop 0
	v_pk_add_f32 v[2:3], v[16:17], v[2:3]
	s_nop 0
	v_pk_add_f32 v[2:3], v[2:3], v[6:7]
	ds_write_b64 v12, v[2:3]
.LBB24_13:                              ;   in Loop: Header=BB24_7 Depth=1
	s_or_b64 exec, exec, s[2:3]
	s_waitcnt lgkmcnt(0)
	s_barrier
	s_and_saveexec_b64 s[2:3], s[4:5]
	s_cbranch_execz .LBB24_15
; %bb.14:                               ;   in Loop: Header=BB24_7 Depth=1
	ds_read2_b64 v[6:9], v12 offset1:16
	ds_read2_b64 v[14:17], v12 offset0:32 offset1:48
	s_waitcnt lgkmcnt(0)
	v_pk_add_f32 v[2:3], v[14:15], v[8:9]
	s_nop 0
	v_pk_add_f32 v[2:3], v[16:17], v[2:3]
	s_nop 0
	v_pk_add_f32 v[2:3], v[2:3], v[6:7]
	ds_write_b64 v12, v[2:3]
.LBB24_15:                              ;   in Loop: Header=BB24_7 Depth=1
	s_or_b64 exec, exec, s[2:3]
	s_waitcnt lgkmcnt(0)
	s_barrier
	s_and_saveexec_b64 s[2:3], s[6:7]
	s_cbranch_execz .LBB24_17
; %bb.16:                               ;   in Loop: Header=BB24_7 Depth=1
	ds_read2_b64 v[6:9], v12 offset1:4
	ds_read2_b64 v[14:17], v12 offset0:8 offset1:12
	s_waitcnt lgkmcnt(0)
	v_pk_add_f32 v[2:3], v[14:15], v[8:9]
	s_nop 0
	v_pk_add_f32 v[2:3], v[16:17], v[2:3]
	s_nop 0
	v_pk_add_f32 v[2:3], v[2:3], v[6:7]
	ds_write_b64 v12, v[2:3]
.LBB24_17:                              ;   in Loop: Header=BB24_7 Depth=1
	s_or_b64 exec, exec, s[2:3]
	s_waitcnt lgkmcnt(0)
	s_barrier
	s_and_saveexec_b64 s[2:3], s[8:9]
	s_cbranch_execz .LBB24_19
; %bb.18:                               ;   in Loop: Header=BB24_7 Depth=1
	ds_read_b128 v[6:9], v13 offset:16
	ds_read_b64 v[2:3], v13 offset:8
	ds_read_b64 v[10:11], v12
	s_waitcnt lgkmcnt(1)
	v_pk_add_f32 v[2:3], v[6:7], v[2:3]
	s_nop 0
	v_pk_add_f32 v[2:3], v[8:9], v[2:3]
	s_waitcnt lgkmcnt(0)
	v_pk_add_f32 v[2:3], v[2:3], v[10:11]
	ds_write_b64 v12, v[2:3]
.LBB24_19:                              ;   in Loop: Header=BB24_7 Depth=1
	s_or_b64 exec, exec, s[2:3]
	s_waitcnt lgkmcnt(0)
	s_barrier
	s_and_saveexec_b64 s[40:41], s[8:9]
	s_cbranch_execz .LBB24_6
; %bb.20:                               ;   in Loop: Header=BB24_7 Depth=1
	ds_read_b64 v[2:3], v13
	s_mov_b64 s[2:3], exec
	v_bfrev_b32_e32 v6, 1
	s_waitcnt lgkmcnt(0)
	v_mul_f32_e64 v7, v3, -v5
	v_fmac_f32_e32 v7, v4, v2
.LBB24_21:                              ;   Parent Loop BB24_7 Depth=1
                                        ; =>  This Inner Loop Header: Depth=2
	s_ff1_i32_b64 s20, s[2:3]
	s_lshl_b64 s[42:43], 1, s20
	v_readlane_b32 s29, v7, s20
	s_andn2_b64 s[2:3], s[2:3], s[42:43]
	s_cmp_lg_u64 s[2:3], 0
	v_add_f32_e32 v6, s29, v6
	s_cbranch_scc1 .LBB24_21
; %bb.22:                               ;   in Loop: Header=BB24_7 Depth=1
	s_lshl_b64 s[2:3], s[38:39], 3
	v_mbcnt_lo_u32_b32 v7, exec_lo, 0
	s_add_u32 s42, s24, s2
	v_mbcnt_hi_u32_b32 v7, exec_hi, v7
	s_addc_u32 s43, s25, s3
	v_cmp_eq_u32_e64 s[2:3], 0, v7
	s_and_saveexec_b64 s[44:45], s[2:3]
	s_xor_b64 s[2:3], exec, s[44:45]
	s_cbranch_execz .LBB24_24
; %bb.23:                               ;   in Loop: Header=BB24_7 Depth=1
	global_atomic_add_f32 v13, v6, s[42:43]
.LBB24_24:                              ;   in Loop: Header=BB24_7 Depth=1
	s_or_b64 exec, exec, s[2:3]
	v_mul_f32_e32 v3, v4, v3
	s_mov_b64 s[2:3], exec
	v_fmac_f32_e32 v3, v5, v2
	v_bfrev_b32_e32 v2, 1
.LBB24_25:                              ;   Parent Loop BB24_7 Depth=1
                                        ; =>  This Inner Loop Header: Depth=2
	s_ff1_i32_b64 s20, s[2:3]
	s_lshl_b64 s[44:45], 1, s20
	v_readlane_b32 s29, v3, s20
	s_andn2_b64 s[2:3], s[2:3], s[44:45]
	s_cmp_lg_u64 s[2:3], 0
	v_add_f32_e32 v2, s29, v2
	s_cbranch_scc1 .LBB24_25
; %bb.26:                               ;   in Loop: Header=BB24_7 Depth=1
	v_mbcnt_lo_u32_b32 v3, exec_lo, 0
	v_mbcnt_hi_u32_b32 v3, exec_hi, v3
	v_cmp_eq_u32_e64 s[2:3], 0, v3
	s_and_saveexec_b64 s[44:45], s[2:3]
	s_xor_b64 s[44:45], exec, s[44:45]
	s_cbranch_execz .LBB24_6
; %bb.27:                               ;   in Loop: Header=BB24_7 Depth=1
	global_atomic_add_f32 v13, v2, s[42:43] offset:4
	s_branch .LBB24_6
.LBB24_28:
	s_ashr_i32 s3, s26, 31
	s_mov_b32 s2, s26
	s_lshl_b64 s[2:3], s[2:3], 2
	s_add_u32 s2, s12, s2
	s_addc_u32 s3, s13, s3
	s_ashr_i32 s5, s27, 31
	s_mov_b32 s4, s27
	s_lshl_b64 s[4:5], s[4:5], 2
	s_add_u32 s4, s12, s4
	s_addc_u32 s5, s13, s5
	s_load_dword s6, s[4:5], 0x0
	s_load_dword s7, s[2:3], 0x0
	s_waitcnt lgkmcnt(0)
	s_sub_i32 s20, s6, s28
	v_add_u32_e32 v2, s7, v1
	v_cmp_gt_i32_e32 vcc, s20, v2
	s_and_saveexec_b64 s[6:7], vcc
	s_cbranch_execz .LBB24_37
; %bb.29:
	s_add_i32 s29, s27, -1
	s_cmp_lt_i32 s26, s29
	s_cselect_b64 s[2:3], -1, 0
	s_add_i32 s4, s27, -2
	s_cmp_lg_u32 s26, s4
	s_cselect_b64 s[4:5], -1, 0
	s_and_b64 s[2:3], s[2:3], s[4:5]
	v_cndmask_b32_e64 v3, 0, 1, s[2:3]
	s_mov_b64 s[8:9], 0
	v_cmp_ne_u32_e64 s[4:5], 1, v3
	s_branch .LBB24_31
.LBB24_30:                              ;   in Loop: Header=BB24_31 Depth=1
	s_or_b64 exec, exec, s[2:3]
	v_add_u32_e32 v2, 0x100, v2
	v_cmp_le_i32_e32 vcc, s20, v2
	s_or_b64 s[8:9], vcc, s[8:9]
	s_andn2_b64 exec, exec, s[8:9]
	s_cbranch_execz .LBB24_37
.LBB24_31:                              ; =>This Loop Header: Depth=1
                                        ;     Child Loop BB24_33 Depth 2
	s_and_b64 vcc, exec, s[4:5]
	v_mov_b32_e32 v8, s26
	v_mov_b32_e32 v6, s29
	s_cbranch_vccnz .LBB24_35
; %bb.32:                               ;   in Loop: Header=BB24_31 Depth=1
	s_mov_b64 s[30:31], 0
	v_mov_b32_e32 v8, s26
	v_mov_b32_e32 v6, s29
.LBB24_33:                              ;   Parent Loop BB24_31 Depth=1
                                        ; =>  This Inner Loop Header: Depth=2
	v_add_u32_e32 v3, v6, v8
	v_lshrrev_b32_e32 v7, 31, v3
	v_add_u32_e32 v3, v3, v7
	v_ashrrev_i32_e32 v10, 1, v3
	v_ashrrev_i32_e32 v11, 31, v10
	v_lshl_add_u64 v[14:15], v[10:11], 2, s[12:13]
	global_load_dword v3, v[14:15], off
	s_waitcnt vmcnt(0)
	v_subrev_u32_e32 v3, s28, v3
	v_cmp_lt_i32_e32 vcc, v2, v3
	s_nop 1
	v_cndmask_b32_e32 v6, v6, v10, vcc
	v_cndmask_b32_e32 v8, v10, v8, vcc
	v_add_u32_e32 v3, -1, v6
	v_cmp_ge_i32_e32 vcc, v8, v6
	v_cmp_eq_u32_e64 s[2:3], v8, v3
	s_or_b64 s[2:3], vcc, s[2:3]
	s_and_b64 s[2:3], exec, s[2:3]
	s_or_b64 s[30:31], s[2:3], s[30:31]
	s_andn2_b64 exec, exec, s[30:31]
	s_cbranch_execnz .LBB24_33
; %bb.34:                               ;   in Loop: Header=BB24_31 Depth=1
	s_or_b64 exec, exec, s[30:31]
.LBB24_35:                              ;   in Loop: Header=BB24_31 Depth=1
	v_ashrrev_i32_e32 v7, 31, v6
	v_lshl_add_u64 v[10:11], v[6:7], 2, s[12:13]
	global_load_dword v7, v[10:11], off
	v_ashrrev_i32_e32 v3, 31, v2
	v_lshl_add_u64 v[10:11], v[2:3], 2, s[14:15]
	global_load_dword v9, v[10:11], off
	s_waitcnt vmcnt(1)
	v_subrev_u32_e32 v7, s28, v7
	v_cmp_lt_i32_e32 vcc, v2, v7
	s_nop 1
	v_cndmask_b32_e32 v8, v6, v8, vcc
	s_waitcnt vmcnt(0)
	v_subrev_u32_e32 v6, s28, v9
	v_cmp_ne_u32_e32 vcc, v6, v8
	s_and_saveexec_b64 s[2:3], vcc
	s_cbranch_execz .LBB24_30
; %bb.36:                               ;   in Loop: Header=BB24_31 Depth=1
	v_lshl_add_u64 v[10:11], v[2:3], 3, s[16:17]
	global_load_dwordx2 v[10:11], v[10:11], off
	v_ashrrev_i32_e32 v9, 31, v8
	v_lshl_add_u64 v[8:9], v[8:9], 3, s[18:19]
	global_load_dwordx2 v[8:9], v[8:9], off
	v_ashrrev_i32_e32 v7, 31, v6
	v_lshl_add_u64 v[6:7], v[6:7], 3, s[24:25]
	s_waitcnt vmcnt(1)
	v_cndmask_b32_e64 v3, v11, -v11, s[10:11]
	v_mul_f32_e64 v11, v3, -v5
	v_mul_f32_e32 v3, v4, v3
	v_fmac_f32_e32 v3, v5, v10
	v_fmac_f32_e32 v11, v4, v10
	s_waitcnt vmcnt(0)
	v_mul_f32_e64 v10, v9, -v3
	v_mul_f32_e32 v9, v9, v11
	v_fmac_f32_e32 v10, v11, v8
	v_fmac_f32_e32 v9, v3, v8
	global_atomic_add_f32 v[6:7], v10, off
	global_atomic_add_f32 v[6:7], v9, off offset:4
	s_branch .LBB24_30
.LBB24_37:
	s_or_b64 exec, exec, s[6:7]
	s_mov_b64 s[2:3], 0
.LBB24_38:
	s_and_b64 vcc, exec, s[2:3]
	s_cbranch_vccz .LBB24_140
; %bb.39:
	v_cvt_f32_u32_e32 v2, s23
	s_ashr_i32 s3, s26, 31
	s_mov_b32 s2, s26
	s_sub_i32 s6, 0, s23
	v_rcp_iflag_f32_e32 v2, v2
	s_lshl_b64 s[2:3], s[2:3], 2
	s_add_u32 s4, s12, s2
	s_addc_u32 s5, s13, s3
	s_load_dword s29, s[4:5], 0x0
	v_mul_f32_e32 v2, 0x4f7ffffe, v2
	v_cvt_u32_f32_e32 v3, v2
	s_load_dword s33, s[0:1], 0x64
	s_waitcnt lgkmcnt(0)
	v_add_u32_e32 v2, s29, v1
	v_readfirstlane_b32 s36, v3
	s_mul_i32 s6, s6, s36
	v_add_u32_e32 v13, 0x300, v2
	s_mul_hi_u32 s37, s36, s6
	v_cmp_le_i32_e32 vcc, s21, v13
	s_and_saveexec_b64 s[0:1], vcc
	s_xor_b64 s[2:3], exec, s[0:1]
	s_cbranch_execz .LBB24_51
; %bb.40:
	s_ashr_i32 s1, s27, 31
	s_mov_b32 s0, s27
	s_lshl_b64 s[0:1], s[0:1], 2
	s_add_u32 s0, s12, s0
	s_addc_u32 s1, s13, s1
	s_load_dword s8, s[0:1], 0x0
	s_waitcnt lgkmcnt(0)
	s_sub_i32 s38, s8, s29
	v_cmp_gt_i32_e64 s[0:1], s38, v0
	s_and_saveexec_b64 s[6:7], s[0:1]
	s_cbranch_execz .LBB24_50
; %bb.41:
	v_xad_u32 v1, v0, -1, s8
	v_subrev_u32_e32 v3, s29, v1
	s_movk_i32 s0, 0xd00
	v_cmp_gt_u32_e64 s[8:9], s0, v3
	s_movk_i32 s0, 0xcff
	v_cmp_lt_u32_e64 s[0:1], s0, v3
	v_mov_b32_e32 v1, 0
	s_and_saveexec_b64 s[20:21], s[0:1]
	s_cbranch_execz .LBB24_47
; %bb.42:
	v_and_b32_e32 v1, 0xffffff00, v3
	v_add_u32_e32 v1, v2, v1
	v_cmp_ge_i32_e64 s[0:1], v1, v2
	s_mov_b64 s[34:35], -1
	v_mov_b32_e32 v1, 0
	s_and_saveexec_b64 s[30:31], s[0:1]
	s_cbranch_execz .LBB24_46
; %bb.43:
	v_lshrrev_b32_e32 v1, 8, v3
	v_add_u32_e32 v3, 1, v1
	v_and_b32_e32 v14, 0x1fffffe, v3
	v_xor_b32_e32 v6, 0x80000000, v5
	v_mov_b32_e32 v7, v6
	v_mov_b32_e32 v1, v2
	;; [unrolled: 1-line block ×6, first 2 shown]
	s_movk_i32 s39, 0x100
	s_mov_b32 s40, 0
	s_mov_b64 s[34:35], 0
	v_mov_b32_e32 v15, v14
	v_mov_b32_e32 v16, v12
.LBB24_44:                              ; =>This Inner Loop Header: Depth=1
	v_add_u32_e32 v18, s40, v2
	v_add_u32_e32 v20, s39, v1
	v_ashrrev_i32_e32 v19, 31, v18
	v_ashrrev_i32_e32 v21, 31, v20
	v_lshl_add_u64 v[18:19], v[18:19], 3, s[16:17]
	v_lshl_add_u64 v[20:21], v[20:21], 3, s[16:17]
	global_load_dwordx2 v[22:23], v[18:19], off
	global_load_dwordx2 v[24:25], v[20:21], off
	v_add_u32_e32 v15, -2, v15
	s_addk_i32 s40, 0x200
	s_addk_i32 s39, 0x200
	v_cmp_eq_u32_e64 s[0:1], 0, v15
	s_or_b64 s[34:35], s[0:1], s[34:35]
	s_waitcnt vmcnt(1)
	v_mov_b32_e32 v18, v22
	s_waitcnt vmcnt(0)
	v_mov_b32_e32 v19, v24
	v_mov_b32_e32 v24, v23
	v_pk_add_f32 v[20:21], v[24:25], 0 neg_lo:[1,1] neg_hi:[1,1]
	s_nop 0
	v_cndmask_b32_e64 v21, v25, v21, s[10:11]
	v_cndmask_b32_e64 v20, v23, v20, s[10:11]
	v_pk_mul_f32 v[22:23], v[20:21], v[6:7]
	v_pk_mul_f32 v[20:21], v[8:9], v[20:21]
	v_pk_fma_f32 v[22:23], v[8:9], v[18:19], v[22:23]
	v_pk_fma_f32 v[18:19], v[10:11], v[18:19], v[20:21]
	v_mov_b32_e32 v20, v22
	v_mov_b32_e32 v21, v18
	;; [unrolled: 1-line block ×3, first 2 shown]
	ds_write2st64_b64 v16, v[20:21], v[18:19] offset1:4
	v_add_u32_e32 v16, 0x1000, v16
	s_andn2_b64 exec, exec, s[34:35]
	s_cbranch_execnz .LBB24_44
; %bb.45:
	s_or_b64 exec, exec, s[34:35]
	v_cmp_ne_u32_e64 s[0:1], v3, v14
	v_lshlrev_b32_e32 v1, 8, v14
	s_orn2_b64 s[34:35], s[0:1], exec
.LBB24_46:
	s_or_b64 exec, exec, s[30:31]
	s_andn2_b64 s[0:1], s[8:9], exec
	s_and_b64 s[8:9], s[34:35], exec
	s_or_b64 s[8:9], s[0:1], s[8:9]
.LBB24_47:
	s_or_b64 exec, exec, s[20:21]
	s_and_b64 exec, exec, s[8:9]
	s_cbranch_execz .LBB24_50
; %bb.48:
	v_add_u32_e32 v3, v0, v1
	v_lshlrev_b32_e32 v1, 3, v1
	v_xor_b32_e32 v6, 0x80000000, v5
	v_mov_b32_e32 v7, v4
	v_lshl_add_u32 v1, v0, 3, v1
	s_sub_i32 s20, s29, s28
	s_mov_b64 s[8:9], 0
.LBB24_49:                              ; =>This Inner Loop Header: Depth=1
	v_add_u32_e32 v8, s20, v3
	v_ashrrev_i32_e32 v9, 31, v8
	v_lshl_add_u64 v[8:9], v[8:9], 3, s[16:17]
	global_load_dwordx2 v[8:9], v[8:9], off
	v_add_u32_e32 v3, 0x100, v3
	v_cmp_le_i32_e64 s[0:1], s38, v3
	s_or_b64 s[8:9], s[0:1], s[8:9]
	s_waitcnt vmcnt(0)
	v_cndmask_b32_e64 v10, v9, -v9, s[10:11]
	v_pk_mul_f32 v[10:11], v[10:11], v[6:7] op_sel_hi:[0,1]
	v_pk_fma_f32 v[8:9], v[4:5], v[8:9], v[10:11] op_sel_hi:[1,0,1]
	ds_write_b64 v1, v[8:9]
	v_add_u32_e32 v1, 0x800, v1
	s_andn2_b64 exec, exec, s[8:9]
	s_cbranch_execnz .LBB24_49
.LBB24_50:
	s_or_b64 exec, exec, s[6:7]
                                        ; implicit-def: $vgpr4_vgpr5
.LBB24_51:
	s_or_saveexec_b64 s[2:3], s[2:3]
	s_and_b32 s20, s33, 0xffff
	s_add_i32 s36, s36, s37
	v_ashrrev_i32_e32 v3, 31, v2
	s_xor_b64 exec, exec, s[2:3]
	s_cbranch_execz .LBB24_53
; %bb.52:
	v_lshl_add_u64 v[6:7], v[2:3], 3, s[16:17]
	s_movk_i32 s0, 0x1000
	global_load_dwordx2 v[8:9], v[6:7], off
	global_load_dwordx2 v[10:11], v[6:7], off offset:2048
	v_add_co_u32_e64 v6, s[0:1], s0, v6
	s_waitcnt vmcnt(1)
	v_cndmask_b32_e64 v18, v9, -v9, s[10:11]
	v_addc_co_u32_e64 v7, s[0:1], 0, v7, s[0:1]
	global_load_dwordx2 v[14:15], v[6:7], off
	global_load_dwordx2 v[16:17], v[6:7], off offset:2048
	v_xor_b32_e32 v6, 0x80000000, v5
	v_mov_b32_e32 v7, v4
	s_waitcnt vmcnt(2)
	v_cndmask_b32_e64 v20, v11, -v11, s[10:11]
	v_pk_mul_f32 v[18:19], v[18:19], v[6:7] op_sel_hi:[0,1]
	v_pk_mul_f32 v[20:21], v[20:21], v[6:7] op_sel_hi:[0,1]
	v_pk_fma_f32 v[8:9], v[4:5], v[8:9], v[18:19] op_sel_hi:[1,0,1]
	v_pk_fma_f32 v[10:11], v[4:5], v[10:11], v[20:21] op_sel_hi:[1,0,1]
	ds_write2st64_b64 v12, v[8:9], v[10:11] offset1:4
	s_waitcnt vmcnt(1)
	v_cndmask_b32_e64 v22, v15, -v15, s[10:11]
	s_waitcnt vmcnt(0)
	v_cndmask_b32_e64 v24, v17, -v17, s[10:11]
	v_pk_mul_f32 v[18:19], v[22:23], v[6:7] op_sel_hi:[0,1]
	v_pk_mul_f32 v[6:7], v[24:25], v[6:7] op_sel_hi:[0,1]
	v_pk_fma_f32 v[8:9], v[4:5], v[14:15], v[18:19] op_sel_hi:[1,0,1]
	v_pk_fma_f32 v[4:5], v[4:5], v[16:17], v[6:7] op_sel_hi:[1,0,1]
	ds_write2st64_b64 v12, v[8:9], v[4:5] offset0:8 offset1:12
.LBB24_53:
	s_or_b64 exec, exec, s[2:3]
	s_mul_hi_u32 s21, s20, s36
	v_cmp_gt_i32_e64 s[0:1], s22, v0
	s_and_saveexec_b64 s[2:3], s[0:1]
	s_cbranch_execz .LBB24_56
; %bb.54:
	v_mov_b32_e32 v1, 0x2000
	v_lshl_add_u32 v1, v0, 3, v1
	s_mov_b64 s[6:7], 0
	v_mov_b32_e32 v4, 0
	v_mov_b32_e32 v5, v0
.LBB24_55:                              ; =>This Inner Loop Header: Depth=1
	v_add_u32_e32 v5, 0x100, v5
	v_cmp_le_i32_e64 s[0:1], s22, v5
	ds_write2_b32 v1, v4, v4 offset1:1
	s_or_b64 s[6:7], s[0:1], s[6:7]
	v_add_u32_e32 v1, 0x800, v1
	s_andn2_b64 exec, exec, s[6:7]
	s_cbranch_execnz .LBB24_55
.LBB24_56:
	s_or_b64 exec, exec, s[2:3]
	s_sub_i32 s0, s27, s22
	s_cmp_ge_i32 s27, s22
	s_cselect_b32 s30, s0, 0
	s_waitcnt lgkmcnt(0)
	s_barrier
	s_and_saveexec_b64 s[0:1], vcc
	s_xor_b64 s[6:7], exec, s[0:1]
	s_cbranch_execz .LBB24_73
; %bb.57:
	s_ashr_i32 s1, s27, 31
	s_mov_b32 s0, s27
	s_lshl_b64 s[0:1], s[0:1], 2
	s_add_u32 s0, s12, s0
	s_addc_u32 s1, s13, s1
	s_load_dword s0, s[0:1], 0x0
	s_waitcnt lgkmcnt(0)
	s_sub_i32 s31, s0, s29
	v_cmp_gt_i32_e32 vcc, s31, v0
	s_and_saveexec_b64 s[8:9], vcc
	s_cbranch_execz .LBB24_72
; %bb.58:
	s_add_i32 s33, s27, -1
	s_add_i32 s1, s27, -2
	s_cmp_lg_u32 s26, s1
	s_cselect_b64 s[2:3], -1, 0
	v_cndmask_b32_e64 v1, 0, 1, s[2:3]
	s_sub_i32 s34, s0, s28
	s_mov_b32 s35, 0
	s_mov_b64 s[10:11], 0
	v_cmp_ne_u32_e64 s[0:1], 1, v1
	v_mov_b32_e32 v1, 0x2000
	s_branch .LBB24_61
.LBB24_59:                              ;   in Loop: Header=BB24_61 Depth=1
	s_or_b64 exec, exec, s[2:3]
	v_xor_b32_e32 v8, 0x80000000, v7
.LBB24_60:                              ;   in Loop: Header=BB24_61 Depth=1
	s_or_b64 exec, exec, s[16:17]
	v_ashrrev_i32_e32 v5, 31, v4
	v_lshl_add_u64 v[4:5], v[4:5], 3, s[18:19]
	global_load_dwordx2 v[4:5], v[4:5], off
	s_addk_i32 s35, 0x100
	v_add_u32_e32 v10, s35, v0
	v_cmp_le_i32_e32 vcc, s31, v10
	s_or_b64 s[10:11], vcc, s[10:11]
	s_waitcnt vmcnt(0)
	v_pk_mul_f32 v[8:9], v[4:5], v[8:9] op_sel:[1,0]
	s_nop 0
	v_pk_fma_f32 v[4:5], v[6:7], v[4:5], v[8:9] op_sel_hi:[1,0,1]
	ds_write_b64 v3, v[4:5]
	s_andn2_b64 exec, exec, s[10:11]
	s_cbranch_execz .LBB24_72
.LBB24_61:                              ; =>This Loop Header: Depth=1
                                        ;     Child Loop BB24_63 Depth 2
	v_add_u32_e32 v6, s35, v2
	s_and_b64 vcc, exec, s[0:1]
	v_mov_b32_e32 v3, s26
	v_mov_b32_e32 v8, s33
	s_cbranch_vccnz .LBB24_65
; %bb.62:                               ;   in Loop: Header=BB24_61 Depth=1
	s_mov_b64 s[16:17], 0
	v_mov_b32_e32 v3, s26
	v_mov_b32_e32 v8, s33
.LBB24_63:                              ;   Parent Loop BB24_61 Depth=1
                                        ; =>  This Inner Loop Header: Depth=2
	v_add_u32_e32 v4, v8, v3
	v_lshrrev_b32_e32 v5, 31, v4
	v_add_u32_e32 v4, v4, v5
	v_ashrrev_i32_e32 v4, 1, v4
	v_ashrrev_i32_e32 v5, 31, v4
	v_lshl_add_u64 v[10:11], v[4:5], 2, s[12:13]
	global_load_dword v5, v[10:11], off
	s_waitcnt vmcnt(0)
	v_subrev_u32_e32 v5, s28, v5
	v_cmp_lt_i32_e32 vcc, v6, v5
	s_nop 1
	v_cndmask_b32_e32 v8, v8, v4, vcc
	v_cndmask_b32_e32 v3, v4, v3, vcc
	v_add_u32_e32 v4, -1, v8
	v_cmp_ge_i32_e32 vcc, v3, v8
	v_cmp_eq_u32_e64 s[2:3], v3, v4
	s_or_b64 s[2:3], vcc, s[2:3]
	s_and_b64 s[2:3], exec, s[2:3]
	s_or_b64 s[16:17], s[2:3], s[16:17]
	s_andn2_b64 exec, exec, s[16:17]
	s_cbranch_execnz .LBB24_63
; %bb.64:                               ;   in Loop: Header=BB24_61 Depth=1
	s_or_b64 exec, exec, s[16:17]
.LBB24_65:                              ;   in Loop: Header=BB24_61 Depth=1
	v_ashrrev_i32_e32 v9, 31, v8
	v_lshl_add_u64 v[4:5], v[8:9], 2, s[12:13]
	global_load_dword v9, v[4:5], off
	v_ashrrev_i32_e32 v7, 31, v6
	v_lshl_add_u64 v[4:5], v[6:7], 2, s[14:15]
	global_load_dword v4, v[4:5], off
	v_cmp_le_i32_e32 vcc, s34, v6
	s_waitcnt vmcnt(1)
	v_subrev_u32_e32 v5, s28, v9
	v_cmp_lt_i32_e64 s[2:3], v6, v5
                                        ; implicit-def: $vgpr6_vgpr7
	s_waitcnt vmcnt(0)
	v_subrev_u32_e32 v4, s28, v4
	v_cndmask_b32_e64 v10, v8, v3, s[2:3]
	v_cmp_eq_u32_e64 s[2:3], v4, v10
	s_or_b64 s[2:3], s[2:3], vcc
	v_lshl_add_u32 v3, s35, 3, v12
                                        ; implicit-def: $vgpr9
	s_and_saveexec_b64 s[16:17], s[2:3]
	s_xor_b64 s[2:3], exec, s[16:17]
	s_cbranch_execz .LBB24_67
; %bb.66:                               ;   in Loop: Header=BB24_61 Depth=1
	ds_read_b64 v[6:7], v3
                                        ; implicit-def: $vgpr10
	s_waitcnt lgkmcnt(0)
	v_xor_b32_e32 v8, 0x80000000, v7
	v_mov_b32_e32 v9, v6
.LBB24_67:                              ;   in Loop: Header=BB24_61 Depth=1
	s_andn2_saveexec_b64 s[16:17], s[2:3]
	s_cbranch_execz .LBB24_60
; %bb.68:                               ;   in Loop: Header=BB24_61 Depth=1
	v_ashrrev_i32_e32 v11, 31, v10
	v_lshl_add_u64 v[6:7], v[10:11], 3, s[18:19]
	global_load_dwordx2 v[14:15], v[6:7], off
	ds_read_b64 v[6:7], v3
	v_cmp_gt_i32_e32 vcc, s30, v4
	v_cmp_le_i32_e64 s[2:3], s27, v4
	s_or_b64 s[2:3], vcc, s[2:3]
                                        ; implicit-def: $vgpr9
	s_waitcnt vmcnt(0) lgkmcnt(0)
	v_mul_f32_e64 v8, v15, -v7
	v_mul_f32_e32 v10, v15, v6
	v_fmac_f32_e32 v8, v6, v14
	v_fmac_f32_e32 v10, v7, v14
	s_and_saveexec_b64 s[36:37], s[2:3]
	s_xor_b64 s[2:3], exec, s[36:37]
	s_cbranch_execz .LBB24_70
; %bb.69:                               ;   in Loop: Header=BB24_61 Depth=1
	v_ashrrev_i32_e32 v5, 31, v4
	v_lshl_add_u64 v[14:15], v[4:5], 3, s[24:25]
	global_atomic_add_f32 v[14:15], v8, off
	global_atomic_add_f32 v[14:15], v10, off offset:4
	v_mov_b32_e32 v9, v6
                                        ; implicit-def: $vgpr8
                                        ; implicit-def: $vgpr10
.LBB24_70:                              ;   in Loop: Header=BB24_61 Depth=1
	s_andn2_saveexec_b64 s[2:3], s[2:3]
	s_cbranch_execz .LBB24_59
; %bb.71:                               ;   in Loop: Header=BB24_61 Depth=1
	v_subrev_u32_e32 v5, s30, v4
	v_lshl_add_u32 v5, v5, 3, v1
	ds_add_f32 v5, v8
	ds_add_f32 v5, v10 offset:4
	v_mov_b32_e32 v9, v6
	s_branch .LBB24_59
.LBB24_72:
	s_or_b64 exec, exec, s[8:9]
                                        ; implicit-def: $vgpr13
                                        ; implicit-def: $vgpr2
.LBB24_73:
	s_andn2_saveexec_b64 s[6:7], s[6:7]
	s_cbranch_execz .LBB24_115
; %bb.74:
	s_add_i32 s16, s27, -1
	s_add_i32 s0, s27, -2
	s_cmp_lg_u32 s26, s0
	s_cselect_b64 s[2:3], -1, 0
	s_cmp_eq_u32 s26, s0
	v_mov_b32_e32 v1, s26
	v_mov_b32_e32 v6, s16
	s_cbranch_scc1 .LBB24_78
; %bb.75:
	s_mov_b64 s[8:9], 0
	v_mov_b32_e32 v1, s26
	v_mov_b32_e32 v6, s16
.LBB24_76:                              ; =>This Inner Loop Header: Depth=1
	v_add_u32_e32 v4, v6, v1
	v_lshrrev_b32_e32 v5, 31, v4
	v_add_u32_e32 v4, v4, v5
	v_ashrrev_i32_e32 v4, 1, v4
	v_ashrrev_i32_e32 v5, 31, v4
	v_lshl_add_u64 v[8:9], v[4:5], 2, s[12:13]
	global_load_dword v5, v[8:9], off
	s_waitcnt vmcnt(0)
	v_subrev_u32_e32 v5, s28, v5
	v_cmp_lt_i32_e32 vcc, v2, v5
	s_nop 1
	v_cndmask_b32_e32 v6, v6, v4, vcc
	v_cndmask_b32_e32 v1, v4, v1, vcc
	v_add_u32_e32 v4, -1, v6
	v_cmp_ge_i32_e32 vcc, v1, v6
	v_cmp_eq_u32_e64 s[0:1], v1, v4
	s_or_b64 s[0:1], vcc, s[0:1]
	s_and_b64 s[0:1], exec, s[0:1]
	s_or_b64 s[8:9], s[0:1], s[8:9]
	s_andn2_b64 exec, exec, s[8:9]
	s_cbranch_execnz .LBB24_76
; %bb.77:
	s_or_b64 exec, exec, s[8:9]
.LBB24_78:
	v_ashrrev_i32_e32 v7, 31, v6
	v_lshl_add_u64 v[4:5], v[6:7], 2, s[12:13]
	global_load_dword v7, v[4:5], off
	v_lshl_add_u64 v[4:5], v[2:3], 2, s[14:15]
	global_load_dword v3, v[4:5], off
	s_ashr_i32 s1, s27, 31
	s_mov_b32 s0, s27
	s_lshl_b64 s[0:1], s[0:1], 2
	s_add_u32 s8, s12, s0
	s_addc_u32 s9, s13, s1
	s_waitcnt vmcnt(1)
	v_subrev_u32_e32 v7, s28, v7
	v_cmp_lt_i32_e32 vcc, v2, v7
	s_nop 1
	v_cndmask_b32_e32 v8, v6, v1, vcc
	s_waitcnt vmcnt(0)
	v_subrev_u32_e32 v6, s28, v3
	v_cmp_ne_u32_e32 vcc, v6, v8
	s_and_saveexec_b64 s[10:11], vcc
	s_cbranch_execz .LBB24_84
; %bb.79:
	s_load_dword s0, s[8:9], 0x0
	s_waitcnt lgkmcnt(0)
	s_sub_i32 s0, s0, s28
	v_cmp_gt_i32_e32 vcc, s0, v2
	s_and_b64 exec, exec, vcc
	s_cbranch_execz .LBB24_84
; %bb.80:
	v_ashrrev_i32_e32 v9, 31, v8
	v_lshl_add_u64 v[8:9], v[8:9], 3, s[18:19]
	global_load_dwordx2 v[8:9], v[8:9], off
	ds_read_b64 v[10:11], v12
	v_cmp_gt_i32_e32 vcc, s30, v6
	v_cmp_le_i32_e64 s[0:1], s27, v6
	s_or_b64 s[0:1], vcc, s[0:1]
	s_waitcnt vmcnt(0) lgkmcnt(0)
	v_mul_f32_e64 v1, v9, -v11
	v_mul_f32_e32 v3, v9, v10
	v_fmac_f32_e32 v1, v10, v8
	v_fmac_f32_e32 v3, v11, v8
	s_and_saveexec_b64 s[14:15], s[0:1]
	s_xor_b64 s[0:1], exec, s[14:15]
	s_cbranch_execz .LBB24_82
; %bb.81:
	v_ashrrev_i32_e32 v7, 31, v6
	v_lshl_add_u64 v[8:9], v[6:7], 3, s[24:25]
	global_atomic_add_f32 v[8:9], v1, off
	global_atomic_add_f32 v[8:9], v3, off offset:4
                                        ; implicit-def: $vgpr1
                                        ; implicit-def: $vgpr3
.LBB24_82:
	s_andn2_saveexec_b64 s[0:1], s[0:1]
	s_cbranch_execz .LBB24_84
; %bb.83:
	v_subrev_u32_e32 v7, s30, v6
	v_mov_b32_e32 v8, 0x2000
	v_lshl_add_u32 v7, v7, 3, v8
	ds_add_f32 v7, v1
	ds_add_f32 v7, v3 offset:4
.LBB24_84:
	s_or_b64 exec, exec, s[10:11]
	v_ashrrev_i32_e32 v7, 31, v6
	v_lshl_add_u64 v[6:7], v[6:7], 3, s[18:19]
	global_load_dwordx2 v[6:7], v[6:7], off
	ds_read_b64 v[8:9], v12
	v_cndmask_b32_e64 v10, 0, 1, s[2:3]
	v_cmp_ne_u32_e64 s[0:1], 1, v10
	v_add_u32_e32 v1, 0x100, v2
	v_mov_b32_e32 v3, s26
	s_waitcnt lgkmcnt(0)
	v_xor_b32_e32 v10, 0x80000000, v9
	v_mov_b32_e32 v11, v8
	s_andn2_b64 vcc, exec, s[2:3]
	s_waitcnt vmcnt(0)
	v_pk_mul_f32 v[10:11], v[6:7], v[10:11] op_sel:[1,0]
	s_nop 0
	v_pk_fma_f32 v[6:7], v[8:9], v[6:7], v[10:11] op_sel_hi:[1,0,1]
	ds_write_b64 v12, v[6:7]
	v_mov_b32_e32 v6, s16
	s_cbranch_vccnz .LBB24_88
; %bb.85:
	s_mov_b64 s[10:11], 0
	v_mov_b32_e32 v3, s26
	v_mov_b32_e32 v6, s16
.LBB24_86:                              ; =>This Inner Loop Header: Depth=1
	v_add_u32_e32 v7, v6, v3
	v_lshrrev_b32_e32 v8, 31, v7
	v_add_u32_e32 v7, v7, v8
	v_ashrrev_i32_e32 v8, 1, v7
	v_ashrrev_i32_e32 v9, 31, v8
	v_lshl_add_u64 v[10:11], v[8:9], 2, s[12:13]
	global_load_dword v7, v[10:11], off
	s_waitcnt vmcnt(0)
	v_subrev_u32_e32 v7, s28, v7
	v_cmp_lt_i32_e32 vcc, v1, v7
	s_nop 1
	v_cndmask_b32_e32 v6, v6, v8, vcc
	v_cndmask_b32_e32 v3, v8, v3, vcc
	v_add_u32_e32 v7, -1, v6
	v_cmp_ge_i32_e32 vcc, v3, v6
	v_cmp_eq_u32_e64 s[2:3], v3, v7
	s_or_b64 s[2:3], vcc, s[2:3]
	s_and_b64 s[2:3], exec, s[2:3]
	s_or_b64 s[10:11], s[2:3], s[10:11]
	s_andn2_b64 exec, exec, s[10:11]
	s_cbranch_execnz .LBB24_86
; %bb.87:
	s_or_b64 exec, exec, s[10:11]
.LBB24_88:
	v_ashrrev_i32_e32 v7, 31, v6
	v_lshl_add_u64 v[8:9], v[6:7], 2, s[12:13]
	global_load_dword v7, v[8:9], off
	global_load_dword v10, v[4:5], off offset:1024
	s_waitcnt vmcnt(1)
	v_subrev_u32_e32 v7, s28, v7
	v_cmp_lt_i32_e32 vcc, v1, v7
	s_nop 1
	v_cndmask_b32_e32 v8, v6, v3, vcc
	s_waitcnt vmcnt(0)
	v_subrev_u32_e32 v6, s28, v10
	v_cmp_ne_u32_e32 vcc, v6, v8
	s_and_saveexec_b64 s[10:11], vcc
	s_cbranch_execz .LBB24_94
; %bb.89:
	s_load_dword s2, s[8:9], 0x0
	s_waitcnt lgkmcnt(0)
	s_sub_i32 s2, s2, s28
	v_cmp_gt_i32_e32 vcc, s2, v1
	s_and_b64 exec, exec, vcc
	s_cbranch_execz .LBB24_94
; %bb.90:
	v_ashrrev_i32_e32 v9, 31, v8
	v_lshl_add_u64 v[8:9], v[8:9], 3, s[18:19]
	global_load_dwordx2 v[8:9], v[8:9], off
	ds_read_b64 v[10:11], v12 offset:2048
	v_cmp_gt_i32_e32 vcc, s30, v6
	v_cmp_le_i32_e64 s[2:3], s27, v6
	s_or_b64 s[2:3], vcc, s[2:3]
	s_waitcnt vmcnt(0) lgkmcnt(0)
	v_mul_f32_e64 v1, v9, -v11
	v_mul_f32_e32 v3, v9, v10
	v_fmac_f32_e32 v1, v10, v8
	v_fmac_f32_e32 v3, v11, v8
	s_and_saveexec_b64 s[14:15], s[2:3]
	s_xor_b64 s[2:3], exec, s[14:15]
	s_cbranch_execz .LBB24_92
; %bb.91:
	v_ashrrev_i32_e32 v7, 31, v6
	v_lshl_add_u64 v[8:9], v[6:7], 3, s[24:25]
	global_atomic_add_f32 v[8:9], v1, off
	global_atomic_add_f32 v[8:9], v3, off offset:4
                                        ; implicit-def: $vgpr1
                                        ; implicit-def: $vgpr3
.LBB24_92:
	s_andn2_saveexec_b64 s[2:3], s[2:3]
	s_cbranch_execz .LBB24_94
; %bb.93:
	v_subrev_u32_e32 v7, s30, v6
	v_mov_b32_e32 v8, 0x2000
	v_lshl_add_u32 v7, v7, 3, v8
	ds_add_f32 v7, v1
	ds_add_f32 v7, v3 offset:4
.LBB24_94:
	s_or_b64 exec, exec, s[10:11]
	v_ashrrev_i32_e32 v7, 31, v6
	v_lshl_add_u64 v[6:7], v[6:7], 3, s[18:19]
	global_load_dwordx2 v[8:9], v[6:7], off
	ds_read_b64 v[10:11], v12 offset:2048
	v_add_u32_e32 v1, 0x200, v2
	s_and_b64 vcc, exec, s[0:1]
	v_mov_b32_e32 v6, s26
	s_waitcnt lgkmcnt(0)
	v_xor_b32_e32 v2, 0x80000000, v11
	v_mov_b32_e32 v3, v10
	s_waitcnt vmcnt(0)
	v_pk_mul_f32 v[2:3], v[8:9], v[2:3] op_sel:[1,0]
	s_nop 0
	v_pk_fma_f32 v[2:3], v[10:11], v[8:9], v[2:3] op_sel_hi:[1,0,1]
	ds_write_b64 v12, v[2:3] offset:2048
	v_mov_b32_e32 v2, s16
	s_cbranch_vccnz .LBB24_98
; %bb.95:
	s_mov_b64 s[10:11], 0
	v_mov_b32_e32 v6, s26
	v_mov_b32_e32 v2, s16
.LBB24_96:                              ; =>This Inner Loop Header: Depth=1
	v_add_u32_e32 v3, v2, v6
	v_lshrrev_b32_e32 v7, 31, v3
	v_add_u32_e32 v3, v3, v7
	v_ashrrev_i32_e32 v8, 1, v3
	v_ashrrev_i32_e32 v9, 31, v8
	v_lshl_add_u64 v[10:11], v[8:9], 2, s[12:13]
	global_load_dword v3, v[10:11], off
	s_waitcnt vmcnt(0)
	v_subrev_u32_e32 v3, s28, v3
	v_cmp_lt_i32_e32 vcc, v1, v3
	s_nop 1
	v_cndmask_b32_e32 v2, v2, v8, vcc
	v_cndmask_b32_e32 v6, v8, v6, vcc
	v_add_u32_e32 v3, -1, v2
	v_cmp_ge_i32_e32 vcc, v6, v2
	v_cmp_eq_u32_e64 s[2:3], v6, v3
	s_or_b64 s[2:3], vcc, s[2:3]
	s_and_b64 s[2:3], exec, s[2:3]
	s_or_b64 s[10:11], s[2:3], s[10:11]
	s_andn2_b64 exec, exec, s[10:11]
	s_cbranch_execnz .LBB24_96
; %bb.97:
	s_or_b64 exec, exec, s[10:11]
.LBB24_98:
	v_ashrrev_i32_e32 v3, 31, v2
	v_lshl_add_u64 v[8:9], v[2:3], 2, s[12:13]
	global_load_dword v3, v[8:9], off
	global_load_dword v7, v[4:5], off offset:2048
	s_waitcnt vmcnt(1)
	v_subrev_u32_e32 v3, s28, v3
	v_cmp_lt_i32_e32 vcc, v1, v3
	s_nop 1
	v_cndmask_b32_e32 v6, v2, v6, vcc
	s_waitcnt vmcnt(0)
	v_subrev_u32_e32 v2, s28, v7
	v_cmp_ne_u32_e32 vcc, v2, v6
	s_and_saveexec_b64 s[10:11], vcc
	s_cbranch_execz .LBB24_104
; %bb.99:
	s_load_dword s2, s[8:9], 0x0
	s_waitcnt lgkmcnt(0)
	s_sub_i32 s2, s2, s28
	v_cmp_gt_i32_e32 vcc, s2, v1
	s_and_b64 exec, exec, vcc
	s_cbranch_execz .LBB24_104
; %bb.100:
	v_ashrrev_i32_e32 v7, 31, v6
	v_lshl_add_u64 v[6:7], v[6:7], 3, s[18:19]
	global_load_dwordx2 v[8:9], v[6:7], off
	ds_read_b64 v[10:11], v12 offset:4096
	v_cmp_gt_i32_e32 vcc, s30, v2
	v_cmp_le_i32_e64 s[2:3], s27, v2
	s_or_b64 s[2:3], vcc, s[2:3]
	s_waitcnt vmcnt(0) lgkmcnt(0)
	v_mul_f32_e64 v1, v9, -v11
	v_mul_f32_e32 v6, v9, v10
	v_fmac_f32_e32 v1, v10, v8
	v_fmac_f32_e32 v6, v11, v8
	s_and_saveexec_b64 s[14:15], s[2:3]
	s_xor_b64 s[2:3], exec, s[14:15]
	s_cbranch_execz .LBB24_102
; %bb.101:
	v_ashrrev_i32_e32 v3, 31, v2
	v_lshl_add_u64 v[8:9], v[2:3], 3, s[24:25]
	global_atomic_add_f32 v[8:9], v1, off
	global_atomic_add_f32 v[8:9], v6, off offset:4
                                        ; implicit-def: $vgpr1
                                        ; implicit-def: $vgpr6
.LBB24_102:
	s_andn2_saveexec_b64 s[2:3], s[2:3]
	s_cbranch_execz .LBB24_104
; %bb.103:
	v_subrev_u32_e32 v3, s30, v2
	v_mov_b32_e32 v7, 0x2000
	v_lshl_add_u32 v3, v3, 3, v7
	ds_add_f32 v3, v1
	ds_add_f32 v3, v6 offset:4
.LBB24_104:
	s_or_b64 exec, exec, s[10:11]
	v_ashrrev_i32_e32 v3, 31, v2
	v_lshl_add_u64 v[2:3], v[2:3], 3, s[18:19]
	global_load_dwordx2 v[2:3], v[2:3], off
	ds_read_b64 v[6:7], v12 offset:4096
	s_and_b64 vcc, exec, s[0:1]
	v_mov_b32_e32 v1, s26
	s_waitcnt lgkmcnt(0)
	v_xor_b32_e32 v8, 0x80000000, v7
	v_mov_b32_e32 v9, v6
	s_waitcnt vmcnt(0)
	v_pk_mul_f32 v[8:9], v[2:3], v[8:9] op_sel:[1,0]
	s_nop 0
	v_pk_fma_f32 v[2:3], v[6:7], v[2:3], v[8:9] op_sel_hi:[1,0,1]
	ds_write_b64 v12, v[2:3] offset:4096
	v_mov_b32_e32 v2, s16
	s_cbranch_vccnz .LBB24_108
; %bb.105:
	s_mov_b64 s[2:3], 0
	v_mov_b32_e32 v1, s26
	v_mov_b32_e32 v2, s16
.LBB24_106:                             ; =>This Inner Loop Header: Depth=1
	v_add_u32_e32 v3, v2, v1
	v_lshrrev_b32_e32 v6, 31, v3
	v_add_u32_e32 v3, v3, v6
	v_ashrrev_i32_e32 v6, 1, v3
	v_ashrrev_i32_e32 v7, 31, v6
	v_lshl_add_u64 v[8:9], v[6:7], 2, s[12:13]
	global_load_dword v3, v[8:9], off
	s_waitcnt vmcnt(0)
	v_subrev_u32_e32 v3, s28, v3
	v_cmp_lt_i32_e32 vcc, v13, v3
	s_nop 1
	v_cndmask_b32_e32 v2, v2, v6, vcc
	v_cndmask_b32_e32 v1, v6, v1, vcc
	v_add_u32_e32 v3, -1, v2
	v_cmp_ge_i32_e32 vcc, v1, v2
	v_cmp_eq_u32_e64 s[0:1], v1, v3
	s_or_b64 s[0:1], vcc, s[0:1]
	s_and_b64 s[0:1], exec, s[0:1]
	s_or_b64 s[2:3], s[0:1], s[2:3]
	s_andn2_b64 exec, exec, s[2:3]
	s_cbranch_execnz .LBB24_106
; %bb.107:
	s_or_b64 exec, exec, s[2:3]
.LBB24_108:
	v_ashrrev_i32_e32 v3, 31, v2
	v_lshl_add_u64 v[6:7], v[2:3], 2, s[12:13]
	global_load_dword v3, v[6:7], off
	global_load_dword v8, v[4:5], off offset:3072
	s_waitcnt vmcnt(1)
	v_subrev_u32_e32 v3, s28, v3
	v_cmp_lt_i32_e32 vcc, v13, v3
	s_nop 1
	v_cndmask_b32_e32 v4, v2, v1, vcc
	s_waitcnt vmcnt(0)
	v_subrev_u32_e32 v2, s28, v8
	v_cmp_ne_u32_e32 vcc, v2, v4
	s_and_saveexec_b64 s[2:3], vcc
	s_cbranch_execz .LBB24_114
; %bb.109:
	s_load_dword s0, s[8:9], 0x0
	s_waitcnt lgkmcnt(0)
	s_sub_i32 s0, s0, s28
	v_cmp_gt_i32_e32 vcc, s0, v13
	s_and_b64 exec, exec, vcc
	s_cbranch_execz .LBB24_114
; %bb.110:
	v_ashrrev_i32_e32 v5, 31, v4
	v_lshl_add_u64 v[4:5], v[4:5], 3, s[18:19]
	global_load_dwordx2 v[6:7], v[4:5], off
	ds_read_b64 v[8:9], v12 offset:6144
	v_cmp_gt_i32_e32 vcc, s30, v2
	v_cmp_le_i32_e64 s[0:1], s27, v2
	s_or_b64 s[0:1], vcc, s[0:1]
	s_waitcnt vmcnt(0) lgkmcnt(0)
	v_mul_f32_e64 v1, v7, -v9
	v_mul_f32_e32 v4, v7, v8
	v_fmac_f32_e32 v1, v8, v6
	v_fmac_f32_e32 v4, v9, v6
	s_and_saveexec_b64 s[8:9], s[0:1]
	s_xor_b64 s[0:1], exec, s[8:9]
	s_cbranch_execz .LBB24_112
; %bb.111:
	v_ashrrev_i32_e32 v3, 31, v2
	v_lshl_add_u64 v[6:7], v[2:3], 3, s[24:25]
	global_atomic_add_f32 v[6:7], v1, off
	global_atomic_add_f32 v[6:7], v4, off offset:4
                                        ; implicit-def: $vgpr1
                                        ; implicit-def: $vgpr4
.LBB24_112:
	s_andn2_saveexec_b64 s[0:1], s[0:1]
	s_cbranch_execz .LBB24_114
; %bb.113:
	v_subrev_u32_e32 v3, s30, v2
	v_mov_b32_e32 v5, 0x2000
	v_lshl_add_u32 v3, v3, 3, v5
	ds_add_f32 v3, v1
	ds_add_f32 v3, v4 offset:4
.LBB24_114:
	s_or_b64 exec, exec, s[2:3]
	v_ashrrev_i32_e32 v3, 31, v2
	v_lshl_add_u64 v[2:3], v[2:3], 3, s[18:19]
	global_load_dwordx2 v[2:3], v[2:3], off
	ds_read_b64 v[4:5], v12 offset:6144
	s_waitcnt lgkmcnt(0)
	v_xor_b32_e32 v6, 0x80000000, v5
	v_mov_b32_e32 v7, v4
	s_waitcnt vmcnt(0)
	v_pk_mul_f32 v[6:7], v[2:3], v[6:7] op_sel:[1,0]
	s_nop 0
	v_pk_fma_f32 v[2:3], v[4:5], v[2:3], v[6:7] op_sel_hi:[1,0,1]
	ds_write_b64 v12, v[2:3] offset:6144
.LBB24_115:
	s_or_b64 exec, exec, s[6:7]
	s_min_i32 s6, s27, s22
	s_sub_i32 s10, s6, s23
	v_cmp_gt_i32_e32 vcc, s10, v0
	s_waitcnt lgkmcnt(0)
	s_barrier
	s_and_saveexec_b64 s[0:1], vcc
	s_cbranch_execz .LBB24_118
; %bb.116:
	v_mov_b32_e32 v1, 0x2000
	v_lshl_add_u32 v1, v0, 3, v1
	s_mov_b64 s[2:3], 0
	v_mov_b32_e32 v2, v0
.LBB24_117:                             ; =>This Inner Loop Header: Depth=1
	ds_read2_b32 v[4:5], v1 offset1:1
	v_add_u32_e32 v6, s30, v2
	v_ashrrev_i32_e32 v7, 31, v6
	v_lshl_add_u64 v[6:7], v[6:7], 3, s[24:25]
	v_add_u32_e32 v2, 0x100, v2
	s_waitcnt lgkmcnt(0)
	global_atomic_add_f32 v[6:7], v4, off
	global_atomic_add_f32 v[6:7], v5, off offset:4
	v_cmp_le_i32_e32 vcc, s10, v2
	s_or_b64 s[2:3], vcc, s[2:3]
	v_add_u32_e32 v1, 0x800, v1
	s_andn2_b64 exec, exec, s[2:3]
	s_cbranch_execnz .LBB24_117
.LBB24_118:
	s_or_b64 exec, exec, s[0:1]
	s_mul_i32 s0, s21, s23
	s_sub_i32 s0, s20, s0
	s_add_i32 s1, s21, 1
	s_sub_i32 s2, s0, s23
	s_cmp_ge_u32 s0, s23
	s_cselect_b32 s1, s1, s21
	s_cselect_b32 s0, s2, s0
	s_add_i32 s2, s1, 1
	s_cmp_ge_u32 s0, s23
	s_cselect_b32 s0, s2, s1
	s_add_i32 s0, s0, -1
	s_ashr_i32 s1, s0, 1
	s_or_b32 s0, s1, s0
	s_ashr_i32 s1, s0, 2
	s_or_b32 s0, s1, s0
	;; [unrolled: 2-line block ×5, first 2 shown]
	s_add_i32 s0, s0, 1
	s_ashr_i32 s11, s0, 1
	v_add_u32_e32 v2, s26, v0
	s_cmp_gt_i32 s11, 1
	s_mov_b64 s[0:1], -1
	s_barrier
	s_cbranch_scc1 .LBB24_127
; %bb.119:
	v_cmp_gt_i32_e32 vcc, s27, v2
	s_and_saveexec_b64 s[0:1], vcc
	s_cbranch_execz .LBB24_126
; %bb.120:
	s_sub_i32 s2, s6, s27
	s_lshl_b32 s2, s2, 3
	s_add_i32 s14, s2, 0x2000
	s_lshl_b32 s2, s29, 3
	s_sub_i32 s15, 0, s2
	s_mov_b64 s[2:3], 0
	v_mov_b32_e32 v4, v2
	s_branch .LBB24_122
.LBB24_121:                             ;   in Loop: Header=BB24_122 Depth=1
	s_or_b64 exec, exec, s[6:7]
	v_lshl_add_u32 v1, v4, 3, s14
	ds_read2_b32 v[8:9], v1 offset1:1
	s_waitcnt lgkmcnt(0)
	v_add_f32_e32 v1, v6, v8
	v_add_f32_e32 v3, v7, v9
	v_lshl_add_u64 v[6:7], v[4:5], 3, s[24:25]
	global_atomic_add_f32 v[6:7], v1, off
	global_atomic_add_f32 v[6:7], v3, off offset:4
	v_add_u32_e32 v4, s20, v4
	v_cmp_le_i32_e32 vcc, s27, v4
	s_or_b64 s[2:3], vcc, s[2:3]
	s_andn2_b64 exec, exec, s[2:3]
	s_cbranch_execz .LBB24_126
.LBB24_122:                             ; =>This Loop Header: Depth=1
                                        ;     Child Loop BB24_124 Depth 2
	v_ashrrev_i32_e32 v5, 31, v4
	v_lshl_add_u64 v[6:7], v[4:5], 2, s[12:13]
	global_load_dwordx2 v[8:9], v[6:7], off
	v_mov_b32_e32 v7, 0
	v_mov_b32_e32 v6, v7
	s_waitcnt vmcnt(0)
	v_cmp_lt_i32_e32 vcc, v8, v9
	s_and_saveexec_b64 s[6:7], vcc
	s_cbranch_execz .LBB24_121
; %bb.123:                              ;   in Loop: Header=BB24_122 Depth=1
	v_mov_b32_e32 v6, 0
	v_subrev_u32_e32 v1, s29, v9
	v_subrev_u32_e32 v3, s29, v8
	v_lshl_add_u32 v8, v8, 3, s15
	s_mov_b64 s[8:9], 0
	v_mov_b32_e32 v7, v6
.LBB24_124:                             ;   Parent Loop BB24_122 Depth=1
                                        ; =>  This Inner Loop Header: Depth=2
	ds_read_b64 v[10:11], v8
	v_add_u32_e32 v3, 1, v3
	v_cmp_ge_i32_e32 vcc, v3, v1
	v_add_u32_e32 v8, 8, v8
	s_or_b64 s[8:9], vcc, s[8:9]
	s_waitcnt lgkmcnt(0)
	v_pk_add_f32 v[6:7], v[6:7], v[10:11]
	s_andn2_b64 exec, exec, s[8:9]
	s_cbranch_execnz .LBB24_124
; %bb.125:                              ;   in Loop: Header=BB24_122 Depth=1
	s_or_b64 exec, exec, s[8:9]
	s_branch .LBB24_121
.LBB24_126:
	s_or_b64 exec, exec, s[0:1]
	s_mov_b64 s[0:1], 0
.LBB24_127:
	s_andn2_b64 vcc, exec, s[0:1]
	s_cbranch_vccnz .LBB24_140
; %bb.128:
	v_cvt_f32_u32_e32 v1, s11
	s_sub_i32 s0, 0, s11
	v_mov_b32_e32 v5, 0
	v_rcp_iflag_f32_e32 v1, v1
	s_nop 0
	v_mul_f32_e32 v1, 0x4f7ffffe, v1
	v_cvt_u32_f32_e32 v1, v1
	v_mul_lo_u32 v3, s0, v1
	v_mul_hi_u32 v3, v1, v3
	v_add_u32_e32 v1, v1, v3
	v_mul_hi_u32 v1, v0, v1
	v_mul_lo_u32 v3, v1, s11
	v_sub_u32_e32 v3, v0, v3
	v_add_u32_e32 v4, 1, v1
	v_cmp_le_u32_e32 vcc, s11, v3
	s_nop 1
	v_cndmask_b32_e32 v1, v1, v4, vcc
	v_subrev_u32_e32 v4, s11, v3
	v_cndmask_b32_e32 v3, v3, v4, vcc
	v_add_u32_e32 v4, 1, v1
	v_cmp_le_u32_e32 vcc, s11, v3
	s_nop 1
	v_cndmask_b32_e32 v1, v1, v4, vcc
	v_lshlrev_b32_e32 v3, 2, v1
	global_load_dwordx2 v[6:7], v3, s[4:5]
	v_cmp_gt_i32_e32 vcc, s23, v1
	v_mov_b32_e32 v4, 0
	s_and_saveexec_b64 s[0:1], vcc
	s_cbranch_execz .LBB24_136
; %bb.129:
	s_abs_i32 s4, s11
	v_cvt_f32_u32_e32 v3, s4
	s_waitcnt vmcnt(0)
	v_subrev_u32_e32 v6, s29, v6
	v_subrev_u32_e32 v1, s29, v7
	v_sub_u32_e32 v4, v1, v6
	v_rcp_iflag_f32_e32 v3, v3
	s_sub_i32 s2, 0, s4
	v_sub_u32_e32 v5, 0, v4
	v_ashrrev_i32_e32 v7, 31, v4
	v_mul_f32_e32 v3, 0x4f7ffffe, v3
	v_cvt_u32_f32_e32 v3, v3
	v_max_i32_e32 v8, v4, v5
	s_ashr_i32 s5, s11, 31
	v_mul_lo_u32 v4, s2, v3
	v_mul_hi_u32 v4, v3, v4
	v_add_u32_e32 v3, v3, v4
	v_mad_u64_u32 v[4:5], s[2:3], v8, v3, 0
	v_mul_lo_u32 v4, v5, s4
	v_sub_u32_e32 v4, v8, v4
	v_xor_b32_e32 v3, s5, v7
	v_add_u32_e32 v7, 1, v5
	v_cmp_le_u32_e32 vcc, s4, v4
	s_add_i32 s2, s11, -1
	v_and_b32_e32 v8, s2, v0
	v_cndmask_b32_e32 v5, v5, v7, vcc
	v_subrev_u32_e32 v7, s4, v4
	v_cndmask_b32_e32 v4, v4, v7, vcc
	v_add_u32_e32 v7, 1, v5
	v_cmp_le_u32_e32 vcc, s4, v4
	s_nop 1
	v_cndmask_b32_e32 v4, v5, v7, vcc
	v_xor_b32_e32 v4, v4, v3
	v_sub_u32_e32 v7, v4, v3
	v_mov_b32_e32 v5, 0
	v_cmp_lt_i32_e32 vcc, 0, v7
	v_lshlrev_b32_e32 v3, 3, v8
	v_mov_b32_e32 v4, v5
	s_and_saveexec_b64 s[2:3], vcc
	s_cbranch_execz .LBB24_133
; %bb.130:
	v_mov_b32_e32 v4, 0
	v_lshl_add_u32 v9, v6, 3, v3
	s_lshl_b32 s6, s11, 3
	s_mov_b64 s[4:5], 0
	v_mov_b32_e32 v10, v7
	v_mov_b32_e32 v5, v4
.LBB24_131:                             ; =>This Inner Loop Header: Depth=1
	ds_read_b64 v[14:15], v9
	v_add_u32_e32 v10, -1, v10
	v_cmp_eq_u32_e32 vcc, 0, v10
	v_add_u32_e32 v9, s6, v9
	s_or_b64 s[4:5], vcc, s[4:5]
	s_waitcnt lgkmcnt(0)
	v_pk_add_f32 v[4:5], v[4:5], v[14:15]
	s_andn2_b64 exec, exec, s[4:5]
	s_cbranch_execnz .LBB24_131
; %bb.132:
	s_or_b64 exec, exec, s[4:5]
.LBB24_133:
	s_or_b64 exec, exec, s[2:3]
	v_mad_u64_u32 v[6:7], s[2:3], v7, s11, v[6:7]
	v_sub_u32_e32 v1, v1, v6
	v_cmp_lt_i32_e32 vcc, v8, v1
	s_and_saveexec_b64 s[2:3], vcc
	s_cbranch_execz .LBB24_135
; %bb.134:
	v_lshl_add_u32 v1, v6, 3, v3
	ds_read_b64 v[6:7], v1
	s_waitcnt lgkmcnt(0)
	v_pk_add_f32 v[4:5], v[4:5], v[6:7]
.LBB24_135:
	s_or_b64 exec, exec, s[2:3]
.LBB24_136:
	s_or_b64 exec, exec, s[0:1]
	v_cmp_gt_i32_e32 vcc, s23, v0
	s_barrier
	ds_write_b64 v12, v[4:5]
	s_waitcnt lgkmcnt(0)
	s_barrier
	s_and_b64 exec, exec, vcc
	s_cbranch_execz .LBB24_140
; %bb.137:
	v_mul_lo_u32 v1, s11, v0
	v_mov_b32_e32 v4, 0
	v_lshlrev_b32_e32 v1, 3, v1
	v_mov_b32_e32 v5, v4
.LBB24_138:                             ; =>This Inner Loop Header: Depth=1
	s_waitcnt vmcnt(0)
	ds_read_b64 v[6:7], v1
	s_add_i32 s11, s11, -1
	v_add_u32_e32 v1, 8, v1
	s_cmp_eq_u32 s11, 0
	s_waitcnt lgkmcnt(0)
	v_pk_add_f32 v[4:5], v[4:5], v[6:7]
	s_cbranch_scc0 .LBB24_138
; %bb.139:
	s_lshl_b32 s0, s10, 3
	s_addk_i32 s0, 0x2000
	v_lshl_add_u32 v0, v0, 3, s0
	ds_read2_b32 v[0:1], v0 offset1:1
	v_ashrrev_i32_e32 v3, 31, v2
	s_waitcnt lgkmcnt(0)
	v_add_f32_e32 v4, v4, v0
	v_add_f32_e32 v5, v5, v1
	v_lshl_add_u64 v[0:1], v[2:3], 3, s[24:25]
	global_atomic_add_f32 v[0:1], v4, off
	global_atomic_add_f32 v[0:1], v5, off offset:4
.LBB24_140:
	s_endpgm
	.section	.rodata,"a",@progbits
	.p2align	6, 0x0
	.amdhsa_kernel _ZN9rocsparseL27csrmvn_symm_adaptive_kernelIii21rocsparse_complex_numIfES2_S2_S2_EEvbT_S3_PKS3_NS_24const_host_device_scalarIT4_EES5_PKT0_PKT1_PKT2_S8_PT3_21rocsparse_index_base_b
		.amdhsa_group_segment_fixed_size 8192
		.amdhsa_private_segment_fixed_size 0
		.amdhsa_kernarg_size 344
		.amdhsa_user_sgpr_count 2
		.amdhsa_user_sgpr_dispatch_ptr 0
		.amdhsa_user_sgpr_queue_ptr 0
		.amdhsa_user_sgpr_kernarg_segment_ptr 1
		.amdhsa_user_sgpr_dispatch_id 0
		.amdhsa_user_sgpr_kernarg_preload_length 0
		.amdhsa_user_sgpr_kernarg_preload_offset 0
		.amdhsa_user_sgpr_private_segment_size 0
		.amdhsa_uses_dynamic_stack 0
		.amdhsa_enable_private_segment 0
		.amdhsa_system_sgpr_workgroup_id_x 1
		.amdhsa_system_sgpr_workgroup_id_y 0
		.amdhsa_system_sgpr_workgroup_id_z 0
		.amdhsa_system_sgpr_workgroup_info 0
		.amdhsa_system_vgpr_workitem_id 0
		.amdhsa_next_free_vgpr 26
		.amdhsa_next_free_sgpr 46
		.amdhsa_accum_offset 28
		.amdhsa_reserve_vcc 1
		.amdhsa_float_round_mode_32 0
		.amdhsa_float_round_mode_16_64 0
		.amdhsa_float_denorm_mode_32 3
		.amdhsa_float_denorm_mode_16_64 3
		.amdhsa_dx10_clamp 1
		.amdhsa_ieee_mode 1
		.amdhsa_fp16_overflow 0
		.amdhsa_tg_split 0
		.amdhsa_exception_fp_ieee_invalid_op 0
		.amdhsa_exception_fp_denorm_src 0
		.amdhsa_exception_fp_ieee_div_zero 0
		.amdhsa_exception_fp_ieee_overflow 0
		.amdhsa_exception_fp_ieee_underflow 0
		.amdhsa_exception_fp_ieee_inexact 0
		.amdhsa_exception_int_div_zero 0
	.end_amdhsa_kernel
	.section	.text._ZN9rocsparseL27csrmvn_symm_adaptive_kernelIii21rocsparse_complex_numIfES2_S2_S2_EEvbT_S3_PKS3_NS_24const_host_device_scalarIT4_EES5_PKT0_PKT1_PKT2_S8_PT3_21rocsparse_index_base_b,"axG",@progbits,_ZN9rocsparseL27csrmvn_symm_adaptive_kernelIii21rocsparse_complex_numIfES2_S2_S2_EEvbT_S3_PKS3_NS_24const_host_device_scalarIT4_EES5_PKT0_PKT1_PKT2_S8_PT3_21rocsparse_index_base_b,comdat
.Lfunc_end24:
	.size	_ZN9rocsparseL27csrmvn_symm_adaptive_kernelIii21rocsparse_complex_numIfES2_S2_S2_EEvbT_S3_PKS3_NS_24const_host_device_scalarIT4_EES5_PKT0_PKT1_PKT2_S8_PT3_21rocsparse_index_base_b, .Lfunc_end24-_ZN9rocsparseL27csrmvn_symm_adaptive_kernelIii21rocsparse_complex_numIfES2_S2_S2_EEvbT_S3_PKS3_NS_24const_host_device_scalarIT4_EES5_PKT0_PKT1_PKT2_S8_PT3_21rocsparse_index_base_b
                                        ; -- End function
	.set _ZN9rocsparseL27csrmvn_symm_adaptive_kernelIii21rocsparse_complex_numIfES2_S2_S2_EEvbT_S3_PKS3_NS_24const_host_device_scalarIT4_EES5_PKT0_PKT1_PKT2_S8_PT3_21rocsparse_index_base_b.num_vgpr, 26
	.set _ZN9rocsparseL27csrmvn_symm_adaptive_kernelIii21rocsparse_complex_numIfES2_S2_S2_EEvbT_S3_PKS3_NS_24const_host_device_scalarIT4_EES5_PKT0_PKT1_PKT2_S8_PT3_21rocsparse_index_base_b.num_agpr, 0
	.set _ZN9rocsparseL27csrmvn_symm_adaptive_kernelIii21rocsparse_complex_numIfES2_S2_S2_EEvbT_S3_PKS3_NS_24const_host_device_scalarIT4_EES5_PKT0_PKT1_PKT2_S8_PT3_21rocsparse_index_base_b.numbered_sgpr, 46
	.set _ZN9rocsparseL27csrmvn_symm_adaptive_kernelIii21rocsparse_complex_numIfES2_S2_S2_EEvbT_S3_PKS3_NS_24const_host_device_scalarIT4_EES5_PKT0_PKT1_PKT2_S8_PT3_21rocsparse_index_base_b.num_named_barrier, 0
	.set _ZN9rocsparseL27csrmvn_symm_adaptive_kernelIii21rocsparse_complex_numIfES2_S2_S2_EEvbT_S3_PKS3_NS_24const_host_device_scalarIT4_EES5_PKT0_PKT1_PKT2_S8_PT3_21rocsparse_index_base_b.private_seg_size, 0
	.set _ZN9rocsparseL27csrmvn_symm_adaptive_kernelIii21rocsparse_complex_numIfES2_S2_S2_EEvbT_S3_PKS3_NS_24const_host_device_scalarIT4_EES5_PKT0_PKT1_PKT2_S8_PT3_21rocsparse_index_base_b.uses_vcc, 1
	.set _ZN9rocsparseL27csrmvn_symm_adaptive_kernelIii21rocsparse_complex_numIfES2_S2_S2_EEvbT_S3_PKS3_NS_24const_host_device_scalarIT4_EES5_PKT0_PKT1_PKT2_S8_PT3_21rocsparse_index_base_b.uses_flat_scratch, 0
	.set _ZN9rocsparseL27csrmvn_symm_adaptive_kernelIii21rocsparse_complex_numIfES2_S2_S2_EEvbT_S3_PKS3_NS_24const_host_device_scalarIT4_EES5_PKT0_PKT1_PKT2_S8_PT3_21rocsparse_index_base_b.has_dyn_sized_stack, 0
	.set _ZN9rocsparseL27csrmvn_symm_adaptive_kernelIii21rocsparse_complex_numIfES2_S2_S2_EEvbT_S3_PKS3_NS_24const_host_device_scalarIT4_EES5_PKT0_PKT1_PKT2_S8_PT3_21rocsparse_index_base_b.has_recursion, 0
	.set _ZN9rocsparseL27csrmvn_symm_adaptive_kernelIii21rocsparse_complex_numIfES2_S2_S2_EEvbT_S3_PKS3_NS_24const_host_device_scalarIT4_EES5_PKT0_PKT1_PKT2_S8_PT3_21rocsparse_index_base_b.has_indirect_call, 0
	.section	.AMDGPU.csdata,"",@progbits
; Kernel info:
; codeLenInByte = 6492
; TotalNumSgprs: 52
; NumVgprs: 26
; NumAgprs: 0
; TotalNumVgprs: 26
; ScratchSize: 0
; MemoryBound: 0
; FloatMode: 240
; IeeeMode: 1
; LDSByteSize: 8192 bytes/workgroup (compile time only)
; SGPRBlocks: 6
; VGPRBlocks: 3
; NumSGPRsForWavesPerEU: 52
; NumVGPRsForWavesPerEU: 26
; AccumOffset: 28
; Occupancy: 8
; WaveLimiterHint : 1
; COMPUTE_PGM_RSRC2:SCRATCH_EN: 0
; COMPUTE_PGM_RSRC2:USER_SGPR: 2
; COMPUTE_PGM_RSRC2:TRAP_HANDLER: 0
; COMPUTE_PGM_RSRC2:TGID_X_EN: 1
; COMPUTE_PGM_RSRC2:TGID_Y_EN: 0
; COMPUTE_PGM_RSRC2:TGID_Z_EN: 0
; COMPUTE_PGM_RSRC2:TIDIG_COMP_CNT: 0
; COMPUTE_PGM_RSRC3_GFX90A:ACCUM_OFFSET: 6
; COMPUTE_PGM_RSRC3_GFX90A:TG_SPLIT: 0
	.section	.text._ZL33csrmvn_symm_large_adaptive_kernelIii21rocsparse_complex_numIfES1_S1_S1_EvbT_PKS2_N9rocsparse24const_host_device_scalarIT4_EES4_PKT0_PKT1_PKT2_S8_PT3_21rocsparse_index_base_b,"axG",@progbits,_ZL33csrmvn_symm_large_adaptive_kernelIii21rocsparse_complex_numIfES1_S1_S1_EvbT_PKS2_N9rocsparse24const_host_device_scalarIT4_EES4_PKT0_PKT1_PKT2_S8_PT3_21rocsparse_index_base_b,comdat
	.globl	_ZL33csrmvn_symm_large_adaptive_kernelIii21rocsparse_complex_numIfES1_S1_S1_EvbT_PKS2_N9rocsparse24const_host_device_scalarIT4_EES4_PKT0_PKT1_PKT2_S8_PT3_21rocsparse_index_base_b ; -- Begin function _ZL33csrmvn_symm_large_adaptive_kernelIii21rocsparse_complex_numIfES1_S1_S1_EvbT_PKS2_N9rocsparse24const_host_device_scalarIT4_EES4_PKT0_PKT1_PKT2_S8_PT3_21rocsparse_index_base_b
	.p2align	8
	.type	_ZL33csrmvn_symm_large_adaptive_kernelIii21rocsparse_complex_numIfES1_S1_S1_EvbT_PKS2_N9rocsparse24const_host_device_scalarIT4_EES4_PKT0_PKT1_PKT2_S8_PT3_21rocsparse_index_base_b,@function
_ZL33csrmvn_symm_large_adaptive_kernelIii21rocsparse_complex_numIfES1_S1_S1_EvbT_PKS2_N9rocsparse24const_host_device_scalarIT4_EES4_PKT0_PKT1_PKT2_S8_PT3_21rocsparse_index_base_b: ; @_ZL33csrmvn_symm_large_adaptive_kernelIii21rocsparse_complex_numIfES1_S1_S1_EvbT_PKS2_N9rocsparse24const_host_device_scalarIT4_EES4_PKT0_PKT1_PKT2_S8_PT3_21rocsparse_index_base_b
; %bb.0:
	s_load_dwordx2 s[16:17], s[0:1], 0x48
	s_load_dwordx2 s[4:5], s[0:1], 0x10
	s_add_u32 s3, s0, 16
	s_addc_u32 s10, s1, 0
	s_waitcnt lgkmcnt(0)
	s_bitcmp1_b32 s17, 0
	s_cselect_b64 s[8:9], -1, 0
	s_and_b64 s[6:7], s[8:9], exec
	s_cselect_b32 s5, s10, s5
	s_cselect_b32 s3, s3, s4
	v_mov_b32_e32 v2, s3
	v_mov_b32_e32 v3, s5
	flat_load_dwordx2 v[2:3], v[2:3]
	s_waitcnt vmcnt(0) lgkmcnt(0)
	v_cmp_eq_f32_e32 vcc, 0, v2
	v_cmp_eq_f32_e64 s[4:5], 0, v3
	s_and_b64 s[10:11], vcc, s[4:5]
	s_mov_b64 s[4:5], -1
	s_and_saveexec_b64 s[6:7], s[10:11]
	s_cbranch_execz .LBB25_2
; %bb.1:
	s_load_dwordx2 s[4:5], s[0:1], 0x38
	s_add_u32 s3, s0, 56
	s_addc_u32 s10, s1, 0
	s_and_b64 s[8:9], s[8:9], exec
	s_waitcnt lgkmcnt(0)
	s_cselect_b32 s5, s10, s5
	s_cselect_b32 s3, s3, s4
	v_mov_b32_e32 v4, s3
	v_mov_b32_e32 v5, s5
	flat_load_dwordx2 v[4:5], v[4:5]
	s_waitcnt vmcnt(0) lgkmcnt(0)
	v_cmp_neq_f32_e32 vcc, 1.0, v4
	v_cmp_neq_f32_e64 s[4:5], 0, v5
	s_or_b64 s[4:5], vcc, s[4:5]
	s_orn2_b64 s[4:5], s[4:5], exec
.LBB25_2:
	s_or_b64 exec, exec, s[6:7]
	s_and_saveexec_b64 s[6:7], s[4:5]
	s_cbranch_execz .LBB25_36
; %bb.3:
	s_load_dword s3, s[0:1], 0x0
	s_load_dwordx2 s[4:5], s[0:1], 0x8
	s_mov_b32 s6, 0
	s_mov_b32 s7, s6
	v_lshlrev_b32_e32 v10, 3, v0
	s_waitcnt lgkmcnt(0)
	s_bitcmp1_b32 s3, 0
	s_cselect_b64 s[18:19], -1, 0
	s_ashr_i32 s3, s2, 31
	s_lshl_b64 s[2:3], s[2:3], 2
	s_add_u32 s2, s4, s2
	v_mov_b64_e32 v[4:5], s[6:7]
	s_addc_u32 s3, s5, s3
	ds_write2st64_b64 v10, v[4:5], v[4:5] offset1:4
	ds_write2st64_b64 v10, v[4:5], v[4:5] offset0:8 offset1:12
	s_waitcnt lgkmcnt(0)
	s_barrier
	s_load_dwordx2 s[20:21], s[2:3], 0x0
	s_load_dwordx8 s[8:15], s[0:1], 0x18
	s_load_dwordx2 s[22:23], s[0:1], 0x40
	v_subrev_u32_e32 v11, s16, v0
	s_waitcnt lgkmcnt(0)
	s_cmp_ge_i32 s20, s21
	s_cbranch_scc1 .LBB25_27
; %bb.4:
	s_add_u32 s24, s12, 4
	v_cmp_gt_u32_e32 vcc, 64, v0
	v_cmp_gt_u32_e64 s[0:1], 16, v0
	v_cmp_gt_u32_e64 s[2:3], 4, v0
	v_cmp_eq_u32_e64 s[4:5], 0, v0
	s_addc_u32 s25, s13, 0
	s_mov_b64 s[26:27], 0x400
	s_mov_b64 s[28:29], 0x800
	v_mov_b32_e32 v12, 0
	s_mov_b32 s30, s20
	s_branch .LBB25_6
.LBB25_5:                               ;   in Loop: Header=BB25_6 Depth=1
	s_or_b64 exec, exec, s[34:35]
	s_add_i32 s30, s30, 1
	s_cmp_ge_i32 s30, s21
	s_cbranch_scc1 .LBB25_27
.LBB25_6:                               ; =>This Loop Header: Depth=1
                                        ;     Child Loop BB25_8 Depth 2
                                        ;     Child Loop BB25_20 Depth 2
	;; [unrolled: 1-line block ×3, first 2 shown]
	s_ashr_i32 s31, s30, 31
	s_lshl_b64 s[6:7], s[30:31], 2
	s_add_u32 s6, s8, s6
	s_addc_u32 s7, s9, s7
	s_load_dwordx2 s[34:35], s[6:7], 0x0
	v_mov_b32_e32 v1, 0
	v_mov_b32_e32 v0, 0
	s_waitcnt lgkmcnt(0)
	v_add_u32_e32 v4, s34, v11
	s_sub_i32 s17, s35, s16
	v_cmp_gt_i32_e64 s[6:7], s17, v4
	s_and_saveexec_b64 s[34:35], s[6:7]
	s_cbranch_execz .LBB25_10
; %bb.7:                                ;   in Loop: Header=BB25_6 Depth=1
	v_ashrrev_i32_e32 v5, 31, v4
	v_mov_b32_e32 v0, 0
	v_lshl_add_u64 v[6:7], v[4:5], 2, s[10:11]
	v_lshl_add_u64 v[8:9], v[4:5], 3, s[24:25]
	s_mov_b64 s[36:37], 0
	v_mov_b32_e32 v1, v0
.LBB25_8:                               ;   Parent Loop BB25_6 Depth=1
                                        ; =>  This Inner Loop Header: Depth=2
	global_load_dword v5, v[6:7], off
	global_load_dwordx2 v[14:15], v[8:9], off offset:-4
	v_add_u32_e32 v4, 0x100, v4
	v_cmp_le_i32_e64 s[6:7], s17, v4
	v_lshl_add_u64 v[6:7], v[6:7], 0, s[26:27]
	v_lshl_add_u64 v[8:9], v[8:9], 0, s[28:29]
	s_or_b64 s[36:37], s[6:7], s[36:37]
	s_waitcnt vmcnt(1)
	v_subrev_u32_e32 v16, s16, v5
	v_ashrrev_i32_e32 v17, 31, v16
	v_lshl_add_u64 v[16:17], v[16:17], 3, s[14:15]
	global_load_dwordx2 v[16:17], v[16:17], off
	s_waitcnt vmcnt(1)
	v_cndmask_b32_e64 v15, v15, -v15, s[18:19]
	v_mov_b32_e32 v19, v14
	v_xor_b32_e32 v18, 0x80000000, v15
	s_waitcnt vmcnt(0)
	v_pk_fma_f32 v[0:1], v[14:15], v[16:17], v[0:1] op_sel_hi:[1,0,1]
	s_nop 0
	v_pk_fma_f32 v[0:1], v[18:19], v[16:17], v[0:1] op_sel:[0,1,0]
	s_andn2_b64 exec, exec, s[36:37]
	s_cbranch_execnz .LBB25_8
; %bb.9:                                ;   in Loop: Header=BB25_6 Depth=1
	s_or_b64 exec, exec, s[36:37]
.LBB25_10:                              ;   in Loop: Header=BB25_6 Depth=1
	s_or_b64 exec, exec, s[34:35]
	ds_write_b64 v10, v[0:1]
	s_waitcnt lgkmcnt(0)
	s_barrier
	ds_read2st64_b64 v[4:7], v10 offset1:4
	ds_read2st64_b64 v[14:17], v10 offset0:8 offset1:12
	s_waitcnt lgkmcnt(0)
	v_pk_add_f32 v[0:1], v[14:15], v[6:7]
	s_nop 0
	v_pk_add_f32 v[0:1], v[16:17], v[0:1]
	s_nop 0
	v_pk_add_f32 v[0:1], v[0:1], v[4:5]
	ds_write_b64 v10, v[0:1]
	s_waitcnt lgkmcnt(0)
	s_barrier
	s_and_saveexec_b64 s[6:7], vcc
	s_cbranch_execz .LBB25_12
; %bb.11:                               ;   in Loop: Header=BB25_6 Depth=1
	ds_read2st64_b64 v[4:7], v10 offset1:1
	ds_read2st64_b64 v[14:17], v10 offset0:2 offset1:3
	s_waitcnt lgkmcnt(0)
	v_pk_add_f32 v[0:1], v[14:15], v[6:7]
	s_nop 0
	v_pk_add_f32 v[0:1], v[16:17], v[0:1]
	s_nop 0
	v_pk_add_f32 v[0:1], v[0:1], v[4:5]
	ds_write_b64 v10, v[0:1]
.LBB25_12:                              ;   in Loop: Header=BB25_6 Depth=1
	s_or_b64 exec, exec, s[6:7]
	s_waitcnt lgkmcnt(0)
	s_barrier
	s_and_saveexec_b64 s[6:7], s[0:1]
	s_cbranch_execz .LBB25_14
; %bb.13:                               ;   in Loop: Header=BB25_6 Depth=1
	ds_read2_b64 v[4:7], v10 offset1:16
	ds_read2_b64 v[14:17], v10 offset0:32 offset1:48
	s_waitcnt lgkmcnt(0)
	v_pk_add_f32 v[0:1], v[14:15], v[6:7]
	s_nop 0
	v_pk_add_f32 v[0:1], v[16:17], v[0:1]
	s_nop 0
	v_pk_add_f32 v[0:1], v[0:1], v[4:5]
	ds_write_b64 v10, v[0:1]
.LBB25_14:                              ;   in Loop: Header=BB25_6 Depth=1
	s_or_b64 exec, exec, s[6:7]
	s_waitcnt lgkmcnt(0)
	s_barrier
	s_and_saveexec_b64 s[6:7], s[2:3]
	s_cbranch_execz .LBB25_16
; %bb.15:                               ;   in Loop: Header=BB25_6 Depth=1
	ds_read2_b64 v[4:7], v10 offset1:4
	ds_read2_b64 v[14:17], v10 offset0:8 offset1:12
	s_waitcnt lgkmcnt(0)
	v_pk_add_f32 v[0:1], v[14:15], v[6:7]
	s_nop 0
	v_pk_add_f32 v[0:1], v[16:17], v[0:1]
	s_nop 0
	v_pk_add_f32 v[0:1], v[0:1], v[4:5]
	ds_write_b64 v10, v[0:1]
.LBB25_16:                              ;   in Loop: Header=BB25_6 Depth=1
	s_or_b64 exec, exec, s[6:7]
	s_waitcnt lgkmcnt(0)
	s_barrier
	s_and_saveexec_b64 s[6:7], s[4:5]
	s_cbranch_execz .LBB25_18
; %bb.17:                               ;   in Loop: Header=BB25_6 Depth=1
	ds_read_b128 v[4:7], v12 offset:16
	ds_read_b64 v[0:1], v12 offset:8
	ds_read_b64 v[8:9], v10
	s_waitcnt lgkmcnt(1)
	v_pk_add_f32 v[0:1], v[4:5], v[0:1]
	s_nop 0
	v_pk_add_f32 v[0:1], v[6:7], v[0:1]
	s_waitcnt lgkmcnt(0)
	v_pk_add_f32 v[0:1], v[0:1], v[8:9]
	ds_write_b64 v10, v[0:1]
.LBB25_18:                              ;   in Loop: Header=BB25_6 Depth=1
	s_or_b64 exec, exec, s[6:7]
	s_waitcnt lgkmcnt(0)
	s_barrier
	s_and_saveexec_b64 s[34:35], s[4:5]
	s_cbranch_execz .LBB25_5
; %bb.19:                               ;   in Loop: Header=BB25_6 Depth=1
	ds_read_b64 v[0:1], v12
	s_mov_b64 s[6:7], exec
	v_bfrev_b32_e32 v4, 1
	s_waitcnt lgkmcnt(0)
	v_mul_f32_e64 v5, v1, -v3
	v_fmac_f32_e32 v5, v2, v0
.LBB25_20:                              ;   Parent Loop BB25_6 Depth=1
                                        ; =>  This Inner Loop Header: Depth=2
	s_ff1_i32_b64 s17, s[6:7]
	s_lshl_b64 s[36:37], 1, s17
	v_readlane_b32 s33, v5, s17
	s_andn2_b64 s[6:7], s[6:7], s[36:37]
	s_cmp_lg_u64 s[6:7], 0
	v_add_f32_e32 v4, s33, v4
	s_cbranch_scc1 .LBB25_20
; %bb.21:                               ;   in Loop: Header=BB25_6 Depth=1
	s_lshl_b64 s[6:7], s[30:31], 3
	v_mbcnt_lo_u32_b32 v5, exec_lo, 0
	s_add_u32 s36, s22, s6
	v_mbcnt_hi_u32_b32 v5, exec_hi, v5
	s_addc_u32 s37, s23, s7
	v_cmp_eq_u32_e64 s[6:7], 0, v5
	s_and_saveexec_b64 s[38:39], s[6:7]
	s_xor_b64 s[6:7], exec, s[38:39]
	s_cbranch_execz .LBB25_23
; %bb.22:                               ;   in Loop: Header=BB25_6 Depth=1
	global_atomic_add_f32 v12, v4, s[36:37]
.LBB25_23:                              ;   in Loop: Header=BB25_6 Depth=1
	s_or_b64 exec, exec, s[6:7]
	v_mul_f32_e32 v1, v2, v1
	s_mov_b64 s[6:7], exec
	v_fmac_f32_e32 v1, v3, v0
	v_bfrev_b32_e32 v0, 1
.LBB25_24:                              ;   Parent Loop BB25_6 Depth=1
                                        ; =>  This Inner Loop Header: Depth=2
	s_ff1_i32_b64 s17, s[6:7]
	s_lshl_b64 s[38:39], 1, s17
	v_readlane_b32 s31, v1, s17
	s_andn2_b64 s[6:7], s[6:7], s[38:39]
	s_cmp_lg_u64 s[6:7], 0
	v_add_f32_e32 v0, s31, v0
	s_cbranch_scc1 .LBB25_24
; %bb.25:                               ;   in Loop: Header=BB25_6 Depth=1
	v_mbcnt_lo_u32_b32 v1, exec_lo, 0
	v_mbcnt_hi_u32_b32 v1, exec_hi, v1
	v_cmp_eq_u32_e64 s[6:7], 0, v1
	s_and_saveexec_b64 s[38:39], s[6:7]
	s_xor_b64 s[38:39], exec, s[38:39]
	s_cbranch_execz .LBB25_5
; %bb.26:                               ;   in Loop: Header=BB25_6 Depth=1
	global_atomic_add_f32 v12, v0, s[36:37] offset:4
	s_branch .LBB25_5
.LBB25_27:
	s_ashr_i32 s1, s20, 31
	s_mov_b32 s0, s20
	s_lshl_b64 s[0:1], s[0:1], 2
	s_add_u32 s0, s8, s0
	s_addc_u32 s1, s9, s1
	s_ashr_i32 s3, s21, 31
	s_mov_b32 s2, s21
	s_lshl_b64 s[2:3], s[2:3], 2
	s_add_u32 s2, s8, s2
	s_addc_u32 s3, s9, s3
	s_load_dword s4, s[2:3], 0x0
	s_load_dword s5, s[0:1], 0x0
	s_waitcnt lgkmcnt(0)
	s_sub_i32 s17, s4, s16
	v_add_u32_e32 v0, s5, v11
	v_cmp_gt_i32_e32 vcc, s17, v0
	s_and_b64 exec, exec, vcc
	s_cbranch_execz .LBB25_36
; %bb.28:
	s_add_i32 s24, s21, -1
	s_cmp_lt_i32 s20, s24
	s_cselect_b64 s[0:1], -1, 0
	s_add_i32 s2, s21, -2
	s_cmp_lg_u32 s20, s2
	s_cselect_b64 s[2:3], -1, 0
	s_and_b64 s[0:1], s[0:1], s[2:3]
	v_cndmask_b32_e64 v1, 0, 1, s[0:1]
	s_mov_b64 s[4:5], 0
	v_cmp_ne_u32_e64 s[0:1], 1, v1
	s_branch .LBB25_30
.LBB25_29:                              ;   in Loop: Header=BB25_30 Depth=1
	s_or_b64 exec, exec, s[2:3]
	v_add_u32_e32 v0, 0x100, v0
	v_cmp_le_i32_e32 vcc, s17, v0
	s_or_b64 s[4:5], vcc, s[4:5]
	s_andn2_b64 exec, exec, s[4:5]
	s_cbranch_execz .LBB25_36
.LBB25_30:                              ; =>This Loop Header: Depth=1
                                        ;     Child Loop BB25_32 Depth 2
	s_and_b64 vcc, exec, s[0:1]
	v_mov_b32_e32 v6, s20
	v_mov_b32_e32 v4, s24
	s_cbranch_vccnz .LBB25_34
; %bb.31:                               ;   in Loop: Header=BB25_30 Depth=1
	s_mov_b64 s[6:7], 0
	v_mov_b32_e32 v6, s20
	v_mov_b32_e32 v4, s24
.LBB25_32:                              ;   Parent Loop BB25_30 Depth=1
                                        ; =>  This Inner Loop Header: Depth=2
	v_add_u32_e32 v1, v4, v6
	v_lshrrev_b32_e32 v5, 31, v1
	v_add_u32_e32 v1, v1, v5
	v_ashrrev_i32_e32 v8, 1, v1
	v_ashrrev_i32_e32 v9, 31, v8
	v_lshl_add_u64 v[10:11], v[8:9], 2, s[8:9]
	global_load_dword v1, v[10:11], off
	s_waitcnt vmcnt(0)
	v_subrev_u32_e32 v1, s16, v1
	v_cmp_lt_i32_e32 vcc, v0, v1
	s_nop 1
	v_cndmask_b32_e32 v4, v4, v8, vcc
	v_cndmask_b32_e32 v6, v8, v6, vcc
	v_add_u32_e32 v1, -1, v4
	v_cmp_ge_i32_e32 vcc, v6, v4
	v_cmp_eq_u32_e64 s[2:3], v6, v1
	s_or_b64 s[2:3], vcc, s[2:3]
	s_and_b64 s[2:3], exec, s[2:3]
	s_or_b64 s[6:7], s[2:3], s[6:7]
	s_andn2_b64 exec, exec, s[6:7]
	s_cbranch_execnz .LBB25_32
; %bb.33:                               ;   in Loop: Header=BB25_30 Depth=1
	s_or_b64 exec, exec, s[6:7]
.LBB25_34:                              ;   in Loop: Header=BB25_30 Depth=1
	v_ashrrev_i32_e32 v5, 31, v4
	v_lshl_add_u64 v[8:9], v[4:5], 2, s[8:9]
	global_load_dword v5, v[8:9], off
	v_ashrrev_i32_e32 v1, 31, v0
	v_lshl_add_u64 v[8:9], v[0:1], 2, s[10:11]
	global_load_dword v7, v[8:9], off
	s_waitcnt vmcnt(1)
	v_subrev_u32_e32 v5, s16, v5
	v_cmp_lt_i32_e32 vcc, v0, v5
	s_nop 1
	v_cndmask_b32_e32 v6, v4, v6, vcc
	s_waitcnt vmcnt(0)
	v_subrev_u32_e32 v4, s16, v7
	v_cmp_ne_u32_e32 vcc, v4, v6
	s_and_saveexec_b64 s[2:3], vcc
	s_cbranch_execz .LBB25_29
; %bb.35:                               ;   in Loop: Header=BB25_30 Depth=1
	v_lshl_add_u64 v[8:9], v[0:1], 3, s[12:13]
	global_load_dwordx2 v[8:9], v[8:9], off
	v_ashrrev_i32_e32 v7, 31, v6
	v_lshl_add_u64 v[6:7], v[6:7], 3, s[14:15]
	global_load_dwordx2 v[6:7], v[6:7], off
	v_ashrrev_i32_e32 v5, 31, v4
	v_lshl_add_u64 v[4:5], v[4:5], 3, s[22:23]
	s_waitcnt vmcnt(1)
	v_cndmask_b32_e64 v1, v9, -v9, s[18:19]
	v_mul_f32_e64 v9, v1, -v3
	v_mul_f32_e32 v1, v2, v1
	v_fmac_f32_e32 v1, v3, v8
	v_fmac_f32_e32 v9, v2, v8
	s_waitcnt vmcnt(0)
	v_mul_f32_e64 v8, v7, -v1
	v_mul_f32_e32 v7, v7, v9
	v_fmac_f32_e32 v8, v9, v6
	v_fmac_f32_e32 v7, v1, v6
	global_atomic_add_f32 v[4:5], v8, off
	global_atomic_add_f32 v[4:5], v7, off offset:4
	s_branch .LBB25_29
.LBB25_36:
	s_endpgm
	.section	.rodata,"a",@progbits
	.p2align	6, 0x0
	.amdhsa_kernel _ZL33csrmvn_symm_large_adaptive_kernelIii21rocsparse_complex_numIfES1_S1_S1_EvbT_PKS2_N9rocsparse24const_host_device_scalarIT4_EES4_PKT0_PKT1_PKT2_S8_PT3_21rocsparse_index_base_b
		.amdhsa_group_segment_fixed_size 8192
		.amdhsa_private_segment_fixed_size 0
		.amdhsa_kernarg_size 80
		.amdhsa_user_sgpr_count 2
		.amdhsa_user_sgpr_dispatch_ptr 0
		.amdhsa_user_sgpr_queue_ptr 0
		.amdhsa_user_sgpr_kernarg_segment_ptr 1
		.amdhsa_user_sgpr_dispatch_id 0
		.amdhsa_user_sgpr_kernarg_preload_length 0
		.amdhsa_user_sgpr_kernarg_preload_offset 0
		.amdhsa_user_sgpr_private_segment_size 0
		.amdhsa_uses_dynamic_stack 0
		.amdhsa_enable_private_segment 0
		.amdhsa_system_sgpr_workgroup_id_x 1
		.amdhsa_system_sgpr_workgroup_id_y 0
		.amdhsa_system_sgpr_workgroup_id_z 0
		.amdhsa_system_sgpr_workgroup_info 0
		.amdhsa_system_vgpr_workitem_id 0
		.amdhsa_next_free_vgpr 20
		.amdhsa_next_free_sgpr 40
		.amdhsa_accum_offset 20
		.amdhsa_reserve_vcc 1
		.amdhsa_float_round_mode_32 0
		.amdhsa_float_round_mode_16_64 0
		.amdhsa_float_denorm_mode_32 3
		.amdhsa_float_denorm_mode_16_64 3
		.amdhsa_dx10_clamp 1
		.amdhsa_ieee_mode 1
		.amdhsa_fp16_overflow 0
		.amdhsa_tg_split 0
		.amdhsa_exception_fp_ieee_invalid_op 0
		.amdhsa_exception_fp_denorm_src 0
		.amdhsa_exception_fp_ieee_div_zero 0
		.amdhsa_exception_fp_ieee_overflow 0
		.amdhsa_exception_fp_ieee_underflow 0
		.amdhsa_exception_fp_ieee_inexact 0
		.amdhsa_exception_int_div_zero 0
	.end_amdhsa_kernel
	.section	.text._ZL33csrmvn_symm_large_adaptive_kernelIii21rocsparse_complex_numIfES1_S1_S1_EvbT_PKS2_N9rocsparse24const_host_device_scalarIT4_EES4_PKT0_PKT1_PKT2_S8_PT3_21rocsparse_index_base_b,"axG",@progbits,_ZL33csrmvn_symm_large_adaptive_kernelIii21rocsparse_complex_numIfES1_S1_S1_EvbT_PKS2_N9rocsparse24const_host_device_scalarIT4_EES4_PKT0_PKT1_PKT2_S8_PT3_21rocsparse_index_base_b,comdat
.Lfunc_end25:
	.size	_ZL33csrmvn_symm_large_adaptive_kernelIii21rocsparse_complex_numIfES1_S1_S1_EvbT_PKS2_N9rocsparse24const_host_device_scalarIT4_EES4_PKT0_PKT1_PKT2_S8_PT3_21rocsparse_index_base_b, .Lfunc_end25-_ZL33csrmvn_symm_large_adaptive_kernelIii21rocsparse_complex_numIfES1_S1_S1_EvbT_PKS2_N9rocsparse24const_host_device_scalarIT4_EES4_PKT0_PKT1_PKT2_S8_PT3_21rocsparse_index_base_b
                                        ; -- End function
	.set _ZL33csrmvn_symm_large_adaptive_kernelIii21rocsparse_complex_numIfES1_S1_S1_EvbT_PKS2_N9rocsparse24const_host_device_scalarIT4_EES4_PKT0_PKT1_PKT2_S8_PT3_21rocsparse_index_base_b.num_vgpr, 20
	.set _ZL33csrmvn_symm_large_adaptive_kernelIii21rocsparse_complex_numIfES1_S1_S1_EvbT_PKS2_N9rocsparse24const_host_device_scalarIT4_EES4_PKT0_PKT1_PKT2_S8_PT3_21rocsparse_index_base_b.num_agpr, 0
	.set _ZL33csrmvn_symm_large_adaptive_kernelIii21rocsparse_complex_numIfES1_S1_S1_EvbT_PKS2_N9rocsparse24const_host_device_scalarIT4_EES4_PKT0_PKT1_PKT2_S8_PT3_21rocsparse_index_base_b.numbered_sgpr, 40
	.set _ZL33csrmvn_symm_large_adaptive_kernelIii21rocsparse_complex_numIfES1_S1_S1_EvbT_PKS2_N9rocsparse24const_host_device_scalarIT4_EES4_PKT0_PKT1_PKT2_S8_PT3_21rocsparse_index_base_b.num_named_barrier, 0
	.set _ZL33csrmvn_symm_large_adaptive_kernelIii21rocsparse_complex_numIfES1_S1_S1_EvbT_PKS2_N9rocsparse24const_host_device_scalarIT4_EES4_PKT0_PKT1_PKT2_S8_PT3_21rocsparse_index_base_b.private_seg_size, 0
	.set _ZL33csrmvn_symm_large_adaptive_kernelIii21rocsparse_complex_numIfES1_S1_S1_EvbT_PKS2_N9rocsparse24const_host_device_scalarIT4_EES4_PKT0_PKT1_PKT2_S8_PT3_21rocsparse_index_base_b.uses_vcc, 1
	.set _ZL33csrmvn_symm_large_adaptive_kernelIii21rocsparse_complex_numIfES1_S1_S1_EvbT_PKS2_N9rocsparse24const_host_device_scalarIT4_EES4_PKT0_PKT1_PKT2_S8_PT3_21rocsparse_index_base_b.uses_flat_scratch, 0
	.set _ZL33csrmvn_symm_large_adaptive_kernelIii21rocsparse_complex_numIfES1_S1_S1_EvbT_PKS2_N9rocsparse24const_host_device_scalarIT4_EES4_PKT0_PKT1_PKT2_S8_PT3_21rocsparse_index_base_b.has_dyn_sized_stack, 0
	.set _ZL33csrmvn_symm_large_adaptive_kernelIii21rocsparse_complex_numIfES1_S1_S1_EvbT_PKS2_N9rocsparse24const_host_device_scalarIT4_EES4_PKT0_PKT1_PKT2_S8_PT3_21rocsparse_index_base_b.has_recursion, 0
	.set _ZL33csrmvn_symm_large_adaptive_kernelIii21rocsparse_complex_numIfES1_S1_S1_EvbT_PKS2_N9rocsparse24const_host_device_scalarIT4_EES4_PKT0_PKT1_PKT2_S8_PT3_21rocsparse_index_base_b.has_indirect_call, 0
	.section	.AMDGPU.csdata,"",@progbits
; Kernel info:
; codeLenInByte = 1756
; TotalNumSgprs: 46
; NumVgprs: 20
; NumAgprs: 0
; TotalNumVgprs: 20
; ScratchSize: 0
; MemoryBound: 0
; FloatMode: 240
; IeeeMode: 1
; LDSByteSize: 8192 bytes/workgroup (compile time only)
; SGPRBlocks: 5
; VGPRBlocks: 2
; NumSGPRsForWavesPerEU: 46
; NumVGPRsForWavesPerEU: 20
; AccumOffset: 20
; Occupancy: 8
; WaveLimiterHint : 1
; COMPUTE_PGM_RSRC2:SCRATCH_EN: 0
; COMPUTE_PGM_RSRC2:USER_SGPR: 2
; COMPUTE_PGM_RSRC2:TRAP_HANDLER: 0
; COMPUTE_PGM_RSRC2:TGID_X_EN: 1
; COMPUTE_PGM_RSRC2:TGID_Y_EN: 0
; COMPUTE_PGM_RSRC2:TGID_Z_EN: 0
; COMPUTE_PGM_RSRC2:TIDIG_COMP_CNT: 0
; COMPUTE_PGM_RSRC3_GFX90A:ACCUM_OFFSET: 4
; COMPUTE_PGM_RSRC3_GFX90A:TG_SPLIT: 0
	.section	.text._ZN9rocsparseL22csrmvn_adaptive_kernelIli21rocsparse_complex_numIfES2_S2_S2_EEvbT_PKS3_PjPKT0_NS_24const_host_device_scalarIT4_EES5_S9_PKT1_PKT2_SC_PT3_21rocsparse_index_base_b,"axG",@progbits,_ZN9rocsparseL22csrmvn_adaptive_kernelIli21rocsparse_complex_numIfES2_S2_S2_EEvbT_PKS3_PjPKT0_NS_24const_host_device_scalarIT4_EES5_S9_PKT1_PKT2_SC_PT3_21rocsparse_index_base_b,comdat
	.globl	_ZN9rocsparseL22csrmvn_adaptive_kernelIli21rocsparse_complex_numIfES2_S2_S2_EEvbT_PKS3_PjPKT0_NS_24const_host_device_scalarIT4_EES5_S9_PKT1_PKT2_SC_PT3_21rocsparse_index_base_b ; -- Begin function _ZN9rocsparseL22csrmvn_adaptive_kernelIli21rocsparse_complex_numIfES2_S2_S2_EEvbT_PKS3_PjPKT0_NS_24const_host_device_scalarIT4_EES5_S9_PKT1_PKT2_SC_PT3_21rocsparse_index_base_b
	.p2align	8
	.type	_ZN9rocsparseL22csrmvn_adaptive_kernelIli21rocsparse_complex_numIfES2_S2_S2_EEvbT_PKS3_PjPKT0_NS_24const_host_device_scalarIT4_EES5_S9_PKT1_PKT2_SC_PT3_21rocsparse_index_base_b,@function
_ZN9rocsparseL22csrmvn_adaptive_kernelIli21rocsparse_complex_numIfES2_S2_S2_EEvbT_PKS3_PjPKT0_NS_24const_host_device_scalarIT4_EES5_S9_PKT1_PKT2_SC_PT3_21rocsparse_index_base_b: ; @_ZN9rocsparseL22csrmvn_adaptive_kernelIli21rocsparse_complex_numIfES2_S2_S2_EEvbT_PKS3_PjPKT0_NS_24const_host_device_scalarIT4_EES5_S9_PKT1_PKT2_SC_PT3_21rocsparse_index_base_b
; %bb.0:
	s_load_dwordx2 s[4:5], s[0:1], 0x28
	s_load_dwordx2 s[44:45], s[0:1], 0x60
	s_add_u32 s3, s0, 40
	s_addc_u32 s8, s1, 0
	s_load_dwordx2 s[6:7], s[0:1], 0x50
	s_add_u32 s9, s0, 0x50
	s_addc_u32 s10, s1, 0
	s_waitcnt lgkmcnt(0)
	s_bitcmp1_b32 s45, 0
	s_cselect_b32 s3, s3, s4
	s_cselect_b32 s5, s8, s5
	v_mov_b32_e32 v2, s3
	s_cselect_b32 s3, s10, s7
	s_cselect_b32 s4, s9, s6
	v_mov_b32_e32 v3, s5
	v_mov_b32_e32 v4, s4
	v_mov_b32_e32 v5, s3
	flat_load_dwordx2 v[2:3], v[2:3]
	s_waitcnt vmcnt(0) lgkmcnt(0)
	v_cmp_neq_f32_e32 vcc, 0, v2
	flat_load_dwordx2 v[6:7], v[4:5]
	v_cmp_neq_f32_e64 s[6:7], 0, v3
	s_or_b64 s[6:7], vcc, s[6:7]
	s_waitcnt vmcnt(0) lgkmcnt(0)
	v_cmp_neq_f32_e64 s[8:9], 1.0, v6
	v_cmp_neq_f32_e64 s[4:5], 0, v7
	s_or_b64 s[8:9], s[8:9], s[4:5]
	s_or_b64 s[6:7], s[6:7], s[8:9]
	s_and_saveexec_b64 s[8:9], s[6:7]
	s_cbranch_execz .LBB26_120
; %bb.1:
	s_load_dwordx2 s[8:9], s[0:1], 0x20
	s_load_dword s3, s[0:1], 0x0
	s_load_dwordx2 s[10:11], s[0:1], 0x10
	s_waitcnt lgkmcnt(0)
	s_bitcmp1_b32 s3, 0
	s_cselect_b64 s[6:7], -1, 0
	s_ashr_i32 s3, s2, 31
	s_lshl_b64 s[12:13], s[2:3], 3
	s_add_u32 s10, s10, s12
	s_addc_u32 s11, s11, s13
	s_load_dwordx4 s[36:39], s[10:11], 0x0
	s_load_dwordx2 s[34:35], s[0:1], 0x58
	s_load_dwordx8 s[24:31], s[0:1], 0x30
	s_lshl_b64 s[48:49], s[2:3], 2
	s_waitcnt lgkmcnt(0)
	s_sub_i32 s3, s38, s36
	s_add_u32 s8, s8, s48
	s_addc_u32 s9, s9, s49
	s_lshl_b64 s[46:47], s[36:37], 3
	s_add_u32 s40, s24, s46
	s_addc_u32 s41, s25, s47
	s_load_dword s33, s[8:9], 0x0
	s_load_dwordx2 s[42:43], s[40:41], 0x0
	s_cmp_lt_i32 s3, 2
	s_mov_b64 s[8:9], -1
	s_cbranch_scc0 .LBB26_69
; %bb.2:
	s_cmp_lg_u32 s3, 1
	s_cselect_b64 s[8:9], -1, 0
	s_waitcnt lgkmcnt(0)
	s_cmp_lg_u32 s33, 0
	s_cselect_b64 s[10:11], -1, 0
	s_or_b64 s[10:11], s[8:9], s[10:11]
	s_mov_b64 s[8:9], -1
	s_and_b64 vcc, exec, s[10:11]
	s_cbranch_vccnz .LBB26_31
; %bb.3:
	v_mov_b64_e32 v[4:5], s[36:37]
	v_cmp_le_i64_e32 vcc, s[38:39], v[4:5]
	s_cbranch_vccnz .LBB26_30
; %bb.4:
	v_subrev_co_u32_e32 v4, vcc, s44, v0
	s_movk_i32 s3, 0x80
	s_nop 0
	v_subb_co_u32_e64 v5, s[8:9], 0, 0, vcc
	v_cmp_neq_f32_e32 vcc, 0, v6
	s_or_b64 s[50:51], vcc, s[4:5]
	s_add_u32 s52, s28, 4
	v_mov_b32_e32 v1, 0
	v_xor_b32_e32 v8, 0x80000000, v3
	v_lshlrev_b32_e32 v22, 3, v0
	v_cmp_gt_u32_e64 s[8:9], s3, v0
	v_cmp_gt_u32_e64 s[10:11], 64, v0
	;; [unrolled: 1-line block ×7, first 2 shown]
	v_cmp_eq_u32_e64 s[22:23], 0, v0
	v_xor_b32_e32 v10, 0x80000000, v7
	v_mov_b32_e32 v11, v6
	v_mov_b32_e32 v9, v2
	s_addc_u32 s53, s29, 0
	s_mov_b64 s[54:55], 0x100
	s_mov_b64 s[56:57], 0x800
	;; [unrolled: 1-line block ×3, first 2 shown]
	v_mov_b64_e32 v[12:13], s[38:39]
	s_mov_b64 s[60:61], s[36:37]
	s_branch .LBB26_7
.LBB26_5:                               ;   in Loop: Header=BB26_7 Depth=1
	s_or_b64 exec, exec, s[66:67]
	s_add_u32 s62, s34, s62
	s_addc_u32 s63, s35, s63
	s_waitcnt lgkmcnt(0)
	global_store_dwordx2 v1, v[14:15], s[62:63]
.LBB26_6:                               ;   in Loop: Header=BB26_7 Depth=1
	s_or_b64 exec, exec, s[64:65]
	s_add_u32 s60, s60, 1
	s_addc_u32 s61, s61, 0
	v_cmp_ge_i64_e32 vcc, s[60:61], v[12:13]
	s_cbranch_vccnz .LBB26_30
.LBB26_7:                               ; =>This Loop Header: Depth=1
                                        ;     Child Loop BB26_9 Depth 2
	s_lshl_b64 s[62:63], s[60:61], 3
	s_add_u32 s68, s24, s62
	s_addc_u32 s69, s25, s63
	s_load_dwordx4 s[64:67], s[68:69], 0x0
	v_mov_b32_e32 v15, 0
	v_mov_b32_e32 v14, 0
	s_waitcnt lgkmcnt(0)
	s_sub_u32 s66, s66, s44
	v_lshl_add_u64 v[16:17], s[64:65], 0, v[4:5]
	s_subb_u32 s67, s67, 0
	v_cmp_gt_i64_e32 vcc, s[66:67], v[16:17]
	s_and_saveexec_b64 s[64:65], vcc
	s_cbranch_execz .LBB26_11
; %bb.8:                                ;   in Loop: Header=BB26_7 Depth=1
	v_mov_b32_e32 v14, 0
	v_lshl_add_u64 v[18:19], v[16:17], 3, s[52:53]
	v_lshl_add_u64 v[20:21], v[16:17], 2, s[26:27]
	s_mov_b64 s[68:69], 0
	v_mov_b32_e32 v15, v14
.LBB26_9:                               ;   Parent Loop BB26_7 Depth=1
                                        ; =>  This Inner Loop Header: Depth=2
	global_load_dword v23, v[20:21], off
	global_load_dwordx2 v[24:25], v[18:19], off offset:-4
	v_lshl_add_u64 v[16:17], v[16:17], 0, s[54:55]
	v_cmp_le_i64_e32 vcc, s[66:67], v[16:17]
	v_lshl_add_u64 v[18:19], v[18:19], 0, s[56:57]
	v_lshl_add_u64 v[20:21], v[20:21], 0, s[58:59]
	s_or_b64 s[68:69], vcc, s[68:69]
	s_waitcnt vmcnt(1)
	v_subrev_u32_e32 v26, s44, v23
	v_ashrrev_i32_e32 v27, 31, v26
	v_lshl_add_u64 v[26:27], v[26:27], 3, s[30:31]
	global_load_dwordx2 v[26:27], v[26:27], off
	s_waitcnt vmcnt(1)
	v_cndmask_b32_e64 v28, v25, -v25, s[6:7]
	v_pk_mul_f32 v[28:29], v[28:29], v[8:9] op_sel_hi:[0,1]
	v_pk_fma_f32 v[24:25], v[2:3], v[24:25], v[28:29] op_sel_hi:[1,0,1]
	s_nop 0
	v_xor_b32_e32 v28, 0x80000000, v25
	v_mov_b32_e32 v29, v24
	s_waitcnt vmcnt(0)
	v_pk_fma_f32 v[14:15], v[24:25], v[26:27], v[14:15] op_sel_hi:[1,0,1]
	s_nop 0
	v_pk_fma_f32 v[14:15], v[28:29], v[26:27], v[14:15] op_sel:[0,1,0]
	s_andn2_b64 exec, exec, s[68:69]
	s_cbranch_execnz .LBB26_9
; %bb.10:                               ;   in Loop: Header=BB26_7 Depth=1
	s_or_b64 exec, exec, s[68:69]
.LBB26_11:                              ;   in Loop: Header=BB26_7 Depth=1
	s_or_b64 exec, exec, s[64:65]
	ds_write_b64 v22, v[14:15]
	s_waitcnt lgkmcnt(0)
	s_barrier
	s_and_saveexec_b64 s[64:65], s[8:9]
	s_cbranch_execz .LBB26_13
; %bb.12:                               ;   in Loop: Header=BB26_7 Depth=1
	ds_read2st64_b64 v[14:17], v22 offset1:2
	s_waitcnt lgkmcnt(0)
	v_pk_add_f32 v[14:15], v[16:17], v[14:15]
	ds_write_b64 v22, v[14:15]
.LBB26_13:                              ;   in Loop: Header=BB26_7 Depth=1
	s_or_b64 exec, exec, s[64:65]
	s_waitcnt lgkmcnt(0)
	s_barrier
	s_and_saveexec_b64 s[64:65], s[10:11]
	s_cbranch_execz .LBB26_15
; %bb.14:                               ;   in Loop: Header=BB26_7 Depth=1
	ds_read2st64_b64 v[14:17], v22 offset1:1
	s_waitcnt lgkmcnt(0)
	v_pk_add_f32 v[14:15], v[16:17], v[14:15]
	ds_write_b64 v22, v[14:15]
.LBB26_15:                              ;   in Loop: Header=BB26_7 Depth=1
	s_or_b64 exec, exec, s[64:65]
	s_waitcnt lgkmcnt(0)
	s_barrier
	s_and_saveexec_b64 s[64:65], s[12:13]
	s_cbranch_execz .LBB26_17
; %bb.16:                               ;   in Loop: Header=BB26_7 Depth=1
	ds_read2_b64 v[14:17], v22 offset1:32
	s_waitcnt lgkmcnt(0)
	v_pk_add_f32 v[14:15], v[16:17], v[14:15]
	ds_write_b64 v22, v[14:15]
.LBB26_17:                              ;   in Loop: Header=BB26_7 Depth=1
	s_or_b64 exec, exec, s[64:65]
	s_waitcnt lgkmcnt(0)
	s_barrier
	s_and_saveexec_b64 s[64:65], s[14:15]
	s_cbranch_execz .LBB26_19
; %bb.18:                               ;   in Loop: Header=BB26_7 Depth=1
	ds_read2_b64 v[14:17], v22 offset1:16
	s_waitcnt lgkmcnt(0)
	v_pk_add_f32 v[14:15], v[16:17], v[14:15]
	ds_write_b64 v22, v[14:15]
.LBB26_19:                              ;   in Loop: Header=BB26_7 Depth=1
	;; [unrolled: 11-line block ×6, first 2 shown]
	s_or_b64 exec, exec, s[64:65]
	s_waitcnt lgkmcnt(0)
	s_barrier
	s_and_saveexec_b64 s[64:65], s[22:23]
	s_cbranch_execz .LBB26_6
; %bb.28:                               ;   in Loop: Header=BB26_7 Depth=1
	ds_read_b64 v[14:15], v1
	s_and_saveexec_b64 s[66:67], s[50:51]
	s_cbranch_execz .LBB26_5
; %bb.29:                               ;   in Loop: Header=BB26_7 Depth=1
	s_add_u32 s68, s34, s62
	s_addc_u32 s69, s35, s63
	global_load_dwordx2 v[16:17], v1, s[68:69]
	s_waitcnt vmcnt(0) lgkmcnt(0)
	v_pk_fma_f32 v[14:15], v[6:7], v[16:17], v[14:15] op_sel_hi:[1,0,1]
	s_nop 0
	v_pk_fma_f32 v[14:15], v[10:11], v[16:17], v[14:15] op_sel:[0,1,0]
	s_branch .LBB26_5
.LBB26_30:
	s_mov_b64 s[8:9], 0
.LBB26_31:
	s_andn2_b64 vcc, exec, s[8:9]
	s_cbranch_vccnz .LBB26_68
; %bb.32:
	s_load_dwordx2 s[8:9], s[0:1], 0x18
	s_sub_i32 s10, s2, s33
	v_mov_b32_e32 v1, 0
	v_or_b32_e32 v4, s33, v0
	v_cmp_eq_u32_e32 vcc, 0, v4
	s_waitcnt lgkmcnt(0)
	s_add_u32 s2, s8, s48
	s_addc_u32 s3, s9, s49
	global_load_dword v16, v1, s[2:3]
	v_mov_b32_e32 v4, v1
	v_mov_b32_e32 v5, v1
	s_and_saveexec_b64 s[12:13], vcc
	s_cbranch_execz .LBB26_36
; %bb.33:
	s_add_u32 s16, s34, s46
	s_addc_u32 s17, s35, s47
	global_load_dwordx2 v[4:5], v1, s[16:17]
	s_mov_b64 s[14:15], exec
	v_mbcnt_lo_u32_b32 v12, s14, 0
	v_add_f32_e32 v11, -1.0, v6
	v_xor_b32_e32 v10, 0x80000000, v7
	v_mbcnt_hi_u32_b32 v12, s15, v12
	v_mov_b32_e32 v9, v7
	v_mov_b32_e32 v8, v11
	v_cmp_eq_u32_e32 vcc, 0, v12
	s_waitcnt vmcnt(0) expcnt(0) lgkmcnt(0)
	v_pk_mul_f32 v[10:11], v[4:5], v[10:11] op_sel:[1,0]
	s_and_saveexec_b64 s[16:17], vcc
	s_cbranch_execz .LBB26_35
; %bb.34:
	s_ashr_i32 s11, s10, 31
	s_lshl_b64 s[18:19], s[10:11], 2
	s_add_u32 s18, s8, s18
	s_addc_u32 s19, s9, s19
	s_bcnt1_i32_b64 s11, s[14:15]
	s_and_b32 s11, s11, 1
	v_mov_b32_e32 v12, 0
	v_mov_b32_e32 v13, s11
	global_atomic_xor v12, v13, s[18:19]
.LBB26_35:
	s_or_b64 exec, exec, s[16:17]
	v_pk_fma_f32 v[4:5], v[8:9], v[4:5], v[10:11] op_sel_hi:[1,0,1]
.LBB26_36:
	s_or_b64 exec, exec, s[12:13]
	s_load_dwordx2 s[12:13], s[40:41], 0x8
	s_sub_u32 s15, s42, s44
	s_mul_i32 s14, s33, 0xc00
	s_subb_u32 s17, s43, 0
	s_mul_hi_i32 s11, s33, 0xc00
	s_add_u32 s16, s15, s14
	s_addc_u32 s17, s17, s11
	s_waitcnt lgkmcnt(0)
	s_sub_u32 s14, s12, s44
	s_subb_u32 s15, s13, 0
	v_lshl_add_u64 v[8:9], s[16:17], 0, v[0:1]
	v_cmp_gt_i64_e32 vcc, s[14:15], v[8:9]
	s_and_saveexec_b64 s[12:13], vcc
	s_cbranch_execz .LBB26_40
; %bb.37:
	s_add_u32 s16, s16, 0xc00
	s_addc_u32 s17, s17, 0
	v_mov_b64_e32 v[10:11], s[14:15]
	v_cmp_lt_i64_e32 vcc, s[16:17], v[10:11]
	s_and_b64 s[18:19], vcc, exec
	v_lshl_add_u64 v[12:13], v[8:9], 3, s[28:29]
	s_cselect_b32 s15, s17, s15
	s_cselect_b32 s14, s16, s14
	v_xor_b32_e32 v10, 0x80000000, v3
	v_mov_b32_e32 v11, v2
	v_lshl_add_u64 v[12:13], v[12:13], 0, 4
	v_lshl_add_u64 v[14:15], v[8:9], 2, s[26:27]
	s_mov_b64 s[16:17], 0
	s_mov_b64 s[18:19], 0x100
	;; [unrolled: 1-line block ×4, first 2 shown]
.LBB26_38:                              ; =>This Inner Loop Header: Depth=1
	global_load_dword v1, v[14:15], off
	global_load_dwordx2 v[18:19], v[12:13], off offset:-4
	v_lshl_add_u64 v[8:9], v[8:9], 0, s[18:19]
	v_cmp_le_i64_e32 vcc, s[14:15], v[8:9]
	v_lshl_add_u64 v[12:13], v[12:13], 0, s[20:21]
	v_lshl_add_u64 v[14:15], v[14:15], 0, s[22:23]
	s_or_b64 s[16:17], vcc, s[16:17]
	s_waitcnt vmcnt(1)
	v_subrev_u32_e32 v20, s44, v1
	v_ashrrev_i32_e32 v21, 31, v20
	v_lshl_add_u64 v[20:21], v[20:21], 3, s[30:31]
	global_load_dwordx2 v[20:21], v[20:21], off
	s_waitcnt vmcnt(1)
	v_cndmask_b32_e64 v22, v19, -v19, s[6:7]
	v_pk_mul_f32 v[22:23], v[22:23], v[10:11] op_sel_hi:[0,1]
	v_pk_fma_f32 v[18:19], v[2:3], v[18:19], v[22:23] op_sel_hi:[1,0,1]
	s_nop 0
	v_xor_b32_e32 v22, 0x80000000, v19
	v_mov_b32_e32 v23, v18
	s_waitcnt vmcnt(0)
	v_pk_fma_f32 v[4:5], v[18:19], v[20:21], v[4:5] op_sel_hi:[1,0,1]
	s_nop 0
	v_pk_fma_f32 v[4:5], v[22:23], v[20:21], v[4:5] op_sel:[0,1,0]
	s_andn2_b64 exec, exec, s[16:17]
	s_cbranch_execnz .LBB26_38
; %bb.39:
	s_or_b64 exec, exec, s[16:17]
.LBB26_40:
	s_or_b64 exec, exec, s[12:13]
	s_movk_i32 s11, 0x80
	v_lshlrev_b32_e32 v1, 3, v0
	v_cmp_gt_u32_e32 vcc, s11, v0
	ds_write_b64 v1, v[4:5]
	s_waitcnt lgkmcnt(0)
	s_barrier
	s_and_saveexec_b64 s[12:13], vcc
	s_cbranch_execz .LBB26_42
; %bb.41:
	ds_read2st64_b64 v[8:11], v1 offset1:2
	s_waitcnt lgkmcnt(0)
	v_pk_add_f32 v[4:5], v[10:11], v[8:9]
	ds_write_b64 v1, v[4:5]
.LBB26_42:
	s_or_b64 exec, exec, s[12:13]
	v_cmp_gt_u32_e32 vcc, 64, v0
	s_waitcnt lgkmcnt(0)
	s_barrier
	s_and_saveexec_b64 s[12:13], vcc
	s_cbranch_execz .LBB26_44
; %bb.43:
	ds_read2st64_b64 v[8:11], v1 offset1:1
	s_waitcnt lgkmcnt(0)
	v_pk_add_f32 v[4:5], v[10:11], v[8:9]
	ds_write_b64 v1, v[4:5]
.LBB26_44:
	s_or_b64 exec, exec, s[12:13]
	v_cmp_gt_u32_e32 vcc, 32, v0
	s_waitcnt lgkmcnt(0)
	s_barrier
	s_and_saveexec_b64 s[12:13], vcc
	s_cbranch_execz .LBB26_46
; %bb.45:
	ds_read2_b64 v[8:11], v1 offset1:32
	s_waitcnt lgkmcnt(0)
	v_pk_add_f32 v[4:5], v[10:11], v[8:9]
	ds_write_b64 v1, v[4:5]
.LBB26_46:
	s_or_b64 exec, exec, s[12:13]
	v_cmp_gt_u32_e32 vcc, 16, v0
	s_waitcnt lgkmcnt(0)
	s_barrier
	s_and_saveexec_b64 s[12:13], vcc
	s_cbranch_execz .LBB26_48
; %bb.47:
	ds_read2_b64 v[8:11], v1 offset1:16
	s_waitcnt lgkmcnt(0)
	v_pk_add_f32 v[4:5], v[10:11], v[8:9]
	ds_write_b64 v1, v[4:5]
.LBB26_48:
	;; [unrolled: 12-line block ×5, first 2 shown]
	s_or_b64 exec, exec, s[12:13]
	v_cmp_eq_u32_e32 vcc, 0, v0
	s_waitcnt lgkmcnt(0)
	s_barrier
	s_and_saveexec_b64 s[12:13], vcc
	s_cbranch_execz .LBB26_56
; %bb.55:
	v_mov_b32_e32 v1, 0
	ds_read2_b64 v[8:11], v1 offset1:1
	s_waitcnt lgkmcnt(0)
	v_pk_add_f32 v[4:5], v[10:11], v[8:9]
	ds_write_b64 v1, v[4:5]
.LBB26_56:
	s_or_b64 exec, exec, s[12:13]
	s_waitcnt lgkmcnt(0)
	s_barrier
	s_and_saveexec_b64 s[12:13], vcc
	s_cbranch_execz .LBB26_67
; %bb.57:
	s_cmp_eq_u32 s33, 0
	s_cbranch_scc1 .LBB26_63
; %bb.58:
	s_ashr_i32 s11, s10, 31
	s_lshl_b64 s[10:11], s[10:11], 2
	s_add_u32 s8, s8, s10
	s_addc_u32 s9, s9, s11
	v_mov_b32_e32 v1, 0
	s_branch .LBB26_60
.LBB26_59:                              ;   in Loop: Header=BB26_60 Depth=1
	s_or_b64 exec, exec, s[10:11]
	s_waitcnt vmcnt(0)
	v_readfirstlane_b32 s10, v4
	s_nop 1
	v_cmp_eq_u32_e32 vcc, s10, v16
	s_cbranch_vccz .LBB26_62
.LBB26_60:                              ; =>This Inner Loop Header: Depth=1
	v_mbcnt_lo_u32_b32 v4, exec_lo, 0
	v_mbcnt_hi_u32_b32 v4, exec_hi, v4
	v_cmp_eq_u32_e32 vcc, 0, v4
                                        ; implicit-def: $vgpr4
	s_and_saveexec_b64 s[10:11], vcc
	s_cbranch_execz .LBB26_59
; %bb.61:                               ;   in Loop: Header=BB26_60 Depth=1
	global_load_dword v4, v1, s[8:9] sc1
	s_branch .LBB26_59
.LBB26_62:
	v_mov_b32_e32 v1, 0
	global_load_ushort v4, v1, s[2:3]
	s_waitcnt vmcnt(0)
	v_xor_b32_e32 v4, 1, v4
	global_store_short v1, v4, s[2:3]
.LBB26_63:
	v_mov_b32_e32 v1, 0
	ds_read_b64 v[4:5], v1
	s_mov_b64 s[8:9], exec
	v_mbcnt_lo_u32_b32 v8, s8, 0
	s_add_u32 s2, s34, s46
	v_mbcnt_hi_u32_b32 v8, s9, v8
	s_addc_u32 s3, s35, s47
	v_cmp_eq_u32_e32 vcc, 0, v8
	s_and_saveexec_b64 s[10:11], vcc
	s_cbranch_execz .LBB26_65
; %bb.64:
	s_bcnt1_i32_b64 s8, s[8:9]
	v_cvt_f32_ubyte0_e32 v8, s8
	s_waitcnt lgkmcnt(0)
	v_mul_f32_e32 v4, v4, v8
	global_atomic_add_f32 v1, v4, s[2:3]
.LBB26_65:
	s_or_b64 exec, exec, s[10:11]
	s_mov_b64 s[8:9], exec
	v_mbcnt_lo_u32_b32 v1, s8, 0
	v_mbcnt_hi_u32_b32 v1, s9, v1
	v_cmp_eq_u32_e32 vcc, 0, v1
	s_and_b64 s[10:11], exec, vcc
	s_mov_b64 exec, s[10:11]
	s_cbranch_execz .LBB26_67
; %bb.66:
	s_bcnt1_i32_b64 s8, s[8:9]
	v_cvt_f32_ubyte0_e32 v1, s8
	s_waitcnt lgkmcnt(0)
	v_mul_f32_e32 v1, v5, v1
	v_mov_b32_e32 v4, 0
	global_atomic_add_f32 v4, v1, s[2:3] offset:4
.LBB26_67:
	s_or_b64 exec, exec, s[12:13]
.LBB26_68:
	s_mov_b64 s[8:9], 0
.LBB26_69:
	s_andn2_b64 vcc, exec, s[8:9]
	s_cbranch_vccnz .LBB26_120
; %bb.70:
	s_load_dwordx2 s[0:1], s[0:1], 0x8
	s_waitcnt lgkmcnt(0)
	v_subrev_co_u32_e32 v4, vcc, s44, v0
	v_mov_b32_e32 v1, 0
	s_nop 0
	v_subb_co_u32_e64 v5, s[2:3], 0, 0, vcc
	v_lshl_add_u64 v[4:5], s[42:43], 0, v[4:5]
	s_mov_b64 s[2:3], 0x300
	v_lshl_add_u64 v[8:9], v[4:5], 0, s[2:3]
	v_cmp_le_i64_e32 vcc, s[0:1], v[8:9]
	v_lshlrev_b32_e32 v22, 3, v0
	s_and_saveexec_b64 s[0:1], vcc
	s_xor_b64 s[8:9], exec, s[0:1]
	s_cbranch_execz .LBB26_82
; %bb.71:
	s_lshl_b64 s[0:1], s[38:39], 3
	s_add_u32 s0, s24, s0
	s_addc_u32 s1, s25, s1
	s_load_dwordx2 s[0:1], s[0:1], 0x0
	s_waitcnt lgkmcnt(0)
	s_sub_u32 s10, s0, s44
	s_subb_u32 s11, s1, 0
	v_cmp_gt_i64_e32 vcc, s[10:11], v[4:5]
	s_and_saveexec_b64 s[12:13], vcc
	s_cbranch_execz .LBB26_81
; %bb.72:
	v_lshl_add_u64 v[8:9], s[42:43], 0, v[0:1]
	v_subrev_co_u32_e32 v8, vcc, s44, v8
	s_mov_b64 s[0:1], 0x100
	s_nop 0
	v_subbrev_co_u32_e32 v9, vcc, 0, v9, vcc
	v_lshl_add_u64 v[8:9], v[8:9], 0, s[0:1]
	v_mov_b32_e32 v10, s11
	v_cmp_lt_i64_e32 vcc, s[10:11], v[8:9]
	s_not_b64 s[0:1], s[42:43]
	s_add_u32 s0, s0, s44
	v_cndmask_b32_e32 v9, v10, v9, vcc
	v_mov_b32_e32 v10, s10
	v_cndmask_b32_e32 v8, v10, v8, vcc
	s_addc_u32 s1, s1, 0
	v_lshl_add_u64 v[8:9], s[0:1], 0, v[8:9]
	v_sub_co_u32_e32 v8, vcc, v8, v0
	s_mov_b64 s[0:1], 0xd00
	s_nop 0
	v_subbrev_co_u32_e32 v9, vcc, 0, v9, vcc
	v_cmp_gt_u64_e64 s[14:15], s[0:1], v[8:9]
	s_mov_b64 s[0:1], 0xcff
	v_cmp_lt_u64_e32 vcc, s[0:1], v[8:9]
	v_mov_b64_e32 v[12:13], 0
	s_and_saveexec_b64 s[16:17], vcc
	s_cbranch_execz .LBB26_78
; %bb.73:
	s_mov_b32 s2, 0
	v_alignbit_b32 v10, v9, v8, 8
	s_mov_b32 s0, 0x200000
	s_movk_i32 s3, 0x100
	v_cmp_gt_u32_e32 vcc, s0, v10
	v_lshl_or_b32 v10, v10, 11, v22
	v_cmp_gt_u64_e64 s[2:3], s[2:3], v[8:9]
	v_cmp_ge_u32_e64 s[0:1], v10, v22
	s_and_b64 s[2:3], vcc, s[2:3]
	s_and_b64 s[18:19], s[2:3], s[0:1]
	s_mov_b64 s[2:3], -1
	v_mov_b64_e32 v[12:13], 0
	s_and_saveexec_b64 s[0:1], s[18:19]
	s_cbranch_execz .LBB26_77
; %bb.74:
	v_lshrrev_b64 v[8:9], 8, v[8:9]
	v_lshl_add_u64 v[8:9], v[8:9], 0, 1
	v_and_b32_e32 v10, -2, v8
	v_mov_b32_e32 v11, v9
	v_xor_b32_e32 v12, 0x80000000, v3
	v_mov_b32_e32 v13, v12
	v_mov_b32_e32 v14, v4
	;; [unrolled: 1-line block ×3, first 2 shown]
	s_waitcnt vmcnt(0)
	v_mov_b32_e32 v16, v2
	v_mov_b32_e32 v17, v2
	;; [unrolled: 1-line block ×4, first 2 shown]
	s_mov_b32 s22, s44
	s_mov_b64 s[18:19], 0x100
	s_mov_b64 s[2:3], 0
	v_mov_b64_e32 v[20:21], v[10:11]
	s_mov_b64 s[20:21], 0
.LBB26_75:                              ; =>This Inner Loop Header: Depth=1
	v_lshl_add_u64 v[26:27], s[20:21], 0, v[4:5]
	v_lshl_add_u64 v[24:25], s[18:19], 0, v[14:15]
	v_lshl_add_u64 v[28:29], v[26:27], 2, s[26:27]
	v_lshl_add_u64 v[30:31], v[24:25], 2, s[26:27]
	global_load_dword v23, v[28:29], off
	global_load_dword v32, v[30:31], off
	v_lshl_add_u64 v[26:27], v[26:27], 3, s[28:29]
	v_lshl_add_u64 v[24:25], v[24:25], 3, s[28:29]
	global_load_dwordx2 v[28:29], v[26:27], off
	global_load_dwordx2 v[30:31], v[24:25], off
	v_lshl_add_u32 v34, s18, 3, v22
	v_lshl_add_u64 v[20:21], v[20:21], 0, -2
	v_cmp_eq_u64_e32 vcc, 0, v[20:21]
	s_waitcnt vmcnt(3)
	v_subrev_u32_e32 v24, s44, v23
	s_waitcnt vmcnt(2)
	v_subrev_u32_e32 v26, s22, v32
	v_ashrrev_i32_e32 v25, 31, v24
	v_ashrrev_i32_e32 v27, 31, v26
	v_lshl_add_u64 v[24:25], v[24:25], 3, s[30:31]
	v_lshl_add_u64 v[26:27], v[26:27], 3, s[30:31]
	global_load_dwordx2 v[36:37], v[24:25], off
	global_load_dwordx2 v[32:33], v[26:27], off
	s_waitcnt vmcnt(2)
	v_mov_b32_e32 v25, v30
	v_mov_b32_e32 v30, v29
	v_pk_add_f32 v[26:27], v[30:31], 0 neg_lo:[1,1] neg_hi:[1,1]
	v_lshl_add_u32 v23, s20, 3, v22
	v_cndmask_b32_e64 v27, v31, v27, s[6:7]
	v_cndmask_b32_e64 v26, v29, v26, s[6:7]
	s_add_u32 s20, s20, 0x200
	v_mov_b32_e32 v24, v28
	v_pk_mul_f32 v[28:29], v[26:27], v[12:13]
	v_pk_mul_f32 v[26:27], v[16:17], v[26:27]
	s_addc_u32 s21, s21, 0
	v_pk_fma_f32 v[28:29], v[16:17], v[24:25], v[28:29]
	v_pk_fma_f32 v[24:25], v[18:19], v[24:25], v[26:27]
	s_add_u32 s18, s18, 0x200
	s_addc_u32 s19, s19, 0
	s_or_b64 s[2:3], vcc, s[2:3]
	s_waitcnt vmcnt(1)
	v_mov_b32_e32 v26, v36
	s_waitcnt vmcnt(0)
	v_mov_b32_e32 v27, v32
	v_mov_b32_e32 v32, v37
	v_pk_mul_f32 v[30:31], v[32:33], v[24:25] neg_lo:[0,1] neg_hi:[0,1]
	v_pk_mul_f32 v[32:33], v[32:33], v[28:29]
	v_pk_fma_f32 v[28:29], v[28:29], v[26:27], v[30:31]
	v_pk_fma_f32 v[24:25], v[24:25], v[26:27], v[32:33]
	v_mov_b32_e32 v26, v28
	v_mov_b32_e32 v27, v24
	;; [unrolled: 1-line block ×3, first 2 shown]
	ds_write_b64 v23, v[26:27]
	ds_write_b64 v34, v[24:25]
	s_andn2_b64 exec, exec, s[2:3]
	s_cbranch_execnz .LBB26_75
; %bb.76:
	s_or_b64 exec, exec, s[2:3]
	v_cmp_ne_u64_e32 vcc, v[8:9], v[10:11]
	v_lshlrev_b64 v[12:13], 8, v[10:11]
	s_orn2_b64 s[2:3], vcc, exec
.LBB26_77:
	s_or_b64 exec, exec, s[0:1]
	s_andn2_b64 s[0:1], s[14:15], exec
	s_and_b64 s[2:3], s[2:3], exec
	s_or_b64 s[14:15], s[0:1], s[2:3]
.LBB26_78:
	s_or_b64 exec, exec, s[16:17]
	s_and_b64 exec, exec, s[14:15]
	s_cbranch_execz .LBB26_81
; %bb.79:
	v_lshl_add_u64 v[8:9], v[12:13], 0, s[42:43]
	v_lshl_add_u64 v[8:9], v[8:9], 0, v[0:1]
	v_subrev_co_u32_e32 v8, vcc, s44, v8
	v_lshlrev_b32_e32 v10, 3, v12
	s_nop 0
	v_subbrev_co_u32_e32 v9, vcc, 0, v9, vcc
	v_lshl_add_u32 v14, v0, 3, v10
	v_lshl_add_u64 v[10:11], v[8:9], 3, s[28:29]
	v_xor_b32_e32 v4, 0x80000000, v3
	v_mov_b32_e32 v5, v2
	v_lshl_add_u64 v[10:11], v[10:11], 0, 4
	v_lshl_add_u64 v[12:13], v[8:9], 2, s[26:27]
	s_mov_b64 s[0:1], 0
	s_mov_b64 s[2:3], 0x100
	;; [unrolled: 1-line block ×4, first 2 shown]
.LBB26_80:                              ; =>This Inner Loop Header: Depth=1
	global_load_dword v15, v[12:13], off
	global_load_dwordx2 v[16:17], v[10:11], off offset:-4
	v_lshl_add_u64 v[8:9], v[8:9], 0, s[2:3]
	v_cmp_le_i64_e32 vcc, s[10:11], v[8:9]
	v_lshl_add_u64 v[10:11], v[10:11], 0, s[14:15]
	v_lshl_add_u64 v[12:13], v[12:13], 0, s[16:17]
	s_or_b64 s[0:1], vcc, s[0:1]
	s_waitcnt vmcnt(1)
	v_subrev_u32_e32 v18, s44, v15
	v_ashrrev_i32_e32 v19, 31, v18
	v_lshl_add_u64 v[18:19], v[18:19], 3, s[30:31]
	global_load_dwordx2 v[18:19], v[18:19], off
	s_waitcnt vmcnt(1)
	v_cndmask_b32_e64 v20, v17, -v17, s[6:7]
	v_pk_mul_f32 v[20:21], v[20:21], v[4:5] op_sel_hi:[0,1]
	v_pk_fma_f32 v[16:17], v[2:3], v[16:17], v[20:21] op_sel_hi:[1,0,1]
	s_nop 0
	v_xor_b32_e32 v20, 0x80000000, v17
	v_mov_b32_e32 v21, v16
	s_waitcnt vmcnt(0)
	v_pk_mul_f32 v[20:21], v[18:19], v[20:21] op_sel:[1,0]
	s_nop 0
	v_pk_fma_f32 v[16:17], v[16:17], v[18:19], v[20:21] op_sel_hi:[1,0,1]
	ds_write_b64 v14, v[16:17]
	v_add_u32_e32 v14, 0x800, v14
	s_andn2_b64 exec, exec, s[0:1]
	s_cbranch_execnz .LBB26_80
.LBB26_81:
	s_or_b64 exec, exec, s[12:13]
                                        ; implicit-def: $vgpr2_vgpr3
                                        ; implicit-def: $vgpr4_vgpr5
.LBB26_82:
	s_andn2_saveexec_b64 s[0:1], s[8:9]
	s_cbranch_execz .LBB26_84
; %bb.83:
	v_lshl_add_u64 v[8:9], v[4:5], 2, s[26:27]
	global_load_dword v16, v[8:9], off
	global_load_dword v17, v[8:9], off offset:1024
	global_load_dword v18, v[8:9], off offset:2048
	;; [unrolled: 1-line block ×3, first 2 shown]
	v_lshl_add_u64 v[4:5], v[4:5], 3, s[28:29]
	s_movk_i32 s2, 0x1000
	global_load_dwordx2 v[8:9], v[4:5], off
	global_load_dwordx2 v[10:11], v[4:5], off offset:2048
	v_add_co_u32_e32 v4, vcc, s2, v4
	s_waitcnt vmcnt(3)
	v_subrev_u32_e32 v18, s44, v18
	v_addc_co_u32_e32 v5, vcc, 0, v5, vcc
	global_load_dwordx2 v[12:13], v[4:5], off
	global_load_dwordx2 v[14:15], v[4:5], off offset:2048
	v_subrev_u32_e32 v4, s44, v16
	v_subrev_u32_e32 v16, s44, v17
	s_waitcnt vmcnt(4)
	v_subrev_u32_e32 v20, s44, v19
	v_ashrrev_i32_e32 v5, 31, v4
	v_ashrrev_i32_e32 v17, 31, v16
	;; [unrolled: 1-line block ×4, first 2 shown]
	v_lshl_add_u64 v[4:5], v[4:5], 3, s[30:31]
	v_lshl_add_u64 v[16:17], v[16:17], 3, s[30:31]
	v_lshl_add_u64 v[18:19], v[18:19], 3, s[30:31]
	v_lshl_add_u64 v[20:21], v[20:21], 3, s[30:31]
	global_load_dwordx2 v[24:25], v[4:5], off
	global_load_dwordx2 v[26:27], v[16:17], off
	;; [unrolled: 1-line block ×4, first 2 shown]
	v_xor_b32_e32 v4, 0x80000000, v3
	v_mov_b32_e32 v5, v2
	s_waitcnt vmcnt(7)
	v_cndmask_b32_e64 v16, v9, -v9, s[6:7]
	s_waitcnt vmcnt(6)
	v_cndmask_b32_e64 v18, v11, -v11, s[6:7]
	v_pk_mul_f32 v[16:17], v[16:17], v[4:5] op_sel_hi:[0,1]
	v_pk_mul_f32 v[18:19], v[18:19], v[4:5] op_sel_hi:[0,1]
	v_pk_fma_f32 v[8:9], v[2:3], v[8:9], v[16:17] op_sel_hi:[1,0,1]
	v_pk_fma_f32 v[10:11], v[2:3], v[10:11], v[18:19] op_sel_hi:[1,0,1]
	v_xor_b32_e32 v18, 0x80000000, v9
	v_mov_b32_e32 v19, v8
	s_waitcnt vmcnt(5)
	v_cndmask_b32_e64 v20, v13, -v13, s[6:7]
	s_waitcnt vmcnt(4)
	v_cndmask_b32_e64 v32, v15, -v15, s[6:7]
	v_pk_mul_f32 v[16:17], v[20:21], v[4:5] op_sel_hi:[0,1]
	v_pk_mul_f32 v[4:5], v[32:33], v[4:5] op_sel_hi:[0,1]
	v_xor_b32_e32 v20, 0x80000000, v11
	v_mov_b32_e32 v21, v10
	v_pk_fma_f32 v[12:13], v[2:3], v[12:13], v[16:17] op_sel_hi:[1,0,1]
	v_pk_fma_f32 v[2:3], v[2:3], v[14:15], v[4:5] op_sel_hi:[1,0,1]
	v_xor_b32_e32 v4, 0x80000000, v13
	v_mov_b32_e32 v5, v12
	v_xor_b32_e32 v14, 0x80000000, v3
	v_mov_b32_e32 v15, v2
	s_waitcnt vmcnt(3)
	v_pk_mul_f32 v[16:17], v[24:25], v[18:19] op_sel:[1,0]
	s_waitcnt vmcnt(2)
	v_pk_mul_f32 v[18:19], v[26:27], v[20:21] op_sel:[1,0]
	;; [unrolled: 2-line block ×4, first 2 shown]
	v_pk_fma_f32 v[8:9], v[8:9], v[24:25], v[16:17] op_sel_hi:[1,0,1]
	v_pk_fma_f32 v[10:11], v[10:11], v[26:27], v[18:19] op_sel_hi:[1,0,1]
	;; [unrolled: 1-line block ×4, first 2 shown]
	ds_write2st64_b64 v22, v[8:9], v[10:11] offset1:4
	ds_write2st64_b64 v22, v[4:5], v[2:3] offset0:8 offset1:12
.LBB26_84:
	s_or_b64 exec, exec, s[0:1]
	s_cmp_lt_i32 s33, 2
	s_mov_b64 s[0:1], -1
	s_waitcnt lgkmcnt(0)
	s_barrier
	s_cbranch_scc0 .LBB26_95
; %bb.85:
	v_lshl_add_u64 v[8:9], s[36:37], 0, v[0:1]
	v_cmp_gt_i64_e32 vcc, s[38:39], v[8:9]
	s_and_saveexec_b64 s[0:1], vcc
	s_cbranch_execz .LBB26_94
; %bb.86:
	v_cmp_neq_f32_e32 vcc, 0, v6
	s_lshl_b32 s6, s42, 3
	s_or_b64 s[2:3], vcc, s[4:5]
	v_xor_b32_e32 v10, 0x80000000, v7
	v_mov_b32_e32 v11, v6
	s_sub_i32 s14, 0, s6
	s_mov_b64 s[6:7], 0
	v_mov_b32_e32 v12, 0
	s_mov_b64 s[8:9], 0x100
	s_branch .LBB26_88
.LBB26_87:                              ;   in Loop: Header=BB26_88 Depth=1
	s_or_b64 exec, exec, s[10:11]
	v_lshl_add_u64 v[8:9], v[8:9], 0, s[8:9]
	v_cmp_le_i64_e32 vcc, s[38:39], v[8:9]
	s_or_b64 s[6:7], vcc, s[6:7]
	global_store_dwordx2 v[2:3], v[4:5], off
	s_andn2_b64 exec, exec, s[6:7]
	s_cbranch_execz .LBB26_94
.LBB26_88:                              ; =>This Loop Header: Depth=1
                                        ;     Child Loop BB26_90 Depth 2
	v_lshl_add_u64 v[2:3], v[8:9], 3, s[24:25]
	global_load_dwordx4 v[2:5], v[2:3], off
	v_mov_b32_e32 v13, v12
	s_waitcnt vmcnt(0)
	v_subrev_u32_e32 v1, s42, v2
	v_subrev_u32_e32 v3, s42, v4
	v_cmp_lt_i32_e32 vcc, v1, v3
	v_mov_b64_e32 v[4:5], v[12:13]
	s_and_saveexec_b64 s[10:11], vcc
	s_cbranch_execz .LBB26_92
; %bb.89:                               ;   in Loop: Header=BB26_88 Depth=1
	v_mov_b32_e32 v4, 0
	v_lshl_add_u32 v2, v2, 3, s14
	s_mov_b64 s[12:13], 0
	v_mov_b32_e32 v5, v4
.LBB26_90:                              ;   Parent Loop BB26_88 Depth=1
                                        ; =>  This Inner Loop Header: Depth=2
	ds_read_b64 v[14:15], v2
	v_add_u32_e32 v1, 1, v1
	v_cmp_ge_i32_e32 vcc, v1, v3
	v_add_u32_e32 v2, 8, v2
	s_or_b64 s[12:13], vcc, s[12:13]
	s_waitcnt lgkmcnt(0)
	v_pk_add_f32 v[4:5], v[4:5], v[14:15]
	s_andn2_b64 exec, exec, s[12:13]
	s_cbranch_execnz .LBB26_90
; %bb.91:                               ;   in Loop: Header=BB26_88 Depth=1
	s_or_b64 exec, exec, s[12:13]
.LBB26_92:                              ;   in Loop: Header=BB26_88 Depth=1
	s_or_b64 exec, exec, s[10:11]
	v_lshl_add_u64 v[2:3], v[8:9], 3, s[34:35]
	s_and_saveexec_b64 s[10:11], s[2:3]
	s_cbranch_execz .LBB26_87
; %bb.93:                               ;   in Loop: Header=BB26_88 Depth=1
	global_load_dwordx2 v[14:15], v[2:3], off
	s_waitcnt vmcnt(0)
	v_pk_fma_f32 v[4:5], v[6:7], v[14:15], v[4:5] op_sel_hi:[1,0,1]
	s_nop 0
	v_pk_fma_f32 v[4:5], v[10:11], v[14:15], v[4:5] op_sel:[0,1,0]
	s_branch .LBB26_87
.LBB26_94:
	s_or_b64 exec, exec, s[0:1]
	s_mov_b64 s[0:1], 0
.LBB26_95:
	s_andn2_b64 vcc, exec, s[0:1]
	s_cbranch_vccnz .LBB26_120
; %bb.96:
	s_flbit_i32_b32 s0, s33
	s_xor_b32 s0, s0, 31
	v_lshrrev_b32_e32 v4, s0, v0
	v_mov_b32_e32 v5, 0
	v_lshl_add_u64 v[2:3], s[36:37], 0, v[4:5]
	s_add_i32 s0, s33, -1
	v_and_b32_e32 v8, s0, v0
	v_cmp_le_i64_e32 vcc, s[38:39], v[2:3]
	v_cmp_gt_i64_e64 s[0:1], s[38:39], v[2:3]
	v_mov_b32_e32 v0, v5
	v_mov_b32_e32 v1, v5
	s_and_saveexec_b64 s[2:3], s[0:1]
	s_cbranch_execz .LBB26_102
; %bb.97:
	v_lshlrev_b32_e32 v0, 3, v4
	global_load_dword v1, v0, s[40:41] offset:8
	global_load_dword v4, v0, s[40:41]
	s_waitcnt vmcnt(1)
	v_subrev_u32_e32 v0, s42, v1
	s_waitcnt vmcnt(0)
	v_subrev_u32_e32 v1, s42, v4
	v_add_u32_e32 v1, v8, v1
	v_cmp_lt_i32_e64 s[0:1], v1, v0
	v_mov_b32_e32 v4, v5
	s_and_saveexec_b64 s[6:7], s[0:1]
	s_cbranch_execz .LBB26_101
; %bb.98:
	v_mov_b32_e32 v4, 0
	v_lshlrev_b32_e32 v9, 3, v1
	s_lshl_b32 s10, s33, 3
	s_mov_b64 s[8:9], 0
	v_mov_b32_e32 v5, v4
.LBB26_99:                              ; =>This Inner Loop Header: Depth=1
	ds_read_b64 v[10:11], v9
	v_add_u32_e32 v1, s33, v1
	v_cmp_ge_i32_e64 s[0:1], v1, v0
	v_add_u32_e32 v9, s10, v9
	s_or_b64 s[8:9], s[0:1], s[8:9]
	s_waitcnt lgkmcnt(0)
	v_pk_add_f32 v[4:5], v[4:5], v[10:11]
	s_andn2_b64 exec, exec, s[8:9]
	s_cbranch_execnz .LBB26_99
; %bb.100:
	s_or_b64 exec, exec, s[8:9]
.LBB26_101:
	s_or_b64 exec, exec, s[6:7]
	v_mov_b64_e32 v[0:1], v[4:5]
.LBB26_102:
	s_or_b64 exec, exec, s[2:3]
	s_cmpk_lt_u32 s33, 0x81
	s_barrier
	ds_write_b64 v22, v[0:1]
	s_waitcnt lgkmcnt(0)
	s_barrier
	s_cbranch_scc1 .LBB26_104
; %bb.103:
	ds_read_b64 v[4:5], v22 offset:1024
	s_waitcnt lgkmcnt(0)
	s_barrier
	v_pk_add_f32 v[0:1], v[0:1], v[4:5]
	ds_write_b64 v22, v[0:1]
.LBB26_104:
	s_cmpk_lt_u32 s33, 0x41
	s_waitcnt lgkmcnt(0)
	s_barrier
	s_cbranch_scc1 .LBB26_106
; %bb.105:
	ds_read_b64 v[4:5], v22 offset:512
	s_waitcnt lgkmcnt(0)
	s_barrier
	v_pk_add_f32 v[0:1], v[0:1], v[4:5]
	ds_write_b64 v22, v[0:1]
.LBB26_106:
	s_cmp_lt_u32 s33, 33
	s_waitcnt lgkmcnt(0)
	s_barrier
	s_cbranch_scc1 .LBB26_108
; %bb.107:
	ds_read_b64 v[4:5], v22 offset:256
	s_waitcnt lgkmcnt(0)
	s_barrier
	v_pk_add_f32 v[0:1], v[0:1], v[4:5]
	ds_write_b64 v22, v[0:1]
.LBB26_108:
	s_cmp_lt_u32 s33, 17
	;; [unrolled: 11-line block ×4, first 2 shown]
	s_waitcnt lgkmcnt(0)
	s_barrier
	s_cbranch_scc1 .LBB26_114
; %bb.113:
	ds_read_b64 v[4:5], v22 offset:32
	s_waitcnt lgkmcnt(0)
	s_barrier
	v_pk_add_f32 v[0:1], v[0:1], v[4:5]
	ds_write_b64 v22, v[0:1]
.LBB26_114:
	s_cmp_eq_u32 s33, 2
	s_waitcnt lgkmcnt(0)
	s_barrier
	s_cbranch_scc1 .LBB26_116
; %bb.115:
	ds_read_b64 v[4:5], v22 offset:16
	s_waitcnt lgkmcnt(0)
	s_barrier
	v_pk_add_f32 v[0:1], v[0:1], v[4:5]
	ds_write_b64 v22, v[0:1]
.LBB26_116:
	s_waitcnt lgkmcnt(0)
	s_barrier
	ds_read_b64 v[4:5], v22 offset:8
	v_cmp_eq_u32_e64 s[0:1], 0, v8
	s_xor_b64 s[2:3], vcc, -1
	s_and_b64 s[0:1], s[0:1], s[2:3]
	s_waitcnt lgkmcnt(0)
	v_pk_add_f32 v[0:1], v[0:1], v[4:5]
	s_barrier
	ds_write_b64 v22, v[0:1]
	s_and_b64 exec, exec, s[0:1]
	s_cbranch_execz .LBB26_120
; %bb.117:
	v_cmp_neq_f32_e32 vcc, 0, v6
	s_or_b64 s[2:3], vcc, s[4:5]
	v_lshl_add_u64 v[2:3], v[2:3], 3, s[34:35]
	s_and_saveexec_b64 s[0:1], s[2:3]
	s_cbranch_execz .LBB26_119
; %bb.118:
	global_load_dwordx2 v[4:5], v[2:3], off
	v_xor_b32_e32 v8, 0x80000000, v7
	v_mov_b32_e32 v9, v6
	s_waitcnt vmcnt(0)
	v_pk_fma_f32 v[0:1], v[6:7], v[4:5], v[0:1] op_sel_hi:[1,0,1]
	s_nop 0
	v_pk_fma_f32 v[0:1], v[8:9], v[4:5], v[0:1] op_sel:[0,1,0]
.LBB26_119:
	s_or_b64 exec, exec, s[0:1]
	global_store_dwordx2 v[2:3], v[0:1], off
.LBB26_120:
	s_endpgm
	.section	.rodata,"a",@progbits
	.p2align	6, 0x0
	.amdhsa_kernel _ZN9rocsparseL22csrmvn_adaptive_kernelIli21rocsparse_complex_numIfES2_S2_S2_EEvbT_PKS3_PjPKT0_NS_24const_host_device_scalarIT4_EES5_S9_PKT1_PKT2_SC_PT3_21rocsparse_index_base_b
		.amdhsa_group_segment_fixed_size 8192
		.amdhsa_private_segment_fixed_size 0
		.amdhsa_kernarg_size 104
		.amdhsa_user_sgpr_count 2
		.amdhsa_user_sgpr_dispatch_ptr 0
		.amdhsa_user_sgpr_queue_ptr 0
		.amdhsa_user_sgpr_kernarg_segment_ptr 1
		.amdhsa_user_sgpr_dispatch_id 0
		.amdhsa_user_sgpr_kernarg_preload_length 0
		.amdhsa_user_sgpr_kernarg_preload_offset 0
		.amdhsa_user_sgpr_private_segment_size 0
		.amdhsa_uses_dynamic_stack 0
		.amdhsa_enable_private_segment 0
		.amdhsa_system_sgpr_workgroup_id_x 1
		.amdhsa_system_sgpr_workgroup_id_y 0
		.amdhsa_system_sgpr_workgroup_id_z 0
		.amdhsa_system_sgpr_workgroup_info 0
		.amdhsa_system_vgpr_workitem_id 0
		.amdhsa_next_free_vgpr 38
		.amdhsa_next_free_sgpr 70
		.amdhsa_accum_offset 40
		.amdhsa_reserve_vcc 1
		.amdhsa_float_round_mode_32 0
		.amdhsa_float_round_mode_16_64 0
		.amdhsa_float_denorm_mode_32 3
		.amdhsa_float_denorm_mode_16_64 3
		.amdhsa_dx10_clamp 1
		.amdhsa_ieee_mode 1
		.amdhsa_fp16_overflow 0
		.amdhsa_tg_split 0
		.amdhsa_exception_fp_ieee_invalid_op 0
		.amdhsa_exception_fp_denorm_src 0
		.amdhsa_exception_fp_ieee_div_zero 0
		.amdhsa_exception_fp_ieee_overflow 0
		.amdhsa_exception_fp_ieee_underflow 0
		.amdhsa_exception_fp_ieee_inexact 0
		.amdhsa_exception_int_div_zero 0
	.end_amdhsa_kernel
	.section	.text._ZN9rocsparseL22csrmvn_adaptive_kernelIli21rocsparse_complex_numIfES2_S2_S2_EEvbT_PKS3_PjPKT0_NS_24const_host_device_scalarIT4_EES5_S9_PKT1_PKT2_SC_PT3_21rocsparse_index_base_b,"axG",@progbits,_ZN9rocsparseL22csrmvn_adaptive_kernelIli21rocsparse_complex_numIfES2_S2_S2_EEvbT_PKS3_PjPKT0_NS_24const_host_device_scalarIT4_EES5_S9_PKT1_PKT2_SC_PT3_21rocsparse_index_base_b,comdat
.Lfunc_end26:
	.size	_ZN9rocsparseL22csrmvn_adaptive_kernelIli21rocsparse_complex_numIfES2_S2_S2_EEvbT_PKS3_PjPKT0_NS_24const_host_device_scalarIT4_EES5_S9_PKT1_PKT2_SC_PT3_21rocsparse_index_base_b, .Lfunc_end26-_ZN9rocsparseL22csrmvn_adaptive_kernelIli21rocsparse_complex_numIfES2_S2_S2_EEvbT_PKS3_PjPKT0_NS_24const_host_device_scalarIT4_EES5_S9_PKT1_PKT2_SC_PT3_21rocsparse_index_base_b
                                        ; -- End function
	.set _ZN9rocsparseL22csrmvn_adaptive_kernelIli21rocsparse_complex_numIfES2_S2_S2_EEvbT_PKS3_PjPKT0_NS_24const_host_device_scalarIT4_EES5_S9_PKT1_PKT2_SC_PT3_21rocsparse_index_base_b.num_vgpr, 38
	.set _ZN9rocsparseL22csrmvn_adaptive_kernelIli21rocsparse_complex_numIfES2_S2_S2_EEvbT_PKS3_PjPKT0_NS_24const_host_device_scalarIT4_EES5_S9_PKT1_PKT2_SC_PT3_21rocsparse_index_base_b.num_agpr, 0
	.set _ZN9rocsparseL22csrmvn_adaptive_kernelIli21rocsparse_complex_numIfES2_S2_S2_EEvbT_PKS3_PjPKT0_NS_24const_host_device_scalarIT4_EES5_S9_PKT1_PKT2_SC_PT3_21rocsparse_index_base_b.numbered_sgpr, 70
	.set _ZN9rocsparseL22csrmvn_adaptive_kernelIli21rocsparse_complex_numIfES2_S2_S2_EEvbT_PKS3_PjPKT0_NS_24const_host_device_scalarIT4_EES5_S9_PKT1_PKT2_SC_PT3_21rocsparse_index_base_b.num_named_barrier, 0
	.set _ZN9rocsparseL22csrmvn_adaptive_kernelIli21rocsparse_complex_numIfES2_S2_S2_EEvbT_PKS3_PjPKT0_NS_24const_host_device_scalarIT4_EES5_S9_PKT1_PKT2_SC_PT3_21rocsparse_index_base_b.private_seg_size, 0
	.set _ZN9rocsparseL22csrmvn_adaptive_kernelIli21rocsparse_complex_numIfES2_S2_S2_EEvbT_PKS3_PjPKT0_NS_24const_host_device_scalarIT4_EES5_S9_PKT1_PKT2_SC_PT3_21rocsparse_index_base_b.uses_vcc, 1
	.set _ZN9rocsparseL22csrmvn_adaptive_kernelIli21rocsparse_complex_numIfES2_S2_S2_EEvbT_PKS3_PjPKT0_NS_24const_host_device_scalarIT4_EES5_S9_PKT1_PKT2_SC_PT3_21rocsparse_index_base_b.uses_flat_scratch, 0
	.set _ZN9rocsparseL22csrmvn_adaptive_kernelIli21rocsparse_complex_numIfES2_S2_S2_EEvbT_PKS3_PjPKT0_NS_24const_host_device_scalarIT4_EES5_S9_PKT1_PKT2_SC_PT3_21rocsparse_index_base_b.has_dyn_sized_stack, 0
	.set _ZN9rocsparseL22csrmvn_adaptive_kernelIli21rocsparse_complex_numIfES2_S2_S2_EEvbT_PKS3_PjPKT0_NS_24const_host_device_scalarIT4_EES5_S9_PKT1_PKT2_SC_PT3_21rocsparse_index_base_b.has_recursion, 0
	.set _ZN9rocsparseL22csrmvn_adaptive_kernelIli21rocsparse_complex_numIfES2_S2_S2_EEvbT_PKS3_PjPKT0_NS_24const_host_device_scalarIT4_EES5_S9_PKT1_PKT2_SC_PT3_21rocsparse_index_base_b.has_indirect_call, 0
	.section	.AMDGPU.csdata,"",@progbits
; Kernel info:
; codeLenInByte = 5116
; TotalNumSgprs: 76
; NumVgprs: 38
; NumAgprs: 0
; TotalNumVgprs: 38
; ScratchSize: 0
; MemoryBound: 0
; FloatMode: 240
; IeeeMode: 1
; LDSByteSize: 8192 bytes/workgroup (compile time only)
; SGPRBlocks: 9
; VGPRBlocks: 4
; NumSGPRsForWavesPerEU: 76
; NumVGPRsForWavesPerEU: 38
; AccumOffset: 40
; Occupancy: 8
; WaveLimiterHint : 1
; COMPUTE_PGM_RSRC2:SCRATCH_EN: 0
; COMPUTE_PGM_RSRC2:USER_SGPR: 2
; COMPUTE_PGM_RSRC2:TRAP_HANDLER: 0
; COMPUTE_PGM_RSRC2:TGID_X_EN: 1
; COMPUTE_PGM_RSRC2:TGID_Y_EN: 0
; COMPUTE_PGM_RSRC2:TGID_Z_EN: 0
; COMPUTE_PGM_RSRC2:TIDIG_COMP_CNT: 0
; COMPUTE_PGM_RSRC3_GFX90A:ACCUM_OFFSET: 9
; COMPUTE_PGM_RSRC3_GFX90A:TG_SPLIT: 0
	.section	.text._ZN9rocsparseL27csrmvn_symm_adaptive_kernelIli21rocsparse_complex_numIfES2_S2_S2_EEvbT_S3_PKS3_NS_24const_host_device_scalarIT4_EES5_PKT0_PKT1_PKT2_S8_PT3_21rocsparse_index_base_b,"axG",@progbits,_ZN9rocsparseL27csrmvn_symm_adaptive_kernelIli21rocsparse_complex_numIfES2_S2_S2_EEvbT_S3_PKS3_NS_24const_host_device_scalarIT4_EES5_PKT0_PKT1_PKT2_S8_PT3_21rocsparse_index_base_b,comdat
	.globl	_ZN9rocsparseL27csrmvn_symm_adaptive_kernelIli21rocsparse_complex_numIfES2_S2_S2_EEvbT_S3_PKS3_NS_24const_host_device_scalarIT4_EES5_PKT0_PKT1_PKT2_S8_PT3_21rocsparse_index_base_b ; -- Begin function _ZN9rocsparseL27csrmvn_symm_adaptive_kernelIli21rocsparse_complex_numIfES2_S2_S2_EEvbT_S3_PKS3_NS_24const_host_device_scalarIT4_EES5_PKT0_PKT1_PKT2_S8_PT3_21rocsparse_index_base_b
	.p2align	8
	.type	_ZN9rocsparseL27csrmvn_symm_adaptive_kernelIli21rocsparse_complex_numIfES2_S2_S2_EEvbT_S3_PKS3_NS_24const_host_device_scalarIT4_EES5_PKT0_PKT1_PKT2_S8_PT3_21rocsparse_index_base_b,@function
_ZN9rocsparseL27csrmvn_symm_adaptive_kernelIli21rocsparse_complex_numIfES2_S2_S2_EEvbT_S3_PKS3_NS_24const_host_device_scalarIT4_EES5_PKT0_PKT1_PKT2_S8_PT3_21rocsparse_index_base_b: ; @_ZN9rocsparseL27csrmvn_symm_adaptive_kernelIli21rocsparse_complex_numIfES2_S2_S2_EEvbT_S3_PKS3_NS_24const_host_device_scalarIT4_EES5_PKT0_PKT1_PKT2_S8_PT3_21rocsparse_index_base_b
; %bb.0:
	s_load_dwordx2 s[34:35], s[0:1], 0x58
	s_load_dwordx2 s[4:5], s[0:1], 0x20
	s_add_u32 s3, s0, 32
	s_addc_u32 s10, s1, 0
	s_waitcnt lgkmcnt(0)
	s_bitcmp1_b32 s35, 0
	s_cselect_b64 s[8:9], -1, 0
	s_and_b64 s[6:7], s[8:9], exec
	s_cselect_b32 s5, s10, s5
	s_cselect_b32 s3, s3, s4
	v_mov_b32_e32 v2, s3
	v_mov_b32_e32 v3, s5
	flat_load_dwordx2 v[2:3], v[2:3]
	s_waitcnt vmcnt(0) lgkmcnt(0)
	v_cmp_eq_f32_e32 vcc, 0, v2
	v_cmp_eq_f32_e64 s[4:5], 0, v3
	s_and_b64 s[10:11], vcc, s[4:5]
	s_mov_b64 s[4:5], -1
	s_and_saveexec_b64 s[6:7], s[10:11]
	s_cbranch_execz .LBB27_2
; %bb.1:
	s_load_dwordx2 s[4:5], s[0:1], 0x48
	s_add_u32 s3, s0, 0x48
	s_addc_u32 s10, s1, 0
	s_and_b64 s[8:9], s[8:9], exec
	s_waitcnt lgkmcnt(0)
	s_cselect_b32 s5, s10, s5
	s_cselect_b32 s3, s3, s4
	v_mov_b32_e32 v4, s3
	v_mov_b32_e32 v5, s5
	flat_load_dwordx2 v[4:5], v[4:5]
	s_waitcnt vmcnt(0) lgkmcnt(0)
	v_cmp_neq_f32_e32 vcc, 1.0, v4
	v_cmp_neq_f32_e64 s[4:5], 0, v5
	s_or_b64 s[4:5], vcc, s[4:5]
	s_orn2_b64 s[4:5], s[4:5], exec
.LBB27_2:
	s_or_b64 exec, exec, s[6:7]
	s_and_saveexec_b64 s[6:7], s[4:5]
	s_cbranch_execz .LBB27_153
; %bb.3:
	s_load_dword s3, s[0:1], 0x0
	s_load_dwordx2 s[4:5], s[0:1], 0x18
	s_mov_b32 s6, 0
	s_mov_b32 s7, s6
	v_lshlrev_b32_e32 v22, 3, v0
	s_waitcnt lgkmcnt(0)
	s_bitcmp1_b32 s3, 0
	s_cselect_b64 s[14:15], -1, 0
	s_ashr_i32 s3, s2, 31
	s_lshl_b64 s[2:3], s[2:3], 3
	s_add_u32 s2, s4, s2
	v_mov_b64_e32 v[4:5], s[6:7]
	s_addc_u32 s3, s5, s3
	ds_write2st64_b64 v22, v[4:5], v[4:5] offset1:4
	ds_write2st64_b64 v22, v[4:5], v[4:5] offset0:8 offset1:12
	s_waitcnt lgkmcnt(0)
	s_barrier
	s_load_dwordx4 s[24:27], s[2:3], 0x0
	s_load_dwordx8 s[16:23], s[0:1], 0x28
	s_load_dwordx2 s[28:29], s[0:1], 0x50
	s_mov_b64 s[2:3], -1
	s_waitcnt lgkmcnt(0)
	s_sub_u32 s30, s26, s24
	s_subb_u32 s31, s27, s25
	v_cmp_gt_i64_e64 s[4:5], s[30:31], 2
	s_and_b64 vcc, exec, s[4:5]
	s_cbranch_vccnz .LBB27_40
; %bb.4:
	v_mov_b64_e32 v[4:5], s[24:25]
	v_cmp_le_i64_e32 vcc, s[26:27], v[4:5]
	v_subrev_co_u32_e64 v4, s[2:3], s34, v0
	v_mov_b32_e32 v1, 0
	s_nop 0
	v_subb_co_u32_e64 v5, s[2:3], 0, 0, s[2:3]
	s_cbranch_vccnz .LBB27_30
; %bb.5:
	s_movk_i32 s2, 0x100
	v_cmp_gt_u32_e64 s[4:5], s2, v0
	s_add_u32 s2, s20, 4
	v_cmp_gt_u32_e64 s[6:7], 64, v0
	v_cmp_gt_u32_e64 s[8:9], 16, v0
	;; [unrolled: 1-line block ×3, first 2 shown]
	v_cmp_eq_u32_e64 s[12:13], 0, v0
	s_addc_u32 s3, s21, 0
	s_mov_b64 s[36:37], 0x100
	s_mov_b64 s[38:39], 0x400
	s_mov_b64 s[40:41], 0x800
	v_mov_b64_e32 v[6:7], s[26:27]
	s_mov_b64 s[42:43], s[24:25]
	s_branch .LBB27_7
.LBB27_6:                               ;   in Loop: Header=BB27_7 Depth=1
	s_or_b64 exec, exec, s[46:47]
	s_add_u32 s42, s42, 1
	s_addc_u32 s43, s43, 0
	v_cmp_ge_i64_e32 vcc, s[42:43], v[6:7]
	s_cbranch_vccnz .LBB27_30
.LBB27_7:                               ; =>This Loop Header: Depth=1
                                        ;     Child Loop BB27_9 Depth 2
                                        ;     Child Loop BB27_23 Depth 2
	;; [unrolled: 1-line block ×3, first 2 shown]
	s_lshl_b64 s[44:45], s[42:43], 3
	s_add_u32 s46, s16, s44
	s_addc_u32 s47, s17, s45
	s_load_dwordx4 s[52:55], s[46:47], 0x0
	v_mov_b32_e32 v9, 0
	v_mov_b32_e32 v8, v9
	s_waitcnt lgkmcnt(0)
	s_sub_u32 s48, s54, s34
	v_lshl_add_u64 v[10:11], s[52:53], 0, v[4:5]
	s_subb_u32 s49, s55, 0
	v_cmp_gt_i64_e32 vcc, s[48:49], v[10:11]
	s_and_saveexec_b64 s[46:47], vcc
	s_cbranch_execz .LBB27_11
; %bb.8:                                ;   in Loop: Header=BB27_7 Depth=1
	v_mov_b32_e32 v8, 0
	v_lshl_add_u64 v[12:13], v[10:11], 2, s[18:19]
	v_lshl_add_u64 v[14:15], v[10:11], 3, s[2:3]
	s_mov_b64 s[50:51], 0
	v_mov_b32_e32 v9, v8
.LBB27_9:                               ;   Parent Loop BB27_7 Depth=1
                                        ; =>  This Inner Loop Header: Depth=2
	global_load_dword v18, v[12:13], off
	global_load_dwordx2 v[16:17], v[14:15], off offset:-4
	v_lshl_add_u64 v[10:11], v[10:11], 0, s[36:37]
	v_cmp_le_i64_e32 vcc, s[48:49], v[10:11]
	v_lshl_add_u64 v[12:13], v[12:13], 0, s[38:39]
	v_lshl_add_u64 v[14:15], v[14:15], 0, s[40:41]
	s_or_b64 s[50:51], vcc, s[50:51]
	s_waitcnt vmcnt(1)
	v_subrev_u32_e32 v18, s34, v18
	v_ashrrev_i32_e32 v19, 31, v18
	v_lshl_add_u64 v[18:19], v[18:19], 3, s[22:23]
	global_load_dwordx2 v[18:19], v[18:19], off
	s_waitcnt vmcnt(1)
	v_cndmask_b32_e64 v17, v17, -v17, s[14:15]
	v_mov_b32_e32 v21, v16
	v_xor_b32_e32 v20, 0x80000000, v17
	s_waitcnt vmcnt(0)
	v_pk_fma_f32 v[8:9], v[16:17], v[18:19], v[8:9] op_sel_hi:[1,0,1]
	s_nop 0
	v_pk_fma_f32 v[8:9], v[20:21], v[18:19], v[8:9] op_sel:[0,1,0]
	s_andn2_b64 exec, exec, s[50:51]
	s_cbranch_execnz .LBB27_9
; %bb.10:                               ;   in Loop: Header=BB27_7 Depth=1
	s_or_b64 exec, exec, s[50:51]
.LBB27_11:                              ;   in Loop: Header=BB27_7 Depth=1
	s_or_b64 exec, exec, s[46:47]
	ds_write_b64 v22, v[8:9]
	s_waitcnt lgkmcnt(0)
	s_barrier
	s_and_saveexec_b64 s[46:47], s[4:5]
	s_cbranch_execz .LBB27_13
; %bb.12:                               ;   in Loop: Header=BB27_7 Depth=1
	ds_read2st64_b64 v[8:11], v22 offset1:4
	ds_read2st64_b64 v[12:15], v22 offset0:8 offset1:12
	s_waitcnt lgkmcnt(0)
	v_pk_add_f32 v[10:11], v[12:13], v[10:11]
	s_nop 0
	v_pk_add_f32 v[10:11], v[14:15], v[10:11]
	s_nop 0
	v_pk_add_f32 v[8:9], v[10:11], v[8:9]
	ds_write_b64 v22, v[8:9]
.LBB27_13:                              ;   in Loop: Header=BB27_7 Depth=1
	s_or_b64 exec, exec, s[46:47]
	s_waitcnt lgkmcnt(0)
	s_barrier
	s_and_saveexec_b64 s[46:47], s[6:7]
	s_cbranch_execz .LBB27_15
; %bb.14:                               ;   in Loop: Header=BB27_7 Depth=1
	ds_read2st64_b64 v[8:11], v22 offset1:1
	ds_read2st64_b64 v[12:15], v22 offset0:2 offset1:3
	s_waitcnt lgkmcnt(0)
	v_pk_add_f32 v[10:11], v[12:13], v[10:11]
	s_nop 0
	v_pk_add_f32 v[10:11], v[14:15], v[10:11]
	s_nop 0
	v_pk_add_f32 v[8:9], v[10:11], v[8:9]
	ds_write_b64 v22, v[8:9]
.LBB27_15:                              ;   in Loop: Header=BB27_7 Depth=1
	s_or_b64 exec, exec, s[46:47]
	s_waitcnt lgkmcnt(0)
	s_barrier
	s_and_saveexec_b64 s[46:47], s[8:9]
	s_cbranch_execz .LBB27_17
; %bb.16:                               ;   in Loop: Header=BB27_7 Depth=1
	ds_read2_b64 v[8:11], v22 offset1:16
	ds_read2_b64 v[12:15], v22 offset0:32 offset1:48
	s_waitcnt lgkmcnt(0)
	v_pk_add_f32 v[10:11], v[12:13], v[10:11]
	s_nop 0
	v_pk_add_f32 v[10:11], v[14:15], v[10:11]
	s_nop 0
	v_pk_add_f32 v[8:9], v[10:11], v[8:9]
	ds_write_b64 v22, v[8:9]
.LBB27_17:                              ;   in Loop: Header=BB27_7 Depth=1
	s_or_b64 exec, exec, s[46:47]
	s_waitcnt lgkmcnt(0)
	s_barrier
	s_and_saveexec_b64 s[46:47], s[10:11]
	s_cbranch_execz .LBB27_19
; %bb.18:                               ;   in Loop: Header=BB27_7 Depth=1
	ds_read2_b64 v[8:11], v22 offset1:4
	ds_read2_b64 v[12:15], v22 offset0:8 offset1:12
	s_waitcnt lgkmcnt(0)
	v_pk_add_f32 v[10:11], v[12:13], v[10:11]
	s_nop 0
	v_pk_add_f32 v[10:11], v[14:15], v[10:11]
	s_nop 0
	v_pk_add_f32 v[8:9], v[10:11], v[8:9]
	ds_write_b64 v22, v[8:9]
.LBB27_19:                              ;   in Loop: Header=BB27_7 Depth=1
	s_or_b64 exec, exec, s[46:47]
	s_waitcnt lgkmcnt(0)
	s_barrier
	s_and_saveexec_b64 s[46:47], s[12:13]
	s_cbranch_execz .LBB27_21
; %bb.20:                               ;   in Loop: Header=BB27_7 Depth=1
	ds_read_b128 v[8:11], v1 offset:16
	ds_read_b64 v[12:13], v1 offset:8
	ds_read_b64 v[14:15], v22
	s_waitcnt lgkmcnt(1)
	v_pk_add_f32 v[8:9], v[8:9], v[12:13]
	s_nop 0
	v_pk_add_f32 v[8:9], v[10:11], v[8:9]
	s_waitcnt lgkmcnt(0)
	v_pk_add_f32 v[8:9], v[8:9], v[14:15]
	ds_write_b64 v22, v[8:9]
.LBB27_21:                              ;   in Loop: Header=BB27_7 Depth=1
	s_or_b64 exec, exec, s[46:47]
	s_waitcnt lgkmcnt(0)
	s_barrier
	s_and_saveexec_b64 s[46:47], s[12:13]
	s_cbranch_execz .LBB27_6
; %bb.22:                               ;   in Loop: Header=BB27_7 Depth=1
	ds_read_b64 v[8:9], v1
	s_mov_b64 s[48:49], exec
	v_bfrev_b32_e32 v10, 1
	s_waitcnt lgkmcnt(0)
	v_mul_f32_e64 v11, v9, -v3
	v_fmac_f32_e32 v11, v2, v8
.LBB27_23:                              ;   Parent Loop BB27_7 Depth=1
                                        ; =>  This Inner Loop Header: Depth=2
	s_ff1_i32_b64 s33, s[48:49]
	s_lshl_b64 s[50:51], 1, s33
	v_readlane_b32 s35, v11, s33
	s_andn2_b64 s[48:49], s[48:49], s[50:51]
	s_cmp_lg_u64 s[48:49], 0
	v_add_f32_e32 v10, s35, v10
	s_cbranch_scc1 .LBB27_23
; %bb.24:                               ;   in Loop: Header=BB27_7 Depth=1
	v_mbcnt_lo_u32_b32 v11, exec_lo, 0
	s_add_u32 s44, s28, s44
	v_mbcnt_hi_u32_b32 v11, exec_hi, v11
	s_addc_u32 s45, s29, s45
	v_cmp_eq_u32_e32 vcc, 0, v11
	s_and_saveexec_b64 s[48:49], vcc
	s_xor_b64 s[48:49], exec, s[48:49]
	s_cbranch_execz .LBB27_26
; %bb.25:                               ;   in Loop: Header=BB27_7 Depth=1
	global_atomic_add_f32 v1, v10, s[44:45]
.LBB27_26:                              ;   in Loop: Header=BB27_7 Depth=1
	s_or_b64 exec, exec, s[48:49]
	v_mul_f32_e32 v9, v2, v9
	s_mov_b64 s[48:49], exec
	v_fmac_f32_e32 v9, v3, v8
	v_bfrev_b32_e32 v8, 1
.LBB27_27:                              ;   Parent Loop BB27_7 Depth=1
                                        ; =>  This Inner Loop Header: Depth=2
	s_ff1_i32_b64 s33, s[48:49]
	s_lshl_b64 s[50:51], 1, s33
	v_readlane_b32 s35, v9, s33
	s_andn2_b64 s[48:49], s[48:49], s[50:51]
	s_cmp_lg_u64 s[48:49], 0
	v_add_f32_e32 v8, s35, v8
	s_cbranch_scc1 .LBB27_27
; %bb.28:                               ;   in Loop: Header=BB27_7 Depth=1
	v_mbcnt_lo_u32_b32 v9, exec_lo, 0
	v_mbcnt_hi_u32_b32 v9, exec_hi, v9
	v_cmp_eq_u32_e32 vcc, 0, v9
	s_and_saveexec_b64 s[48:49], vcc
	s_xor_b64 s[48:49], exec, s[48:49]
	s_cbranch_execz .LBB27_6
; %bb.29:                               ;   in Loop: Header=BB27_7 Depth=1
	global_atomic_add_f32 v1, v8, s[44:45] offset:4
	s_branch .LBB27_6
.LBB27_30:
	s_lshl_b64 s[2:3], s[24:25], 3
	s_add_u32 s2, s16, s2
	s_addc_u32 s3, s17, s3
	s_lshl_b64 s[4:5], s[26:27], 3
	s_add_u32 s4, s16, s4
	s_addc_u32 s5, s17, s5
	s_load_dwordx2 s[6:7], s[4:5], 0x0
	s_load_dwordx2 s[8:9], s[2:3], 0x0
	s_waitcnt lgkmcnt(0)
	s_sub_u32 s6, s6, s34
	s_subb_u32 s7, s7, 0
	v_lshl_add_u64 v[4:5], s[8:9], 0, v[4:5]
	v_cmp_gt_i64_e32 vcc, s[6:7], v[4:5]
	s_and_saveexec_b64 s[8:9], vcc
	s_cbranch_execz .LBB27_39
; %bb.31:
	s_add_u32 s10, s26, -1
	s_addc_u32 s11, s27, -1
	s_add_u32 s2, s26, -2
	s_addc_u32 s3, s27, -1
	v_mov_b64_e32 v[6:7], s[10:11]
	s_cmp_lg_u64 s[24:25], s[2:3]
	v_cmp_lt_i64_e32 vcc, s[24:25], v[6:7]
	s_cselect_b64 s[2:3], -1, 0
	s_and_b64 s[2:3], vcc, s[2:3]
	v_cndmask_b32_e64 v1, 0, 1, s[2:3]
	s_mov_b64 s[12:13], 0
	v_cmp_ne_u32_e64 s[4:5], 1, v1
	v_mov_b32_e32 v7, 0
	s_mov_b64 s[36:37], 0x100
	s_branch .LBB27_33
.LBB27_32:                              ;   in Loop: Header=BB27_33 Depth=1
	s_or_b64 exec, exec, s[2:3]
	v_lshl_add_u64 v[4:5], v[4:5], 0, s[36:37]
	v_cmp_le_i64_e32 vcc, s[6:7], v[4:5]
	s_or_b64 s[12:13], vcc, s[12:13]
	s_andn2_b64 exec, exec, s[12:13]
	s_cbranch_execz .LBB27_39
.LBB27_33:                              ; =>This Loop Header: Depth=1
                                        ;     Child Loop BB27_35 Depth 2
	s_and_b64 vcc, exec, s[4:5]
	v_mov_b64_e32 v[8:9], s[24:25]
	v_mov_b64_e32 v[10:11], s[10:11]
	s_cbranch_vccnz .LBB27_37
; %bb.34:                               ;   in Loop: Header=BB27_33 Depth=1
	s_mov_b64 s[38:39], 0
	v_mov_b64_e32 v[8:9], s[24:25]
	v_mov_b64_e32 v[10:11], s[10:11]
.LBB27_35:                              ;   Parent Loop BB27_33 Depth=1
                                        ; =>  This Inner Loop Header: Depth=2
	v_lshl_add_u64 v[12:13], v[10:11], 0, v[8:9]
	v_lshrrev_b32_e32 v6, 31, v13
	v_lshl_add_u64 v[12:13], v[12:13], 0, v[6:7]
	v_ashrrev_i64 v[12:13], 1, v[12:13]
	v_lshl_add_u64 v[14:15], v[12:13], 3, s[16:17]
	global_load_dwordx2 v[14:15], v[14:15], off
	s_waitcnt vmcnt(0)
	v_subrev_co_u32_e32 v14, vcc, s34, v14
	s_nop 1
	v_subbrev_co_u32_e32 v15, vcc, 0, v15, vcc
	v_cmp_lt_i64_e32 vcc, v[4:5], v[14:15]
	s_nop 1
	v_cndmask_b32_e32 v11, v11, v13, vcc
	v_cndmask_b32_e32 v10, v10, v12, vcc
	;; [unrolled: 1-line block ×4, first 2 shown]
	v_lshl_add_u64 v[12:13], v[10:11], 0, -1
	v_cmp_ge_i64_e32 vcc, v[8:9], v[10:11]
	v_cmp_eq_u64_e64 s[2:3], v[8:9], v[12:13]
	s_or_b64 s[2:3], vcc, s[2:3]
	s_and_b64 s[2:3], exec, s[2:3]
	s_or_b64 s[38:39], s[2:3], s[38:39]
	s_andn2_b64 exec, exec, s[38:39]
	s_cbranch_execnz .LBB27_35
; %bb.36:                               ;   in Loop: Header=BB27_33 Depth=1
	s_or_b64 exec, exec, s[38:39]
.LBB27_37:                              ;   in Loop: Header=BB27_33 Depth=1
	v_lshl_add_u64 v[12:13], v[10:11], 3, s[16:17]
	global_load_dwordx2 v[12:13], v[12:13], off
	v_lshl_add_u64 v[14:15], v[4:5], 2, s[18:19]
	global_load_dword v1, v[14:15], off
	s_waitcnt vmcnt(1)
	v_subrev_co_u32_e32 v14, vcc, s34, v12
	s_nop 1
	v_subbrev_co_u32_e32 v15, vcc, 0, v13, vcc
	s_waitcnt vmcnt(0)
	v_subrev_u32_e32 v12, s34, v1
	v_cmp_lt_i64_e32 vcc, v[4:5], v[14:15]
	v_ashrrev_i32_e32 v13, 31, v12
	s_nop 0
	v_cndmask_b32_e32 v9, v11, v9, vcc
	v_cndmask_b32_e32 v8, v10, v8, vcc
	v_cmp_ne_u64_e32 vcc, v[8:9], v[12:13]
	s_and_saveexec_b64 s[2:3], vcc
	s_cbranch_execz .LBB27_32
; %bb.38:                               ;   in Loop: Header=BB27_33 Depth=1
	v_lshl_add_u64 v[10:11], v[4:5], 3, s[20:21]
	global_load_dwordx2 v[10:11], v[10:11], off
	v_lshl_add_u64 v[8:9], v[8:9], 3, s[22:23]
	global_load_dwordx2 v[8:9], v[8:9], off
	v_lshl_add_u64 v[12:13], v[12:13], 3, s[28:29]
	s_waitcnt vmcnt(1)
	v_cndmask_b32_e64 v1, v11, -v11, s[14:15]
	v_mul_f32_e64 v6, v1, -v3
	v_mul_f32_e32 v1, v2, v1
	v_fmac_f32_e32 v1, v3, v10
	v_fmac_f32_e32 v6, v2, v10
	s_waitcnt vmcnt(0)
	v_mul_f32_e64 v10, v9, -v1
	v_mul_f32_e32 v9, v9, v6
	v_fmac_f32_e32 v10, v6, v8
	v_fmac_f32_e32 v9, v1, v8
	global_atomic_add_f32 v[12:13], v10, off
	global_atomic_add_f32 v[12:13], v9, off offset:4
	s_branch .LBB27_32
.LBB27_39:
	s_or_b64 exec, exec, s[8:9]
	s_mov_b64 s[2:3], 0
.LBB27_40:
	s_and_b64 vcc, exec, s[2:3]
	s_cbranch_vccz .LBB27_153
; %bb.41:
	s_load_dword s2, s[0:1], 0x6c
	s_mov_b32 s13, 0
	v_mov_b64_e32 v[4:5], s[30:31]
	s_mov_b64 s[36:37], 0
	s_waitcnt lgkmcnt(0)
	s_and_b32 s12, s2, 0xffff
	v_cmp_lt_u64_e32 vcc, s[12:13], v[4:5]
	s_cbranch_vccnz .LBB27_43
; %bb.42:
	v_cvt_f32_u32_e32 v1, s30
	s_sub_i32 s2, 0, s30
	v_rcp_iflag_f32_e32 v1, v1
	s_nop 0
	v_mul_f32_e32 v1, 0x4f7ffffe, v1
	v_cvt_u32_f32_e32 v1, v1
	s_nop 0
	v_readfirstlane_b32 s3, v1
	s_mul_i32 s2, s2, s3
	s_mul_hi_u32 s2, s3, s2
	s_add_i32 s3, s3, s2
	s_mul_hi_u32 s2, s12, s3
	s_mul_i32 s4, s2, s30
	s_sub_i32 s4, s12, s4
	s_add_i32 s3, s2, 1
	s_sub_i32 s5, s4, s30
	s_cmp_ge_u32 s4, s30
	s_cselect_b32 s2, s3, s2
	s_cselect_b32 s4, s5, s4
	s_add_i32 s3, s2, 1
	s_cmp_ge_u32 s4, s30
	s_cselect_b32 s36, s3, s2
.LBB27_43:
	s_load_dwordx4 s[4:7], s[0:1], 0x8
	s_lshl_b64 s[0:1], s[24:25], 3
	s_add_u32 s10, s16, s0
	s_addc_u32 s11, s17, s1
	s_load_dwordx2 s[8:9], s[10:11], 0x0
	v_subrev_co_u32_e32 v4, vcc, s34, v0
	v_mov_b32_e32 v1, 0
	s_nop 0
	v_subb_co_u32_e64 v5, s[0:1], 0, 0, vcc
	s_waitcnt lgkmcnt(0)
	v_lshl_add_u64 v[10:11], s[8:9], 0, v[4:5]
	s_mov_b64 s[0:1], 0x300
	v_lshl_add_u64 v[8:9], v[10:11], 0, s[0:1]
	v_cmp_le_i64_e32 vcc, s[4:5], v[8:9]
	s_and_saveexec_b64 s[0:1], vcc
	s_xor_b64 s[38:39], exec, s[0:1]
	s_cbranch_execnz .LBB27_46
; %bb.44:
	s_andn2_saveexec_b64 s[2:3], s[38:39]
	s_cbranch_execnz .LBB27_57
.LBB27_45:
	s_or_b64 exec, exec, s[2:3]
	v_cmp_gt_i64_e64 s[0:1], s[6:7], v[0:1]
	s_and_saveexec_b64 s[2:3], s[0:1]
	s_cbranch_execnz .LBB27_58
	s_branch .LBB27_65
.LBB27_46:
	s_lshl_b64 s[0:1], s[26:27], 3
	s_add_u32 s0, s16, s0
	s_addc_u32 s1, s17, s1
	s_load_dwordx2 s[2:3], s[0:1], 0x0
	s_waitcnt lgkmcnt(0)
	s_sub_u32 s40, s2, s8
	s_subb_u32 s41, s3, s9
	v_cmp_gt_i64_e64 s[0:1], s[40:41], v[0:1]
	s_and_saveexec_b64 s[42:43], s[0:1]
	s_cbranch_execz .LBB27_56
; %bb.47:
	s_not_b64 s[0:1], s[8:9]
	s_add_u32 s0, s2, s0
	s_addc_u32 s1, s3, s1
	v_mov_b32_e32 v5, s1
	v_sub_co_u32_e64 v4, s[0:1], s0, v0
	v_mov_b64_e32 v[12:13], 0
	s_nop 0
	v_subbrev_co_u32_e64 v5, s[0:1], 0, v5, s[0:1]
	s_mov_b64 s[0:1], 0xf00
	s_nop 0
	v_cmp_gt_u64_e64 s[44:45], s[0:1], v[4:5]
	s_mov_b64 s[0:1], 0xeff
	v_cmp_lt_u64_e64 s[0:1], s[0:1], v[4:5]
	s_and_saveexec_b64 s[46:47], s[0:1]
	s_cbranch_execz .LBB27_53
; %bb.48:
	s_mov_b32 s4, 0
	v_alignbit_b32 v6, v5, v4, 8
	s_mov_b32 s0, 0x200000
	s_movk_i32 s5, 0x100
	v_cmp_gt_u32_e64 s[0:1], s0, v6
	v_lshl_or_b32 v6, v6, 11, v22
	v_cmp_gt_u64_e64 s[4:5], s[4:5], v[4:5]
	v_cmp_ge_u32_e64 s[2:3], v6, v22
	s_and_b64 s[0:1], s[0:1], s[4:5]
	s_and_b64 s[4:5], s[0:1], s[2:3]
	s_mov_b64 s[0:1], -1
	v_mov_b64_e32 v[12:13], 0
	s_and_saveexec_b64 s[2:3], s[4:5]
	s_cbranch_execz .LBB27_52
; %bb.49:
	v_lshrrev_b64 v[4:5], 8, v[4:5]
	v_lshl_add_u64 v[4:5], v[4:5], 0, 1
	v_and_b32_e32 v6, -2, v4
	v_mov_b32_e32 v7, v5
	v_xor_b32_e32 v12, 0x80000000, v3
	v_lshl_add_u64 v[18:19], v[10:11], 3, s[20:21]
	s_mov_b64 s[0:1], 0x804
	v_mov_b32_e32 v13, v12
	v_mov_b32_e32 v14, v2
	;; [unrolled: 1-line block ×5, first 2 shown]
	v_lshl_add_u64 v[18:19], v[18:19], 0, s[0:1]
	s_mov_b64 s[48:49], 0x100
	s_mov_b64 s[4:5], 0
	;; [unrolled: 1-line block ×3, first 2 shown]
	v_mov_b64_e32 v[20:21], v[6:7]
	s_mov_b64 s[52:53], 0
.LBB27_50:                              ; =>This Inner Loop Header: Depth=1
	global_load_dwordx2 v[24:25], v[18:19], off offset:-2052
	global_load_dwordx2 v[26:27], v[18:19], off offset:-4
	v_lshl_add_u32 v23, s52, 3, v22
	s_add_u32 s52, s52, 0x200
	s_addc_u32 s53, s53, 0
	v_lshl_add_u32 v32, s48, 3, v22
	v_lshl_add_u64 v[20:21], v[20:21], 0, -2
	s_add_u32 s48, s48, 0x200
	v_cmp_eq_u64_e64 s[0:1], 0, v[20:21]
	s_addc_u32 s49, s49, 0
	v_lshl_add_u64 v[18:19], v[18:19], 0, s[50:51]
	s_or_b64 s[4:5], s[0:1], s[4:5]
	s_waitcnt vmcnt(1)
	v_mov_b32_e32 v28, v24
	s_waitcnt vmcnt(0)
	v_mov_b32_e32 v29, v26
	v_mov_b32_e32 v26, v25
	v_pk_add_f32 v[30:31], v[26:27], 0 neg_lo:[1,1] neg_hi:[1,1]
	s_nop 0
	v_cndmask_b32_e64 v27, v27, v31, s[14:15]
	v_cndmask_b32_e64 v26, v25, v30, s[14:15]
	v_pk_mul_f32 v[24:25], v[26:27], v[12:13]
	v_pk_mul_f32 v[26:27], v[14:15], v[26:27]
	v_pk_fma_f32 v[24:25], v[14:15], v[28:29], v[24:25]
	v_pk_fma_f32 v[26:27], v[16:17], v[28:29], v[26:27]
	v_mov_b32_e32 v28, v24
	v_mov_b32_e32 v29, v26
	;; [unrolled: 1-line block ×3, first 2 shown]
	ds_write_b64 v23, v[28:29]
	ds_write_b64 v32, v[26:27]
	s_andn2_b64 exec, exec, s[4:5]
	s_cbranch_execnz .LBB27_50
; %bb.51:
	s_or_b64 exec, exec, s[4:5]
	v_cmp_ne_u64_e64 s[0:1], v[4:5], v[6:7]
	v_lshlrev_b64 v[12:13], 8, v[6:7]
	s_orn2_b64 s[0:1], s[0:1], exec
.LBB27_52:
	s_or_b64 exec, exec, s[2:3]
	s_andn2_b64 s[2:3], s[44:45], exec
	s_and_b64 s[0:1], s[0:1], exec
	s_or_b64 s[44:45], s[2:3], s[0:1]
.LBB27_53:
	s_or_b64 exec, exec, s[46:47]
	s_and_b64 exec, exec, s[44:45]
	s_cbranch_execz .LBB27_56
; %bb.54:
	v_lshlrev_b64 v[6:7], 3, v[10:11]
	v_lshl_add_u64 v[6:7], v[12:13], 3, v[6:7]
	v_lshl_add_u64 v[6:7], s[20:21], 0, v[6:7]
	;; [unrolled: 1-line block ×3, first 2 shown]
	v_lshlrev_b32_e32 v12, 3, v12
	v_xor_b32_e32 v4, 0x80000000, v3
	v_mov_b32_e32 v5, v2
	v_lshl_add_u64 v[6:7], v[6:7], 0, 4
	v_lshl_add_u32 v12, v0, 3, v12
	s_mov_b64 s[2:3], 0
	s_mov_b64 s[4:5], 0x800
	;; [unrolled: 1-line block ×3, first 2 shown]
.LBB27_55:                              ; =>This Inner Loop Header: Depth=1
	global_load_dwordx2 v[16:17], v[6:7], off offset:-4
	v_lshl_add_u64 v[14:15], v[14:15], 0, s[44:45]
	v_cmp_le_i64_e64 s[0:1], s[40:41], v[14:15]
	v_lshl_add_u64 v[6:7], v[6:7], 0, s[4:5]
	s_or_b64 s[2:3], s[0:1], s[2:3]
	s_waitcnt vmcnt(0)
	v_cndmask_b32_e64 v18, v17, -v17, s[14:15]
	v_pk_mul_f32 v[18:19], v[18:19], v[4:5] op_sel_hi:[0,1]
	v_pk_fma_f32 v[16:17], v[2:3], v[16:17], v[18:19] op_sel_hi:[1,0,1]
	ds_write_b64 v12, v[16:17]
	v_add_u32_e32 v12, 0x800, v12
	s_andn2_b64 exec, exec, s[2:3]
	s_cbranch_execnz .LBB27_55
.LBB27_56:
	s_or_b64 exec, exec, s[42:43]
                                        ; implicit-def: $vgpr2_vgpr3
	s_andn2_saveexec_b64 s[2:3], s[38:39]
	s_cbranch_execz .LBB27_45
.LBB27_57:
	v_lshl_add_u64 v[4:5], v[10:11], 3, s[20:21]
	s_movk_i32 s0, 0x1000
	global_load_dwordx2 v[6:7], v[4:5], off
	global_load_dwordx2 v[12:13], v[4:5], off offset:2048
	v_add_co_u32_e64 v4, s[0:1], s0, v4
	s_waitcnt vmcnt(1)
	v_cndmask_b32_e64 v18, v7, -v7, s[14:15]
	v_addc_co_u32_e64 v5, s[0:1], 0, v5, s[0:1]
	global_load_dwordx2 v[14:15], v[4:5], off
	global_load_dwordx2 v[16:17], v[4:5], off offset:2048
	v_xor_b32_e32 v4, 0x80000000, v3
	v_mov_b32_e32 v5, v2
	s_waitcnt vmcnt(2)
	v_cndmask_b32_e64 v20, v13, -v13, s[14:15]
	v_pk_mul_f32 v[18:19], v[18:19], v[4:5] op_sel_hi:[0,1]
	v_pk_mul_f32 v[20:21], v[20:21], v[4:5] op_sel_hi:[0,1]
	v_pk_fma_f32 v[6:7], v[2:3], v[6:7], v[18:19] op_sel_hi:[1,0,1]
	v_pk_fma_f32 v[12:13], v[2:3], v[12:13], v[20:21] op_sel_hi:[1,0,1]
	ds_write2st64_b64 v22, v[6:7], v[12:13] offset1:4
	s_waitcnt vmcnt(1)
	v_cndmask_b32_e64 v24, v15, -v15, s[14:15]
	s_waitcnt vmcnt(0)
	v_cndmask_b32_e64 v26, v17, -v17, s[14:15]
	v_pk_mul_f32 v[18:19], v[24:25], v[4:5] op_sel_hi:[0,1]
	v_pk_mul_f32 v[4:5], v[26:27], v[4:5] op_sel_hi:[0,1]
	v_pk_fma_f32 v[6:7], v[2:3], v[14:15], v[18:19] op_sel_hi:[1,0,1]
	v_pk_fma_f32 v[2:3], v[2:3], v[16:17], v[4:5] op_sel_hi:[1,0,1]
	ds_write2st64_b64 v22, v[6:7], v[2:3] offset0:8 offset1:12
	s_or_b64 exec, exec, s[2:3]
	v_cmp_gt_i64_e64 s[0:1], s[6:7], v[0:1]
	s_and_saveexec_b64 s[2:3], s[0:1]
	s_cbranch_execz .LBB27_65
.LBB27_58:
	v_mov_b32_e32 v3, -1
	v_not_b32_e32 v2, v0
	v_lshl_add_u64 v[4:5], s[6:7], 0, v[2:3]
	s_mov_b64 s[0:1], 0xff
	v_cmp_lt_u64_e64 s[0:1], s[0:1], v[4:5]
	s_mov_b64 s[14:15], -1
	v_mov_b64_e32 v[2:3], v[0:1]
	s_and_saveexec_b64 s[4:5], s[0:1]
	s_cbranch_execz .LBB27_62
; %bb.59:
	v_lshrrev_b64 v[2:3], 8, v[4:5]
	v_lshl_add_u64 v[12:13], v[2:3], 0, 1
	v_mov_b32_e32 v3, 0
	v_or_b32_e32 v4, 0x100, v0
	v_mov_b32_e32 v5, v3
	v_and_b32_e32 v14, -2, v12
	v_mov_b32_e32 v15, v13
	v_mov_b32_e32 v2, v0
	v_mov_b64_e32 v[6:7], v[4:5]
	s_mov_b64 s[14:15], 0
	v_mov_b32_e32 v18, 0x2000
	s_mov_b64 s[20:21], 0x200
	v_mov_b64_e32 v[16:17], v[14:15]
	v_mov_b64_e32 v[4:5], v[2:3]
.LBB27_60:                              ; =>This Inner Loop Header: Depth=1
	v_lshl_add_u64 v[16:17], v[16:17], 0, -2
	v_cmp_eq_u64_e64 s[0:1], 0, v[16:17]
	v_lshl_add_u32 v2, v4, 3, v18
	v_lshl_add_u32 v19, v6, 3, v18
	v_lshl_add_u64 v[6:7], v[6:7], 0, s[20:21]
	v_lshl_add_u64 v[4:5], v[4:5], 0, s[20:21]
	s_or_b64 s[14:15], s[0:1], s[14:15]
	ds_write2_b32 v2, v3, v3 offset1:1
	ds_write2_b32 v19, v3, v3 offset1:1
	s_andn2_b64 exec, exec, s[14:15]
	s_cbranch_execnz .LBB27_60
; %bb.61:
	s_or_b64 exec, exec, s[14:15]
	v_lshlrev_b64 v[2:3], 8, v[14:15]
	v_cmp_ne_u64_e64 s[0:1], v[12:13], v[14:15]
	v_or_b32_e32 v2, v2, v0
	s_orn2_b64 s[14:15], s[0:1], exec
.LBB27_62:
	s_or_b64 exec, exec, s[4:5]
	s_and_b64 exec, exec, s[14:15]
	s_cbranch_execz .LBB27_65
; %bb.63:
	v_mov_b32_e32 v4, 0x2000
	v_lshl_add_u32 v4, v2, 3, v4
	s_mov_b64 s[4:5], 0
	v_mov_b32_e32 v5, 0
	s_mov_b64 s[14:15], 0x100
.LBB27_64:                              ; =>This Inner Loop Header: Depth=1
	v_lshl_add_u64 v[2:3], v[2:3], 0, s[14:15]
	v_cmp_le_i64_e64 s[0:1], s[6:7], v[2:3]
	ds_write2_b32 v4, v5, v5 offset1:1
	s_or_b64 s[4:5], s[0:1], s[4:5]
	v_add_u32_e32 v4, 0x800, v4
	s_andn2_b64 exec, exec, s[4:5]
	s_cbranch_execnz .LBB27_64
.LBB27_65:
	s_or_b64 exec, exec, s[2:3]
	s_sub_u32 s2, s26, s6
	v_mov_b64_e32 v[2:3], s[6:7]
	s_subb_u32 s3, s27, s7
	v_cmp_ge_i64_e64 s[0:1], s[26:27], v[2:3]
	s_and_b64 s[0:1], s[0:1], exec
	s_cselect_b32 s5, s3, 0
	s_cselect_b32 s4, s2, 0
	s_waitcnt lgkmcnt(0)
	s_barrier
	s_and_saveexec_b64 s[0:1], vcc
	s_xor_b64 s[14:15], exec, s[0:1]
	s_cbranch_execz .LBB27_82
; %bb.66:
	s_lshl_b64 s[0:1], s[26:27], 3
	s_add_u32 s0, s16, s0
	s_addc_u32 s1, s17, s1
	s_load_dwordx2 s[0:1], s[0:1], 0x0
	s_waitcnt lgkmcnt(0)
	s_sub_u32 s20, s0, s8
	s_subb_u32 s21, s1, s9
	v_cmp_gt_i64_e32 vcc, s[20:21], v[0:1]
	s_and_saveexec_b64 s[38:39], vcc
	s_cbranch_execz .LBB27_81
; %bb.67:
	s_add_u32 s40, s26, -1
	s_addc_u32 s41, s27, -1
	s_add_u32 s2, s26, -2
	s_addc_u32 s3, s27, -1
	s_cmp_lg_u64 s[24:25], s[2:3]
	s_cselect_b64 s[2:3], -1, 0
	s_sub_u32 s42, s0, s34
	v_cndmask_b32_e64 v2, 0, 1, s[2:3]
	s_subb_u32 s43, s1, 0
	s_mov_b64 s[44:45], 0
	v_cmp_ne_u32_e64 s[0:1], 1, v2
	v_mov_b32_e32 v3, 0
	v_mov_b32_e32 v16, 0x2000
	s_mov_b64 s[46:47], 0
	s_branch .LBB27_70
.LBB27_68:                              ;   in Loop: Header=BB27_70 Depth=1
	s_or_b64 exec, exec, s[2:3]
.LBB27_69:                              ;   in Loop: Header=BB27_70 Depth=1
	s_or_b64 exec, exec, s[48:49]
	v_lshl_add_u64 v[6:7], v[6:7], 3, s[22:23]
	global_load_dwordx2 v[6:7], v[6:7], off
	s_add_u32 s46, s46, 0x100
	s_addc_u32 s47, s47, 0
	v_lshlrev_b32_e32 v2, 3, v4
	s_waitcnt lgkmcnt(0)
	v_xor_b32_e32 v4, 0x80000000, v9
	v_mov_b32_e32 v5, v8
	v_lshl_add_u64 v[12:13], s[46:47], 0, v[0:1]
	v_cmp_le_i64_e32 vcc, s[20:21], v[12:13]
	s_or_b64 s[44:45], vcc, s[44:45]
	s_waitcnt vmcnt(0)
	v_pk_mul_f32 v[4:5], v[6:7], v[4:5] op_sel:[1,0]
	s_nop 0
	v_pk_fma_f32 v[4:5], v[8:9], v[6:7], v[4:5] op_sel_hi:[1,0,1]
	ds_write_b64 v2, v[4:5]
	s_andn2_b64 exec, exec, s[44:45]
	s_cbranch_execz .LBB27_81
.LBB27_70:                              ; =>This Loop Header: Depth=1
                                        ;     Child Loop BB27_72 Depth 2
	v_lshl_add_u64 v[8:9], s[46:47], 0, v[10:11]
	s_and_b64 vcc, exec, s[0:1]
	v_mov_b64_e32 v[12:13], s[24:25]
	v_mov_b64_e32 v[14:15], s[40:41]
	s_cbranch_vccnz .LBB27_74
; %bb.71:                               ;   in Loop: Header=BB27_70 Depth=1
	s_mov_b64 s[48:49], 0
	v_mov_b64_e32 v[12:13], s[24:25]
	v_mov_b64_e32 v[14:15], s[40:41]
.LBB27_72:                              ;   Parent Loop BB27_70 Depth=1
                                        ; =>  This Inner Loop Header: Depth=2
	v_lshl_add_u64 v[4:5], v[14:15], 0, v[12:13]
	v_lshrrev_b32_e32 v2, 31, v5
	v_lshl_add_u64 v[4:5], v[4:5], 0, v[2:3]
	v_ashrrev_i64 v[4:5], 1, v[4:5]
	v_lshl_add_u64 v[6:7], v[4:5], 3, s[16:17]
	global_load_dwordx2 v[6:7], v[6:7], off
	s_waitcnt vmcnt(0)
	v_subrev_co_u32_e32 v6, vcc, s34, v6
	s_nop 1
	v_subbrev_co_u32_e32 v7, vcc, 0, v7, vcc
	v_cmp_lt_i64_e32 vcc, v[8:9], v[6:7]
	s_nop 1
	v_cndmask_b32_e32 v15, v15, v5, vcc
	v_cndmask_b32_e32 v14, v14, v4, vcc
	;; [unrolled: 1-line block ×4, first 2 shown]
	v_lshl_add_u64 v[4:5], v[14:15], 0, -1
	v_cmp_ge_i64_e32 vcc, v[12:13], v[14:15]
	v_cmp_eq_u64_e64 s[2:3], v[12:13], v[4:5]
	s_or_b64 s[2:3], vcc, s[2:3]
	s_and_b64 s[2:3], exec, s[2:3]
	s_or_b64 s[48:49], s[2:3], s[48:49]
	s_andn2_b64 exec, exec, s[48:49]
	s_cbranch_execnz .LBB27_72
; %bb.73:                               ;   in Loop: Header=BB27_70 Depth=1
	s_or_b64 exec, exec, s[48:49]
.LBB27_74:                              ;   in Loop: Header=BB27_70 Depth=1
	v_lshl_add_u64 v[4:5], v[14:15], 3, s[16:17]
	global_load_dwordx2 v[6:7], v[4:5], off
	v_lshl_add_u64 v[4:5], v[8:9], 2, s[18:19]
	global_load_dword v2, v[4:5], off
	v_lshl_add_u64 v[4:5], s[46:47], 0, v[0:1]
	v_cmp_le_i64_e32 vcc, s[42:43], v[8:9]
	s_waitcnt vmcnt(1)
	v_subrev_co_u32_e64 v18, s[2:3], s34, v6
	s_nop 1
	v_subbrev_co_u32_e64 v19, s[2:3], 0, v7, s[2:3]
	s_waitcnt vmcnt(0)
	v_subrev_u32_e32 v6, s34, v2
	v_cmp_lt_i64_e64 s[2:3], v[8:9], v[18:19]
	v_ashrrev_i32_e32 v7, 31, v6
	v_lshlrev_b32_e32 v2, 3, v4
	v_cndmask_b32_e64 v13, v15, v13, s[2:3]
	v_cndmask_b32_e64 v12, v14, v12, s[2:3]
	v_cmp_eq_u64_e64 s[2:3], v[12:13], v[6:7]
	s_or_b64 s[2:3], s[2:3], vcc
                                        ; implicit-def: $vgpr8_vgpr9
	s_and_saveexec_b64 s[48:49], s[2:3]
	s_xor_b64 s[2:3], exec, s[48:49]
; %bb.75:                               ;   in Loop: Header=BB27_70 Depth=1
	ds_read_b64 v[8:9], v2
                                        ; implicit-def: $vgpr2
                                        ; implicit-def: $vgpr12_vgpr13
; %bb.76:                               ;   in Loop: Header=BB27_70 Depth=1
	s_andn2_saveexec_b64 s[48:49], s[2:3]
	s_cbranch_execz .LBB27_69
; %bb.77:                               ;   in Loop: Header=BB27_70 Depth=1
	v_cmp_gt_i64_e32 vcc, s[4:5], v[6:7]
	v_cmp_le_i64_e64 s[2:3], s[26:27], v[6:7]
	s_or_b64 s[2:3], vcc, s[2:3]
	v_lshl_add_u64 v[12:13], v[12:13], 3, s[22:23]
                                        ; implicit-def: $vgpr8_vgpr9
	s_and_saveexec_b64 s[50:51], s[2:3]
	s_xor_b64 s[2:3], exec, s[50:51]
	s_cbranch_execz .LBB27_79
; %bb.78:                               ;   in Loop: Header=BB27_70 Depth=1
	global_load_dwordx2 v[12:13], v[12:13], off
	s_waitcnt lgkmcnt(0)
	ds_read_b64 v[8:9], v2
	v_lshl_add_u64 v[14:15], v[6:7], 3, s[28:29]
	s_waitcnt vmcnt(0) lgkmcnt(0)
	v_mul_f32_e64 v2, v13, -v9
	v_mul_f32_e32 v5, v13, v8
	v_fmac_f32_e32 v2, v8, v12
	v_fmac_f32_e32 v5, v9, v12
	global_atomic_add_f32 v[14:15], v2, off
	global_atomic_add_f32 v[14:15], v5, off offset:4
                                        ; implicit-def: $vgpr2
                                        ; implicit-def: $vgpr12_vgpr13
.LBB27_79:                              ;   in Loop: Header=BB27_70 Depth=1
	s_andn2_saveexec_b64 s[2:3], s[2:3]
	s_cbranch_execz .LBB27_68
; %bb.80:                               ;   in Loop: Header=BB27_70 Depth=1
	global_load_dwordx2 v[12:13], v[12:13], off
	s_waitcnt lgkmcnt(0)
	ds_read_b64 v[8:9], v2
	v_subrev_u32_e32 v2, s4, v6
	v_lshl_add_u32 v2, v2, 3, v16
	s_waitcnt vmcnt(0) lgkmcnt(0)
	v_mul_f32_e64 v5, v13, -v9
	v_mul_f32_e32 v13, v13, v8
	v_fmac_f32_e32 v5, v8, v12
	v_fmac_f32_e32 v13, v9, v12
	ds_add_f32 v2, v5
	ds_add_f32 v2, v13 offset:4
	s_branch .LBB27_68
.LBB27_81:
	s_or_b64 exec, exec, s[38:39]
                                        ; implicit-def: $vgpr8_vgpr9
                                        ; implicit-def: $vgpr10_vgpr11
.LBB27_82:
	s_andn2_saveexec_b64 s[14:15], s[14:15]
	s_cbranch_execz .LBB27_124
; %bb.83:
	s_add_u32 s20, s26, -1
	s_addc_u32 s21, s27, -1
	s_add_u32 s0, s26, -2
	s_addc_u32 s1, s27, -1
	s_cmp_lg_u64 s[24:25], s[0:1]
	s_cselect_b64 s[2:3], -1, 0
	s_cmp_eq_u64 s[24:25], s[0:1]
	v_mov_b64_e32 v[4:5], s[24:25]
	v_mov_b64_e32 v[6:7], s[20:21]
	s_cbranch_scc1 .LBB27_87
; %bb.84:
	s_mov_b64 s[38:39], 0
	v_mov_b64_e32 v[4:5], s[24:25]
	v_mov_b64_e32 v[6:7], s[20:21]
	v_mov_b32_e32 v3, 0
.LBB27_85:                              ; =>This Inner Loop Header: Depth=1
	v_lshl_add_u64 v[12:13], v[6:7], 0, v[4:5]
	v_lshrrev_b32_e32 v2, 31, v13
	v_lshl_add_u64 v[12:13], v[12:13], 0, v[2:3]
	v_ashrrev_i64 v[12:13], 1, v[12:13]
	v_lshl_add_u64 v[14:15], v[12:13], 3, s[16:17]
	global_load_dwordx2 v[14:15], v[14:15], off
	s_waitcnt vmcnt(0)
	v_subrev_co_u32_e32 v14, vcc, s34, v14
	s_nop 1
	v_subbrev_co_u32_e32 v15, vcc, 0, v15, vcc
	v_cmp_lt_i64_e32 vcc, v[10:11], v[14:15]
	s_nop 1
	v_cndmask_b32_e32 v7, v7, v13, vcc
	v_cndmask_b32_e32 v6, v6, v12, vcc
	;; [unrolled: 1-line block ×4, first 2 shown]
	v_lshl_add_u64 v[12:13], v[6:7], 0, -1
	v_cmp_ge_i64_e32 vcc, v[4:5], v[6:7]
	v_cmp_eq_u64_e64 s[0:1], v[4:5], v[12:13]
	s_or_b64 s[0:1], vcc, s[0:1]
	s_and_b64 s[0:1], exec, s[0:1]
	s_or_b64 s[38:39], s[0:1], s[38:39]
	s_andn2_b64 exec, exec, s[38:39]
	s_cbranch_execnz .LBB27_85
; %bb.86:
	s_or_b64 exec, exec, s[38:39]
.LBB27_87:
	v_lshl_add_u64 v[2:3], v[6:7], 3, s[16:17]
	global_load_dwordx2 v[12:13], v[2:3], off
	v_lshl_add_u64 v[2:3], v[10:11], 2, s[18:19]
	global_load_dword v16, v[2:3], off
	s_lshl_b64 s[0:1], s[26:27], 3
	s_add_u32 s18, s16, s0
	s_addc_u32 s19, s17, s1
	s_waitcnt vmcnt(1)
	v_subrev_co_u32_e32 v14, vcc, s34, v12
	s_nop 1
	v_subbrev_co_u32_e32 v15, vcc, 0, v13, vcc
	s_waitcnt vmcnt(0)
	v_subrev_u32_e32 v12, s34, v16
	v_cmp_lt_i64_e32 vcc, v[10:11], v[14:15]
	v_ashrrev_i32_e32 v13, 31, v12
	s_nop 0
	v_cndmask_b32_e32 v5, v7, v5, vcc
	v_cndmask_b32_e32 v4, v6, v4, vcc
	v_cmp_ne_u64_e32 vcc, v[4:5], v[12:13]
	s_and_saveexec_b64 s[38:39], vcc
	s_cbranch_execz .LBB27_93
; %bb.88:
	s_load_dwordx2 s[0:1], s[18:19], 0x0
	s_waitcnt lgkmcnt(0)
	s_sub_u32 s0, s0, s34
	s_subb_u32 s1, s1, 0
	v_cmp_gt_i64_e32 vcc, s[0:1], v[10:11]
	s_and_b64 exec, exec, vcc
	s_cbranch_execz .LBB27_93
; %bb.89:
	v_cmp_gt_i64_e32 vcc, s[4:5], v[12:13]
	v_cmp_le_i64_e64 s[0:1], s[26:27], v[12:13]
	s_or_b64 s[0:1], vcc, s[0:1]
	v_lshl_add_u64 v[4:5], v[4:5], 3, s[22:23]
	s_and_saveexec_b64 s[40:41], s[0:1]
	s_xor_b64 s[0:1], exec, s[40:41]
	s_cbranch_execz .LBB27_91
; %bb.90:
	global_load_dwordx2 v[4:5], v[4:5], off
	ds_read_b64 v[6:7], v22
	v_lshl_add_u64 v[14:15], v[12:13], 3, s[28:29]
	s_waitcnt vmcnt(0) lgkmcnt(0)
	v_mul_f32_e64 v16, v5, -v7
	v_mul_f32_e32 v5, v5, v6
	v_fmac_f32_e32 v16, v6, v4
	v_fmac_f32_e32 v5, v7, v4
	global_atomic_add_f32 v[14:15], v16, off
	global_atomic_add_f32 v[14:15], v5, off offset:4
                                        ; implicit-def: $vgpr4_vgpr5
.LBB27_91:
	s_andn2_saveexec_b64 s[0:1], s[0:1]
	s_cbranch_execz .LBB27_93
; %bb.92:
	global_load_dwordx2 v[4:5], v[4:5], off
	ds_read_b64 v[6:7], v22
	v_subrev_u32_e32 v14, s4, v12
	v_mov_b32_e32 v15, 0x2000
	v_lshl_add_u32 v14, v14, 3, v15
	s_waitcnt vmcnt(0) lgkmcnt(0)
	v_mul_f32_e64 v15, v5, -v7
	v_mul_f32_e32 v5, v5, v6
	v_fmac_f32_e32 v15, v6, v4
	v_fmac_f32_e32 v5, v7, v4
	ds_add_f32 v14, v15
	ds_add_f32 v14, v5 offset:4
.LBB27_93:
	s_or_b64 exec, exec, s[38:39]
	v_lshl_add_u64 v[4:5], v[12:13], 3, s[22:23]
	global_load_dwordx2 v[12:13], v[4:5], off
	ds_read_b64 v[14:15], v22
	s_mov_b64 s[0:1], 0x100
	v_cndmask_b32_e64 v16, 0, 1, s[2:3]
	v_lshl_add_u64 v[4:5], v[10:11], 0, s[0:1]
	v_cmp_ne_u32_e64 s[0:1], 1, v16
	s_waitcnt lgkmcnt(0)
	v_xor_b32_e32 v16, 0x80000000, v15
	v_mov_b32_e32 v17, v14
	v_mov_b64_e32 v[6:7], s[24:25]
	s_andn2_b64 vcc, exec, s[2:3]
	s_waitcnt vmcnt(0)
	v_pk_mul_f32 v[16:17], v[12:13], v[16:17] op_sel:[1,0]
	s_nop 0
	v_pk_fma_f32 v[12:13], v[14:15], v[12:13], v[16:17] op_sel_hi:[1,0,1]
	v_mov_b64_e32 v[14:15], s[20:21]
	ds_write_b64 v22, v[12:13]
	s_cbranch_vccnz .LBB27_97
; %bb.94:
	s_mov_b64 s[38:39], 0
	v_mov_b64_e32 v[6:7], s[24:25]
	v_mov_b64_e32 v[14:15], s[20:21]
	v_mov_b32_e32 v13, 0
.LBB27_95:                              ; =>This Inner Loop Header: Depth=1
	v_lshl_add_u64 v[16:17], v[14:15], 0, v[6:7]
	v_lshrrev_b32_e32 v12, 31, v17
	v_lshl_add_u64 v[16:17], v[16:17], 0, v[12:13]
	v_ashrrev_i64 v[16:17], 1, v[16:17]
	v_lshl_add_u64 v[18:19], v[16:17], 3, s[16:17]
	global_load_dwordx2 v[18:19], v[18:19], off
	s_waitcnt vmcnt(0)
	v_subrev_co_u32_e32 v18, vcc, s34, v18
	s_nop 1
	v_subbrev_co_u32_e32 v19, vcc, 0, v19, vcc
	v_cmp_lt_i64_e32 vcc, v[4:5], v[18:19]
	s_nop 1
	v_cndmask_b32_e32 v15, v15, v17, vcc
	v_cndmask_b32_e32 v14, v14, v16, vcc
	;; [unrolled: 1-line block ×4, first 2 shown]
	v_lshl_add_u64 v[16:17], v[14:15], 0, -1
	v_cmp_ge_i64_e32 vcc, v[6:7], v[14:15]
	v_cmp_eq_u64_e64 s[2:3], v[6:7], v[16:17]
	s_or_b64 s[2:3], vcc, s[2:3]
	s_and_b64 s[2:3], exec, s[2:3]
	s_or_b64 s[38:39], s[2:3], s[38:39]
	s_andn2_b64 exec, exec, s[38:39]
	s_cbranch_execnz .LBB27_95
; %bb.96:
	s_or_b64 exec, exec, s[38:39]
.LBB27_97:
	v_lshl_add_u64 v[12:13], v[14:15], 3, s[16:17]
	global_load_dwordx2 v[16:17], v[12:13], off
	global_load_dword v18, v[2:3], off offset:1024
	s_waitcnt vmcnt(1)
	v_subrev_co_u32_e32 v16, vcc, s34, v16
	s_nop 1
	v_subbrev_co_u32_e32 v17, vcc, 0, v17, vcc
	s_waitcnt vmcnt(0)
	v_subrev_u32_e32 v12, s34, v18
	v_cmp_lt_i64_e32 vcc, v[4:5], v[16:17]
	v_ashrrev_i32_e32 v13, 31, v12
	s_nop 0
	v_cndmask_b32_e32 v7, v15, v7, vcc
	v_cndmask_b32_e32 v6, v14, v6, vcc
	v_cmp_ne_u64_e32 vcc, v[6:7], v[12:13]
	s_and_saveexec_b64 s[38:39], vcc
	s_cbranch_execz .LBB27_103
; %bb.98:
	s_load_dwordx2 s[2:3], s[18:19], 0x0
	s_waitcnt lgkmcnt(0)
	s_sub_u32 s2, s2, s34
	s_subb_u32 s3, s3, 0
	v_cmp_gt_i64_e32 vcc, s[2:3], v[4:5]
	s_and_b64 exec, exec, vcc
	s_cbranch_execz .LBB27_103
; %bb.99:
	v_cmp_gt_i64_e32 vcc, s[4:5], v[12:13]
	v_cmp_le_i64_e64 s[2:3], s[26:27], v[12:13]
	s_or_b64 s[2:3], vcc, s[2:3]
	v_lshl_add_u64 v[4:5], v[6:7], 3, s[22:23]
	s_and_saveexec_b64 s[40:41], s[2:3]
	s_xor_b64 s[2:3], exec, s[40:41]
	s_cbranch_execz .LBB27_101
; %bb.100:
	global_load_dwordx2 v[4:5], v[4:5], off
	ds_read_b64 v[6:7], v22 offset:2048
	v_lshl_add_u64 v[14:15], v[12:13], 3, s[28:29]
	s_waitcnt vmcnt(0) lgkmcnt(0)
	v_mul_f32_e64 v16, v5, -v7
	v_mul_f32_e32 v5, v5, v6
	v_fmac_f32_e32 v16, v6, v4
	v_fmac_f32_e32 v5, v7, v4
	global_atomic_add_f32 v[14:15], v16, off
	global_atomic_add_f32 v[14:15], v5, off offset:4
                                        ; implicit-def: $vgpr4_vgpr5
.LBB27_101:
	s_andn2_saveexec_b64 s[2:3], s[2:3]
	s_cbranch_execz .LBB27_103
; %bb.102:
	global_load_dwordx2 v[4:5], v[4:5], off
	ds_read_b64 v[6:7], v22 offset:2048
	v_subrev_u32_e32 v14, s4, v12
	v_mov_b32_e32 v15, 0x2000
	v_lshl_add_u32 v14, v14, 3, v15
	s_waitcnt vmcnt(0) lgkmcnt(0)
	v_mul_f32_e64 v15, v5, -v7
	v_mul_f32_e32 v5, v5, v6
	v_fmac_f32_e32 v15, v6, v4
	v_fmac_f32_e32 v5, v7, v4
	ds_add_f32 v14, v15
	ds_add_f32 v14, v5 offset:4
.LBB27_103:
	s_or_b64 exec, exec, s[38:39]
	v_lshl_add_u64 v[4:5], v[12:13], 3, s[22:23]
	global_load_dwordx2 v[12:13], v[4:5], off
	ds_read_b64 v[14:15], v22 offset:2048
	s_mov_b64 s[2:3], 0x200
	v_lshl_add_u64 v[4:5], v[10:11], 0, s[2:3]
	s_and_b64 vcc, exec, s[0:1]
	v_mov_b64_e32 v[6:7], s[24:25]
	s_waitcnt lgkmcnt(0)
	v_xor_b32_e32 v10, 0x80000000, v15
	v_mov_b32_e32 v11, v14
	s_waitcnt vmcnt(0)
	v_pk_mul_f32 v[10:11], v[12:13], v[10:11] op_sel:[1,0]
	s_nop 0
	v_pk_fma_f32 v[10:11], v[14:15], v[12:13], v[10:11] op_sel_hi:[1,0,1]
	v_mov_b64_e32 v[12:13], s[20:21]
	ds_write_b64 v22, v[10:11] offset:2048
	s_cbranch_vccnz .LBB27_107
; %bb.104:
	s_mov_b64 s[38:39], 0
	v_mov_b64_e32 v[6:7], s[24:25]
	v_mov_b64_e32 v[12:13], s[20:21]
	v_mov_b32_e32 v11, 0
.LBB27_105:                             ; =>This Inner Loop Header: Depth=1
	v_lshl_add_u64 v[14:15], v[12:13], 0, v[6:7]
	v_lshrrev_b32_e32 v10, 31, v15
	v_lshl_add_u64 v[14:15], v[14:15], 0, v[10:11]
	v_ashrrev_i64 v[14:15], 1, v[14:15]
	v_lshl_add_u64 v[16:17], v[14:15], 3, s[16:17]
	global_load_dwordx2 v[16:17], v[16:17], off
	s_waitcnt vmcnt(0)
	v_subrev_co_u32_e32 v16, vcc, s34, v16
	s_nop 1
	v_subbrev_co_u32_e32 v17, vcc, 0, v17, vcc
	v_cmp_lt_i64_e32 vcc, v[4:5], v[16:17]
	s_nop 1
	v_cndmask_b32_e32 v13, v13, v15, vcc
	v_cndmask_b32_e32 v12, v12, v14, vcc
	;; [unrolled: 1-line block ×4, first 2 shown]
	v_lshl_add_u64 v[14:15], v[12:13], 0, -1
	v_cmp_ge_i64_e32 vcc, v[6:7], v[12:13]
	v_cmp_eq_u64_e64 s[2:3], v[6:7], v[14:15]
	s_or_b64 s[2:3], vcc, s[2:3]
	s_and_b64 s[2:3], exec, s[2:3]
	s_or_b64 s[38:39], s[2:3], s[38:39]
	s_andn2_b64 exec, exec, s[38:39]
	s_cbranch_execnz .LBB27_105
; %bb.106:
	s_or_b64 exec, exec, s[38:39]
.LBB27_107:
	v_lshl_add_u64 v[10:11], v[12:13], 3, s[16:17]
	global_load_dwordx2 v[14:15], v[10:11], off
	global_load_dword v16, v[2:3], off offset:2048
	s_waitcnt vmcnt(1)
	v_subrev_co_u32_e32 v14, vcc, s34, v14
	s_nop 1
	v_subbrev_co_u32_e32 v15, vcc, 0, v15, vcc
	s_waitcnt vmcnt(0)
	v_subrev_u32_e32 v10, s34, v16
	v_cmp_lt_i64_e32 vcc, v[4:5], v[14:15]
	v_ashrrev_i32_e32 v11, 31, v10
	s_nop 0
	v_cndmask_b32_e32 v7, v13, v7, vcc
	v_cndmask_b32_e32 v6, v12, v6, vcc
	v_cmp_ne_u64_e32 vcc, v[6:7], v[10:11]
	s_and_saveexec_b64 s[38:39], vcc
	s_cbranch_execz .LBB27_113
; %bb.108:
	s_load_dwordx2 s[2:3], s[18:19], 0x0
	s_waitcnt lgkmcnt(0)
	s_sub_u32 s2, s2, s34
	s_subb_u32 s3, s3, 0
	v_cmp_gt_i64_e32 vcc, s[2:3], v[4:5]
	s_and_b64 exec, exec, vcc
	s_cbranch_execz .LBB27_113
; %bb.109:
	v_cmp_gt_i64_e32 vcc, s[4:5], v[10:11]
	v_cmp_le_i64_e64 s[2:3], s[26:27], v[10:11]
	s_or_b64 s[2:3], vcc, s[2:3]
	v_lshl_add_u64 v[4:5], v[6:7], 3, s[22:23]
	s_and_saveexec_b64 s[40:41], s[2:3]
	s_xor_b64 s[2:3], exec, s[40:41]
	s_cbranch_execz .LBB27_111
; %bb.110:
	global_load_dwordx2 v[4:5], v[4:5], off
	ds_read_b64 v[6:7], v22 offset:4096
	v_lshl_add_u64 v[12:13], v[10:11], 3, s[28:29]
	s_waitcnt vmcnt(0) lgkmcnt(0)
	v_mul_f32_e64 v14, v5, -v7
	v_mul_f32_e32 v5, v5, v6
	v_fmac_f32_e32 v14, v6, v4
	v_fmac_f32_e32 v5, v7, v4
	global_atomic_add_f32 v[12:13], v14, off
	global_atomic_add_f32 v[12:13], v5, off offset:4
                                        ; implicit-def: $vgpr4_vgpr5
.LBB27_111:
	s_andn2_saveexec_b64 s[2:3], s[2:3]
	s_cbranch_execz .LBB27_113
; %bb.112:
	global_load_dwordx2 v[4:5], v[4:5], off
	ds_read_b64 v[6:7], v22 offset:4096
	v_subrev_u32_e32 v12, s4, v10
	v_mov_b32_e32 v13, 0x2000
	v_lshl_add_u32 v12, v12, 3, v13
	s_waitcnt vmcnt(0) lgkmcnt(0)
	v_mul_f32_e64 v13, v5, -v7
	v_mul_f32_e32 v5, v5, v6
	v_fmac_f32_e32 v13, v6, v4
	v_fmac_f32_e32 v5, v7, v4
	ds_add_f32 v12, v13
	ds_add_f32 v12, v5 offset:4
.LBB27_113:
	s_or_b64 exec, exec, s[38:39]
	v_lshl_add_u64 v[4:5], v[10:11], 3, s[22:23]
	global_load_dwordx2 v[6:7], v[4:5], off
	ds_read_b64 v[10:11], v22 offset:4096
	s_and_b64 vcc, exec, s[0:1]
	v_mov_b64_e32 v[4:5], s[24:25]
	s_waitcnt lgkmcnt(0)
	v_xor_b32_e32 v12, 0x80000000, v11
	v_mov_b32_e32 v13, v10
	s_waitcnt vmcnt(0)
	v_pk_mul_f32 v[12:13], v[6:7], v[12:13] op_sel:[1,0]
	s_nop 0
	v_pk_fma_f32 v[6:7], v[10:11], v[6:7], v[12:13] op_sel_hi:[1,0,1]
	ds_write_b64 v22, v[6:7] offset:4096
	v_mov_b64_e32 v[6:7], s[20:21]
	s_cbranch_vccnz .LBB27_117
; %bb.114:
	s_mov_b64 s[2:3], 0
	v_mov_b64_e32 v[4:5], s[24:25]
	v_mov_b64_e32 v[6:7], s[20:21]
	v_mov_b32_e32 v11, 0
.LBB27_115:                             ; =>This Inner Loop Header: Depth=1
	v_lshl_add_u64 v[12:13], v[6:7], 0, v[4:5]
	v_lshrrev_b32_e32 v10, 31, v13
	v_lshl_add_u64 v[12:13], v[12:13], 0, v[10:11]
	v_ashrrev_i64 v[12:13], 1, v[12:13]
	v_lshl_add_u64 v[14:15], v[12:13], 3, s[16:17]
	global_load_dwordx2 v[14:15], v[14:15], off
	s_waitcnt vmcnt(0)
	v_subrev_co_u32_e32 v14, vcc, s34, v14
	s_nop 1
	v_subbrev_co_u32_e32 v15, vcc, 0, v15, vcc
	v_cmp_lt_i64_e32 vcc, v[8:9], v[14:15]
	s_nop 1
	v_cndmask_b32_e32 v7, v7, v13, vcc
	v_cndmask_b32_e32 v6, v6, v12, vcc
	;; [unrolled: 1-line block ×4, first 2 shown]
	v_lshl_add_u64 v[12:13], v[6:7], 0, -1
	v_cmp_ge_i64_e32 vcc, v[4:5], v[6:7]
	v_cmp_eq_u64_e64 s[0:1], v[4:5], v[12:13]
	s_or_b64 s[0:1], vcc, s[0:1]
	s_and_b64 s[0:1], exec, s[0:1]
	s_or_b64 s[2:3], s[0:1], s[2:3]
	s_andn2_b64 exec, exec, s[2:3]
	s_cbranch_execnz .LBB27_115
; %bb.116:
	s_or_b64 exec, exec, s[2:3]
.LBB27_117:
	global_load_dword v12, v[2:3], off offset:3072
	v_lshl_add_u64 v[2:3], v[6:7], 3, s[16:17]
	global_load_dwordx2 v[10:11], v[2:3], off
	s_waitcnt vmcnt(1)
	v_subrev_u32_e32 v2, s34, v12
	v_ashrrev_i32_e32 v3, 31, v2
	s_waitcnt vmcnt(0)
	v_subrev_co_u32_e32 v10, vcc, s34, v10
	s_nop 1
	v_subbrev_co_u32_e32 v11, vcc, 0, v11, vcc
	v_cmp_lt_i64_e32 vcc, v[8:9], v[10:11]
	s_nop 1
	v_cndmask_b32_e32 v5, v7, v5, vcc
	v_cndmask_b32_e32 v4, v6, v4, vcc
	v_cmp_ne_u64_e32 vcc, v[4:5], v[2:3]
	s_and_saveexec_b64 s[2:3], vcc
	s_cbranch_execz .LBB27_123
; %bb.118:
	s_load_dwordx2 s[0:1], s[18:19], 0x0
	s_waitcnt lgkmcnt(0)
	s_sub_u32 s0, s0, s34
	s_subb_u32 s1, s1, 0
	v_cmp_gt_i64_e32 vcc, s[0:1], v[8:9]
	s_and_b64 exec, exec, vcc
	s_cbranch_execz .LBB27_123
; %bb.119:
	v_cmp_gt_i64_e32 vcc, s[4:5], v[2:3]
	v_cmp_le_i64_e64 s[0:1], s[26:27], v[2:3]
	s_or_b64 s[0:1], vcc, s[0:1]
	v_lshl_add_u64 v[4:5], v[4:5], 3, s[22:23]
	s_and_saveexec_b64 s[18:19], s[0:1]
	s_xor_b64 s[0:1], exec, s[18:19]
	s_cbranch_execz .LBB27_121
; %bb.120:
	global_load_dwordx2 v[4:5], v[4:5], off
	ds_read_b64 v[6:7], v22 offset:6144
	v_lshl_add_u64 v[8:9], v[2:3], 3, s[28:29]
	s_waitcnt vmcnt(0) lgkmcnt(0)
	v_mul_f32_e64 v10, v5, -v7
	v_mul_f32_e32 v5, v5, v6
	v_fmac_f32_e32 v10, v6, v4
	v_fmac_f32_e32 v5, v7, v4
	global_atomic_add_f32 v[8:9], v10, off
	global_atomic_add_f32 v[8:9], v5, off offset:4
                                        ; implicit-def: $vgpr4_vgpr5
.LBB27_121:
	s_andn2_saveexec_b64 s[0:1], s[0:1]
	s_cbranch_execz .LBB27_123
; %bb.122:
	global_load_dwordx2 v[4:5], v[4:5], off
	ds_read_b64 v[6:7], v22 offset:6144
	v_subrev_u32_e32 v8, s4, v2
	v_mov_b32_e32 v9, 0x2000
	v_lshl_add_u32 v8, v8, 3, v9
	s_waitcnt vmcnt(0) lgkmcnt(0)
	v_mul_f32_e64 v9, v5, -v7
	v_mul_f32_e32 v5, v5, v6
	v_fmac_f32_e32 v9, v6, v4
	v_fmac_f32_e32 v5, v7, v4
	ds_add_f32 v8, v9
	ds_add_f32 v8, v5 offset:4
.LBB27_123:
	s_or_b64 exec, exec, s[2:3]
	v_lshl_add_u64 v[2:3], v[2:3], 3, s[22:23]
	global_load_dwordx2 v[2:3], v[2:3], off
	ds_read_b64 v[4:5], v22 offset:6144
	s_waitcnt lgkmcnt(0)
	v_xor_b32_e32 v6, 0x80000000, v5
	v_mov_b32_e32 v7, v4
	s_waitcnt vmcnt(0)
	v_pk_mul_f32 v[6:7], v[2:3], v[6:7] op_sel:[1,0]
	s_nop 0
	v_pk_fma_f32 v[2:3], v[4:5], v[2:3], v[6:7] op_sel_hi:[1,0,1]
	ds_write_b64 v22, v[2:3] offset:6144
.LBB27_124:
	s_or_b64 exec, exec, s[14:15]
	v_mov_b64_e32 v[2:3], s[6:7]
	v_cmp_lt_i64_e32 vcc, s[26:27], v[2:3]
	s_and_b64 s[0:1], vcc, exec
	s_cselect_b32 s18, s26, s6
	s_cselect_b32 s0, s27, s7
	s_sub_u32 s2, s18, s30
	s_subb_u32 s3, s0, s31
	v_cmp_gt_i64_e32 vcc, s[2:3], v[0:1]
	s_waitcnt lgkmcnt(0)
	s_barrier
	s_and_saveexec_b64 s[0:1], vcc
	s_cbranch_execz .LBB27_127
; %bb.125:
	v_mov_b64_e32 v[2:3], s[6:7]
	v_cmp_gt_i64_e32 vcc, s[26:27], v[2:3]
	s_and_b64 s[4:5], vcc, exec
	s_cselect_b32 s5, s27, s7
	s_cselect_b32 s4, s26, s6
	v_lshlrev_b32_e32 v2, 3, v0
	v_mov_b32_e32 v3, 0
	v_lshl_add_u64 v[2:3], s[4:5], 3, v[2:3]
	s_lshl_b64 s[4:5], s[6:7], 3
	v_mov_b32_e32 v4, s5
	v_subrev_co_u32_e32 v2, vcc, s4, v2
	v_or_b32_e32 v2, 4, v2
	s_nop 0
	v_subb_co_u32_e32 v3, vcc, v3, v4, vcc
	v_mov_b32_e32 v4, 0x2000
	v_lshl_add_u64 v[2:3], s[28:29], 0, v[2:3]
	v_lshl_add_u32 v6, v0, 3, v4
	s_mov_b64 s[4:5], 0
	s_mov_b64 s[6:7], 0x100
	;; [unrolled: 1-line block ×3, first 2 shown]
	v_mov_b64_e32 v[4:5], v[0:1]
.LBB27_126:                             ; =>This Inner Loop Header: Depth=1
	ds_read2_b32 v[8:9], v6 offset1:1
	v_lshl_add_u64 v[4:5], v[4:5], 0, s[6:7]
	v_cmp_le_i64_e32 vcc, s[2:3], v[4:5]
	v_add_u32_e32 v6, 0x800, v6
	s_or_b64 s[4:5], vcc, s[4:5]
	s_waitcnt lgkmcnt(0)
	global_atomic_add_f32 v[2:3], v8, off offset:-4
	global_atomic_add_f32 v[2:3], v9, off
	v_lshl_add_u64 v[2:3], v[2:3], 0, s[14:15]
	s_andn2_b64 exec, exec, s[4:5]
	s_cbranch_execnz .LBB27_126
.LBB27_127:
	s_or_b64 exec, exec, s[0:1]
	s_add_i32 s0, s36, -1
	s_ashr_i32 s1, s0, 1
	s_or_b32 s0, s1, s0
	s_ashr_i32 s1, s0, 2
	s_or_b32 s0, s1, s0
	;; [unrolled: 2-line block ×5, first 2 shown]
	s_add_i32 s0, s0, 1
	s_ashr_i32 s3, s0, 1
	v_lshl_add_u64 v[6:7], s[24:25], 0, v[0:1]
	s_cmp_gt_i32 s3, 1
	s_mov_b64 s[0:1], -1
	s_barrier
	s_cbranch_scc1 .LBB27_136
; %bb.128:
	v_cmp_gt_i64_e32 vcc, s[26:27], v[6:7]
	s_and_saveexec_b64 s[0:1], vcc
	s_cbranch_execz .LBB27_135
; %bb.129:
	s_sub_i32 s4, s18, s26
	s_lshl_b32 s4, s4, 3
	s_add_i32 s18, s4, 0x2000
	s_lshl_b32 s4, s8, 3
	s_sub_i32 s19, 0, s4
	s_mov_b64 s[4:5], 0
	v_mov_b64_e32 v[8:9], v[6:7]
	s_branch .LBB27_131
.LBB27_130:                             ;   in Loop: Header=BB27_131 Depth=1
	s_or_b64 exec, exec, s[6:7]
	v_lshl_add_u32 v2, v8, 3, s18
	ds_read2_b32 v[2:3], v2 offset1:1
	s_waitcnt lgkmcnt(0)
	v_add_f32_e32 v4, v10, v2
	v_add_f32_e32 v5, v11, v3
	v_lshl_add_u64 v[2:3], v[8:9], 3, s[28:29]
	global_atomic_add_f32 v[2:3], v4, off
	global_atomic_add_f32 v[2:3], v5, off offset:4
	v_lshl_add_u64 v[8:9], v[8:9], 0, s[12:13]
	v_cmp_le_i64_e32 vcc, s[26:27], v[8:9]
	s_or_b64 s[4:5], vcc, s[4:5]
	s_andn2_b64 exec, exec, s[4:5]
	s_cbranch_execz .LBB27_135
.LBB27_131:                             ; =>This Loop Header: Depth=1
                                        ;     Child Loop BB27_133 Depth 2
	v_lshl_add_u64 v[2:3], v[8:9], 3, s[16:17]
	global_load_dwordx4 v[2:5], v[2:3], off
	v_mov_b32_e32 v11, 0
	v_mov_b32_e32 v10, v11
	s_waitcnt vmcnt(0)
	v_cmp_lt_i64_e32 vcc, v[2:3], v[4:5]
	s_and_saveexec_b64 s[6:7], vcc
	s_cbranch_execz .LBB27_130
; %bb.132:                              ;   in Loop: Header=BB27_131 Depth=1
	v_mov_b32_e32 v10, s9
	v_subrev_co_u32_e32 v4, vcc, s8, v4
	s_mov_b64 s[14:15], 0
	s_nop 0
	v_subb_co_u32_e32 v5, vcc, v5, v10, vcc
	v_subrev_co_u32_e32 v12, vcc, s8, v2
	v_lshl_add_u32 v2, v2, 3, s19
	s_nop 0
	v_subb_co_u32_e32 v13, vcc, v3, v10, vcc
	v_mov_b32_e32 v10, 0
	v_mov_b32_e32 v11, v10
.LBB27_133:                             ;   Parent Loop BB27_131 Depth=1
                                        ; =>  This Inner Loop Header: Depth=2
	ds_read_b64 v[14:15], v2
	v_lshl_add_u64 v[12:13], v[12:13], 0, 1
	v_cmp_ge_i64_e32 vcc, v[12:13], v[4:5]
	v_add_u32_e32 v2, 8, v2
	s_or_b64 s[14:15], vcc, s[14:15]
	s_waitcnt lgkmcnt(0)
	v_pk_add_f32 v[10:11], v[10:11], v[14:15]
	s_andn2_b64 exec, exec, s[14:15]
	s_cbranch_execnz .LBB27_133
; %bb.134:                              ;   in Loop: Header=BB27_131 Depth=1
	s_or_b64 exec, exec, s[14:15]
	s_branch .LBB27_130
.LBB27_135:
	s_or_b64 exec, exec, s[0:1]
	s_mov_b64 s[0:1], 0
.LBB27_136:
	s_andn2_b64 vcc, exec, s[0:1]
	s_cbranch_vccnz .LBB27_153
; %bb.137:
	v_cvt_f32_u32_e32 v2, s3
	s_sub_i32 s12, 0, s3
	v_mov_b32_e32 v5, 0
	v_mov_b32_e32 v12, s9
	v_rcp_iflag_f32_e32 v2, v2
	s_nop 0
	v_mul_f32_e32 v2, 0x4f7ffffe, v2
	v_cvt_u32_f32_e32 v2, v2
	v_mul_lo_u32 v3, s12, v2
	v_mul_hi_u32 v3, v2, v3
	v_add_u32_e32 v2, v2, v3
	v_mul_hi_u32 v2, v0, v2
	v_mul_lo_u32 v3, v2, s3
	v_sub_u32_e32 v3, v0, v3
	v_add_u32_e32 v4, 1, v2
	v_cmp_le_u32_e32 vcc, s3, v3
	s_nop 1
	v_cndmask_b32_e32 v2, v2, v4, vcc
	v_subrev_u32_e32 v4, s3, v3
	v_cndmask_b32_e32 v3, v3, v4, vcc
	v_add_u32_e32 v4, 1, v2
	v_cmp_le_u32_e32 vcc, s3, v3
	s_nop 1
	v_cndmask_b32_e32 v4, v2, v4, vcc
	v_lshl_add_u64 v[2:3], v[4:5], 3, s[10:11]
	global_load_dwordx4 v[8:11], v[2:3], off
	v_mov_b32_e32 v3, s9
	s_waitcnt vmcnt(0)
	v_subrev_co_u32_e32 v2, vcc, s8, v8
	s_nop 1
	v_subb_co_u32_e32 v3, vcc, v9, v3, vcc
	v_subrev_co_u32_e32 v14, vcc, s8, v10
	v_mov_b32_e32 v10, v5
	s_nop 0
	v_subb_co_u32_e32 v15, vcc, v11, v12, vcc
	v_sub_co_u32_e32 v8, vcc, v14, v2
	s_nop 1
	v_subb_co_u32_e32 v9, vcc, v15, v3, vcc
	v_mov_b32_e32 v11, v9
	v_cmp_ne_u64_e32 vcc, 0, v[10:11]
                                        ; implicit-def: $vgpr10_vgpr11
	s_and_saveexec_b64 s[0:1], vcc
	s_xor_b64 s[4:5], exec, s[0:1]
	s_cbranch_execz .LBB27_139
; %bb.138:
	s_add_u32 s0, s3, 0
	s_addc_u32 s1, 0, 0
	s_xor_b64 s[6:7], s[0:1], 0
	v_cvt_f32_u32_e32 v10, s6
	v_cvt_f32_u32_e32 v11, s7
	s_sub_u32 s8, 0, s6
	s_subb_u32 s9, 0, s7
	v_ashrrev_i32_e32 v12, 31, v9
	v_fmamk_f32 v10, v11, 0x4f800000, v10
	v_rcp_f32_e32 v10, v10
	v_mov_b32_e32 v13, v12
	v_lshl_add_u64 v[8:9], v[8:9], 0, v[12:13]
	v_xor_b32_e32 v18, v8, v12
	v_mul_f32_e32 v10, 0x5f7ffffc, v10
	v_mul_f32_e32 v11, 0x2f800000, v10
	v_trunc_f32_e32 v11, v11
	v_fmamk_f32 v10, v11, 0xcf800000, v10
	v_cvt_u32_f32_e32 v11, v11
	v_cvt_u32_f32_e32 v10, v10
	v_xor_b32_e32 v13, v9, v12
	v_readfirstlane_b32 s10, v11
	v_readfirstlane_b32 s0, v10
	s_mul_i32 s1, s8, s10
	s_mul_hi_u32 s13, s8, s0
	s_mul_i32 s11, s9, s0
	s_add_i32 s1, s13, s1
	s_mul_i32 s14, s8, s0
	s_add_i32 s1, s1, s11
	s_mul_i32 s13, s0, s1
	s_mul_hi_u32 s15, s0, s14
	s_mul_hi_u32 s11, s0, s1
	s_add_u32 s13, s15, s13
	s_addc_u32 s11, 0, s11
	s_mul_hi_u32 s16, s10, s14
	s_mul_i32 s14, s10, s14
	s_add_u32 s13, s13, s14
	s_mul_hi_u32 s15, s10, s1
	s_addc_u32 s11, s11, s16
	s_addc_u32 s13, s15, 0
	s_mul_i32 s1, s10, s1
	s_add_u32 s1, s11, s1
	s_addc_u32 s11, 0, s13
	s_add_u32 s13, s0, s1
	s_cselect_b64 s[0:1], -1, 0
	s_cmp_lg_u64 s[0:1], 0
	s_addc_u32 s10, s10, s11
	s_mul_i32 s0, s8, s10
	s_mul_hi_u32 s1, s8, s13
	s_add_i32 s0, s1, s0
	s_mul_i32 s9, s9, s13
	s_add_i32 s0, s0, s9
	s_mul_i32 s8, s8, s13
	s_mul_hi_u32 s9, s10, s8
	s_mul_i32 s11, s10, s8
	s_mul_i32 s15, s13, s0
	s_mul_hi_u32 s8, s13, s8
	s_mul_hi_u32 s14, s13, s0
	s_add_u32 s8, s8, s15
	s_addc_u32 s14, 0, s14
	s_add_u32 s8, s8, s11
	s_mul_hi_u32 s1, s10, s0
	s_addc_u32 s8, s14, s9
	s_addc_u32 s1, s1, 0
	s_mul_i32 s0, s10, s0
	s_add_u32 s0, s8, s0
	s_addc_u32 s8, 0, s1
	s_add_u32 s9, s13, s0
	s_cselect_b64 s[0:1], -1, 0
	s_cmp_lg_u64 s[0:1], 0
	s_addc_u32 s8, s10, s8
	v_mad_u64_u32 v[8:9], s[0:1], v18, s8, 0
	v_mul_hi_u32 v10, v18, s9
	v_mov_b32_e32 v11, v5
	v_lshl_add_u64 v[8:9], v[10:11], 0, v[8:9]
	v_mad_u64_u32 v[16:17], s[0:1], v13, s9, 0
	v_add_co_u32_e32 v8, vcc, v8, v16
	v_mad_u64_u32 v[10:11], s[0:1], v13, s8, 0
	s_nop 0
	v_addc_co_u32_e32 v8, vcc, v9, v17, vcc
	v_mov_b32_e32 v9, v5
	s_nop 0
	v_addc_co_u32_e32 v11, vcc, 0, v11, vcc
	v_lshl_add_u64 v[8:9], v[8:9], 0, v[10:11]
	v_mul_lo_u32 v16, s7, v8
	v_mul_lo_u32 v17, s6, v9
	v_mad_u64_u32 v[10:11], s[0:1], s6, v8, 0
	v_add3_u32 v19, v11, v17, v16
	v_sub_u32_e32 v11, v13, v19
	v_mov_b32_e32 v16, s7
	v_sub_co_u32_e32 v18, vcc, v18, v10
	s_nop 1
	v_subb_co_u32_e64 v10, s[0:1], v11, v16, vcc
	v_subrev_co_u32_e64 v11, s[0:1], s6, v18
	v_subb_co_u32_e32 v13, vcc, v13, v19, vcc
	s_nop 0
	v_subbrev_co_u32_e64 v10, s[0:1], 0, v10, s[0:1]
	v_cmp_le_u32_e64 s[0:1], s7, v10
	v_cmp_le_u32_e32 vcc, s7, v13
	s_nop 0
	v_cndmask_b32_e64 v16, 0, -1, s[0:1]
	v_cmp_le_u32_e64 s[0:1], s6, v11
	s_nop 1
	v_cndmask_b32_e64 v11, 0, -1, s[0:1]
	v_cmp_eq_u32_e64 s[0:1], s7, v10
	s_nop 1
	v_cndmask_b32_e64 v20, v16, v11, s[0:1]
	v_lshl_add_u64 v[10:11], v[8:9], 0, 2
	v_lshl_add_u64 v[16:17], v[8:9], 0, 1
	v_cmp_ne_u32_e64 s[0:1], 0, v20
	s_nop 1
	v_cndmask_b32_e64 v11, v17, v11, s[0:1]
	v_cndmask_b32_e64 v17, 0, -1, vcc
	v_cmp_le_u32_e32 vcc, s6, v18
	v_cndmask_b32_e64 v10, v16, v10, s[0:1]
	s_nop 0
	v_cndmask_b32_e64 v18, 0, -1, vcc
	v_cmp_eq_u32_e32 vcc, s7, v13
	s_nop 1
	v_cndmask_b32_e32 v13, v17, v18, vcc
	v_cmp_ne_u32_e32 vcc, 0, v13
	s_nop 1
	v_cndmask_b32_e32 v8, v8, v10, vcc
	v_cndmask_b32_e32 v9, v9, v11, vcc
	v_xor_b32_e32 v8, v8, v12
	v_xor_b32_e32 v9, v9, v12
	v_sub_co_u32_e32 v10, vcc, v8, v12
                                        ; implicit-def: $vgpr8
	s_nop 1
	v_subb_co_u32_e32 v11, vcc, v9, v12, vcc
.LBB27_139:
	s_andn2_saveexec_b64 s[0:1], s[4:5]
	s_cbranch_execz .LBB27_141
; %bb.140:
	v_cvt_f32_u32_e32 v9, s3
	v_rcp_iflag_f32_e32 v9, v9
	s_nop 0
	v_mul_f32_e32 v9, 0x4f7ffffe, v9
	v_cvt_u32_f32_e32 v9, v9
	v_mul_lo_u32 v10, s12, v9
	v_mul_hi_u32 v10, v9, v10
	v_add_u32_e32 v9, v9, v10
	v_mul_hi_u32 v9, v8, v9
	v_mul_lo_u32 v10, v9, s3
	v_sub_u32_e32 v8, v8, v10
	v_add_u32_e32 v11, 1, v9
	v_subrev_u32_e32 v10, s3, v8
	v_cmp_le_u32_e32 vcc, s3, v8
	s_nop 1
	v_cndmask_b32_e32 v8, v8, v10, vcc
	v_cndmask_b32_e32 v9, v9, v11, vcc
	v_add_u32_e32 v10, 1, v9
	v_cmp_le_u32_e32 vcc, s3, v8
	v_mov_b32_e32 v11, 0
	s_nop 0
	v_cndmask_b32_e32 v10, v9, v10, vcc
.LBB27_141:
	s_or_b64 exec, exec, s[0:1]
	v_cmp_gt_i64_e32 vcc, s[30:31], v[4:5]
	v_mov_b32_e32 v5, 0
	v_mov_b32_e32 v4, 0
	s_and_saveexec_b64 s[0:1], vcc
	s_cbranch_execz .LBB27_149
; %bb.142:
	s_add_i32 s4, s3, -1
	v_and_b32_e32 v8, s4, v0
	v_mov_b32_e32 v5, 0
	s_mov_b64 s[4:5], 0
	v_cmp_lt_i64_e32 vcc, 0, v[10:11]
	v_lshlrev_b32_e32 v16, 3, v8
	v_mov_b32_e32 v4, v5
	s_and_saveexec_b64 s[6:7], vcc
	s_cbranch_execz .LBB27_146
; %bb.143:
	v_mov_b32_e32 v4, 0
	v_lshl_add_u32 v9, v2, 3, v16
	s_lshl_b32 s8, s3, 3
	v_mov_b64_e32 v[12:13], v[10:11]
	v_mov_b32_e32 v5, v4
.LBB27_144:                             ; =>This Inner Loop Header: Depth=1
	ds_read_b64 v[18:19], v9
	v_lshl_add_u64 v[12:13], v[12:13], 0, -1
	v_cmp_eq_u64_e32 vcc, 0, v[12:13]
	v_add_u32_e32 v9, s8, v9
	s_or_b64 s[4:5], vcc, s[4:5]
	s_waitcnt lgkmcnt(0)
	v_pk_add_f32 v[4:5], v[4:5], v[18:19]
	s_andn2_b64 exec, exec, s[4:5]
	s_cbranch_execnz .LBB27_144
; %bb.145:
	s_or_b64 exec, exec, s[4:5]
.LBB27_146:
	s_or_b64 exec, exec, s[6:7]
	v_mad_u64_u32 v[2:3], s[4:5], v10, s3, v[2:3]
	v_mov_b32_e32 v10, v3
	v_mad_u64_u32 v[10:11], s[4:5], v11, s3, v[10:11]
	v_sub_co_u32_e32 v12, vcc, v14, v2
	v_mov_b32_e32 v9, 0
	s_nop 0
	v_subb_co_u32_e32 v13, vcc, v15, v10, vcc
	v_cmp_gt_i64_e32 vcc, v[12:13], v[8:9]
	s_and_saveexec_b64 s[4:5], vcc
	s_cbranch_execz .LBB27_148
; %bb.147:
	v_lshl_add_u32 v2, v2, 3, v16
	ds_read_b64 v[2:3], v2
	s_waitcnt lgkmcnt(0)
	v_pk_add_f32 v[4:5], v[4:5], v[2:3]
.LBB27_148:
	s_or_b64 exec, exec, s[4:5]
.LBB27_149:
	s_or_b64 exec, exec, s[0:1]
	v_cmp_gt_i64_e32 vcc, s[30:31], v[0:1]
	s_barrier
	ds_write_b64 v22, v[4:5]
	s_waitcnt lgkmcnt(0)
	s_barrier
	s_and_b64 exec, exec, vcc
	s_cbranch_execz .LBB27_153
; %bb.150:
	v_mul_lo_u32 v1, s3, v0
	v_mov_b32_e32 v2, 0
	v_lshlrev_b32_e32 v1, 3, v1
	v_mov_b32_e32 v3, v2
.LBB27_151:                             ; =>This Inner Loop Header: Depth=1
	ds_read_b64 v[4:5], v1
	s_add_i32 s3, s3, -1
	v_add_u32_e32 v1, 8, v1
	s_cmp_eq_u32 s3, 0
	s_waitcnt lgkmcnt(0)
	v_pk_add_f32 v[2:3], v[2:3], v[4:5]
	s_cbranch_scc0 .LBB27_151
; %bb.152:
	s_lshl_b32 s0, s2, 3
	s_addk_i32 s0, 0x2000
	v_lshl_add_u32 v0, v0, 3, s0
	ds_read2_b32 v[0:1], v0 offset1:1
	s_waitcnt lgkmcnt(0)
	v_add_f32_e32 v2, v2, v0
	v_add_f32_e32 v3, v3, v1
	v_lshl_add_u64 v[0:1], v[6:7], 3, s[28:29]
	global_atomic_add_f32 v[0:1], v2, off
	global_atomic_add_f32 v[0:1], v3, off offset:4
.LBB27_153:
	s_endpgm
	.section	.rodata,"a",@progbits
	.p2align	6, 0x0
	.amdhsa_kernel _ZN9rocsparseL27csrmvn_symm_adaptive_kernelIli21rocsparse_complex_numIfES2_S2_S2_EEvbT_S3_PKS3_NS_24const_host_device_scalarIT4_EES5_PKT0_PKT1_PKT2_S8_PT3_21rocsparse_index_base_b
		.amdhsa_group_segment_fixed_size 8192
		.amdhsa_private_segment_fixed_size 0
		.amdhsa_kernarg_size 352
		.amdhsa_user_sgpr_count 2
		.amdhsa_user_sgpr_dispatch_ptr 0
		.amdhsa_user_sgpr_queue_ptr 0
		.amdhsa_user_sgpr_kernarg_segment_ptr 1
		.amdhsa_user_sgpr_dispatch_id 0
		.amdhsa_user_sgpr_kernarg_preload_length 0
		.amdhsa_user_sgpr_kernarg_preload_offset 0
		.amdhsa_user_sgpr_private_segment_size 0
		.amdhsa_uses_dynamic_stack 0
		.amdhsa_enable_private_segment 0
		.amdhsa_system_sgpr_workgroup_id_x 1
		.amdhsa_system_sgpr_workgroup_id_y 0
		.amdhsa_system_sgpr_workgroup_id_z 0
		.amdhsa_system_sgpr_workgroup_info 0
		.amdhsa_system_vgpr_workitem_id 0
		.amdhsa_next_free_vgpr 33
		.amdhsa_next_free_sgpr 56
		.amdhsa_accum_offset 36
		.amdhsa_reserve_vcc 1
		.amdhsa_float_round_mode_32 0
		.amdhsa_float_round_mode_16_64 0
		.amdhsa_float_denorm_mode_32 3
		.amdhsa_float_denorm_mode_16_64 3
		.amdhsa_dx10_clamp 1
		.amdhsa_ieee_mode 1
		.amdhsa_fp16_overflow 0
		.amdhsa_tg_split 0
		.amdhsa_exception_fp_ieee_invalid_op 0
		.amdhsa_exception_fp_denorm_src 0
		.amdhsa_exception_fp_ieee_div_zero 0
		.amdhsa_exception_fp_ieee_overflow 0
		.amdhsa_exception_fp_ieee_underflow 0
		.amdhsa_exception_fp_ieee_inexact 0
		.amdhsa_exception_int_div_zero 0
	.end_amdhsa_kernel
	.section	.text._ZN9rocsparseL27csrmvn_symm_adaptive_kernelIli21rocsparse_complex_numIfES2_S2_S2_EEvbT_S3_PKS3_NS_24const_host_device_scalarIT4_EES5_PKT0_PKT1_PKT2_S8_PT3_21rocsparse_index_base_b,"axG",@progbits,_ZN9rocsparseL27csrmvn_symm_adaptive_kernelIli21rocsparse_complex_numIfES2_S2_S2_EEvbT_S3_PKS3_NS_24const_host_device_scalarIT4_EES5_PKT0_PKT1_PKT2_S8_PT3_21rocsparse_index_base_b,comdat
.Lfunc_end27:
	.size	_ZN9rocsparseL27csrmvn_symm_adaptive_kernelIli21rocsparse_complex_numIfES2_S2_S2_EEvbT_S3_PKS3_NS_24const_host_device_scalarIT4_EES5_PKT0_PKT1_PKT2_S8_PT3_21rocsparse_index_base_b, .Lfunc_end27-_ZN9rocsparseL27csrmvn_symm_adaptive_kernelIli21rocsparse_complex_numIfES2_S2_S2_EEvbT_S3_PKS3_NS_24const_host_device_scalarIT4_EES5_PKT0_PKT1_PKT2_S8_PT3_21rocsparse_index_base_b
                                        ; -- End function
	.set _ZN9rocsparseL27csrmvn_symm_adaptive_kernelIli21rocsparse_complex_numIfES2_S2_S2_EEvbT_S3_PKS3_NS_24const_host_device_scalarIT4_EES5_PKT0_PKT1_PKT2_S8_PT3_21rocsparse_index_base_b.num_vgpr, 33
	.set _ZN9rocsparseL27csrmvn_symm_adaptive_kernelIli21rocsparse_complex_numIfES2_S2_S2_EEvbT_S3_PKS3_NS_24const_host_device_scalarIT4_EES5_PKT0_PKT1_PKT2_S8_PT3_21rocsparse_index_base_b.num_agpr, 0
	.set _ZN9rocsparseL27csrmvn_symm_adaptive_kernelIli21rocsparse_complex_numIfES2_S2_S2_EEvbT_S3_PKS3_NS_24const_host_device_scalarIT4_EES5_PKT0_PKT1_PKT2_S8_PT3_21rocsparse_index_base_b.numbered_sgpr, 56
	.set _ZN9rocsparseL27csrmvn_symm_adaptive_kernelIli21rocsparse_complex_numIfES2_S2_S2_EEvbT_S3_PKS3_NS_24const_host_device_scalarIT4_EES5_PKT0_PKT1_PKT2_S8_PT3_21rocsparse_index_base_b.num_named_barrier, 0
	.set _ZN9rocsparseL27csrmvn_symm_adaptive_kernelIli21rocsparse_complex_numIfES2_S2_S2_EEvbT_S3_PKS3_NS_24const_host_device_scalarIT4_EES5_PKT0_PKT1_PKT2_S8_PT3_21rocsparse_index_base_b.private_seg_size, 0
	.set _ZN9rocsparseL27csrmvn_symm_adaptive_kernelIli21rocsparse_complex_numIfES2_S2_S2_EEvbT_S3_PKS3_NS_24const_host_device_scalarIT4_EES5_PKT0_PKT1_PKT2_S8_PT3_21rocsparse_index_base_b.uses_vcc, 1
	.set _ZN9rocsparseL27csrmvn_symm_adaptive_kernelIli21rocsparse_complex_numIfES2_S2_S2_EEvbT_S3_PKS3_NS_24const_host_device_scalarIT4_EES5_PKT0_PKT1_PKT2_S8_PT3_21rocsparse_index_base_b.uses_flat_scratch, 0
	.set _ZN9rocsparseL27csrmvn_symm_adaptive_kernelIli21rocsparse_complex_numIfES2_S2_S2_EEvbT_S3_PKS3_NS_24const_host_device_scalarIT4_EES5_PKT0_PKT1_PKT2_S8_PT3_21rocsparse_index_base_b.has_dyn_sized_stack, 0
	.set _ZN9rocsparseL27csrmvn_symm_adaptive_kernelIli21rocsparse_complex_numIfES2_S2_S2_EEvbT_S3_PKS3_NS_24const_host_device_scalarIT4_EES5_PKT0_PKT1_PKT2_S8_PT3_21rocsparse_index_base_b.has_recursion, 0
	.set _ZN9rocsparseL27csrmvn_symm_adaptive_kernelIli21rocsparse_complex_numIfES2_S2_S2_EEvbT_S3_PKS3_NS_24const_host_device_scalarIT4_EES5_PKT0_PKT1_PKT2_S8_PT3_21rocsparse_index_base_b.has_indirect_call, 0
	.section	.AMDGPU.csdata,"",@progbits
; Kernel info:
; codeLenInByte = 8364
; TotalNumSgprs: 62
; NumVgprs: 33
; NumAgprs: 0
; TotalNumVgprs: 33
; ScratchSize: 0
; MemoryBound: 0
; FloatMode: 240
; IeeeMode: 1
; LDSByteSize: 8192 bytes/workgroup (compile time only)
; SGPRBlocks: 7
; VGPRBlocks: 4
; NumSGPRsForWavesPerEU: 62
; NumVGPRsForWavesPerEU: 33
; AccumOffset: 36
; Occupancy: 8
; WaveLimiterHint : 1
; COMPUTE_PGM_RSRC2:SCRATCH_EN: 0
; COMPUTE_PGM_RSRC2:USER_SGPR: 2
; COMPUTE_PGM_RSRC2:TRAP_HANDLER: 0
; COMPUTE_PGM_RSRC2:TGID_X_EN: 1
; COMPUTE_PGM_RSRC2:TGID_Y_EN: 0
; COMPUTE_PGM_RSRC2:TGID_Z_EN: 0
; COMPUTE_PGM_RSRC2:TIDIG_COMP_CNT: 0
; COMPUTE_PGM_RSRC3_GFX90A:ACCUM_OFFSET: 8
; COMPUTE_PGM_RSRC3_GFX90A:TG_SPLIT: 0
	.section	.text._ZL33csrmvn_symm_large_adaptive_kernelIli21rocsparse_complex_numIfES1_S1_S1_EvbT_PKS2_N9rocsparse24const_host_device_scalarIT4_EES4_PKT0_PKT1_PKT2_S8_PT3_21rocsparse_index_base_b,"axG",@progbits,_ZL33csrmvn_symm_large_adaptive_kernelIli21rocsparse_complex_numIfES1_S1_S1_EvbT_PKS2_N9rocsparse24const_host_device_scalarIT4_EES4_PKT0_PKT1_PKT2_S8_PT3_21rocsparse_index_base_b,comdat
	.globl	_ZL33csrmvn_symm_large_adaptive_kernelIli21rocsparse_complex_numIfES1_S1_S1_EvbT_PKS2_N9rocsparse24const_host_device_scalarIT4_EES4_PKT0_PKT1_PKT2_S8_PT3_21rocsparse_index_base_b ; -- Begin function _ZL33csrmvn_symm_large_adaptive_kernelIli21rocsparse_complex_numIfES1_S1_S1_EvbT_PKS2_N9rocsparse24const_host_device_scalarIT4_EES4_PKT0_PKT1_PKT2_S8_PT3_21rocsparse_index_base_b
	.p2align	8
	.type	_ZL33csrmvn_symm_large_adaptive_kernelIli21rocsparse_complex_numIfES1_S1_S1_EvbT_PKS2_N9rocsparse24const_host_device_scalarIT4_EES4_PKT0_PKT1_PKT2_S8_PT3_21rocsparse_index_base_b,@function
_ZL33csrmvn_symm_large_adaptive_kernelIli21rocsparse_complex_numIfES1_S1_S1_EvbT_PKS2_N9rocsparse24const_host_device_scalarIT4_EES4_PKT0_PKT1_PKT2_S8_PT3_21rocsparse_index_base_b: ; @_ZL33csrmvn_symm_large_adaptive_kernelIli21rocsparse_complex_numIfES1_S1_S1_EvbT_PKS2_N9rocsparse24const_host_device_scalarIT4_EES4_PKT0_PKT1_PKT2_S8_PT3_21rocsparse_index_base_b
; %bb.0:
	s_load_dwordx2 s[20:21], s[0:1], 0x50
	s_load_dwordx2 s[4:5], s[0:1], 0x18
	s_add_u32 s3, s0, 24
	s_addc_u32 s10, s1, 0
	s_waitcnt lgkmcnt(0)
	s_bitcmp1_b32 s21, 0
	s_cselect_b64 s[8:9], -1, 0
	s_and_b64 s[6:7], s[8:9], exec
	s_cselect_b32 s5, s10, s5
	s_cselect_b32 s3, s3, s4
	v_mov_b32_e32 v2, s3
	v_mov_b32_e32 v3, s5
	flat_load_dwordx2 v[2:3], v[2:3]
	s_waitcnt vmcnt(0) lgkmcnt(0)
	v_cmp_eq_f32_e32 vcc, 0, v2
	v_cmp_eq_f32_e64 s[4:5], 0, v3
	s_and_b64 s[10:11], vcc, s[4:5]
	s_mov_b64 s[4:5], -1
	s_and_saveexec_b64 s[6:7], s[10:11]
	s_cbranch_execz .LBB28_2
; %bb.1:
	s_load_dwordx2 s[4:5], s[0:1], 0x40
	s_add_u32 s3, s0, 64
	s_addc_u32 s10, s1, 0
	s_and_b64 s[8:9], s[8:9], exec
	s_waitcnt lgkmcnt(0)
	s_cselect_b32 s5, s10, s5
	s_cselect_b32 s3, s3, s4
	v_mov_b32_e32 v4, s3
	v_mov_b32_e32 v5, s5
	flat_load_dwordx2 v[4:5], v[4:5]
	s_waitcnt vmcnt(0) lgkmcnt(0)
	v_cmp_neq_f32_e32 vcc, 1.0, v4
	v_cmp_neq_f32_e64 s[4:5], 0, v5
	s_or_b64 s[4:5], vcc, s[4:5]
	s_orn2_b64 s[4:5], s[4:5], exec
.LBB28_2:
	s_or_b64 exec, exec, s[6:7]
	s_and_saveexec_b64 s[6:7], s[4:5]
	s_cbranch_execz .LBB28_36
; %bb.3:
	s_load_dword s3, s[0:1], 0x0
	s_load_dwordx2 s[4:5], s[0:1], 0x10
	s_mov_b32 s6, 0
	s_mov_b32 s7, s6
	v_lshlrev_b32_e32 v14, 3, v0
	s_waitcnt lgkmcnt(0)
	s_bitcmp1_b32 s3, 0
	s_cselect_b64 s[22:23], -1, 0
	s_ashr_i32 s3, s2, 31
	s_lshl_b64 s[2:3], s[2:3], 3
	s_add_u32 s2, s4, s2
	v_mov_b64_e32 v[4:5], s[6:7]
	s_addc_u32 s3, s5, s3
	ds_write2st64_b64 v14, v[4:5], v[4:5] offset1:4
	ds_write2st64_b64 v14, v[4:5], v[4:5] offset0:8 offset1:12
	s_waitcnt lgkmcnt(0)
	s_barrier
	s_load_dwordx4 s[16:19], s[2:3], 0x0
	s_load_dwordx8 s[8:15], s[0:1], 0x20
	s_load_dwordx2 s[24:25], s[0:1], 0x48
	v_mov_b32_e32 v15, 0
	s_waitcnt lgkmcnt(0)
	v_mov_b64_e32 v[4:5], s[18:19]
	v_cmp_ge_i64_e32 vcc, s[16:17], v[4:5]
	v_subrev_co_u32_e64 v4, s[0:1], s20, v0
	s_nop 1
	v_subb_co_u32_e64 v5, s[0:1], 0, 0, s[0:1]
	s_cbranch_vccnz .LBB28_27
; %bb.4:
	s_add_u32 s26, s12, 4
	v_cmp_gt_u32_e64 s[0:1], 64, v0
	v_cmp_gt_u32_e64 s[2:3], 16, v0
	;; [unrolled: 1-line block ×3, first 2 shown]
	v_cmp_eq_u32_e64 s[6:7], 0, v0
	s_addc_u32 s27, s13, 0
	s_mov_b64 s[28:29], 0x100
	s_mov_b64 s[30:31], 0x400
	;; [unrolled: 1-line block ×3, first 2 shown]
	v_mov_b64_e32 v[0:1], s[18:19]
	s_mov_b64 s[36:37], s[16:17]
	s_branch .LBB28_6
.LBB28_5:                               ;   in Loop: Header=BB28_6 Depth=1
	s_or_b64 exec, exec, s[40:41]
	s_add_u32 s36, s36, 1
	s_addc_u32 s37, s37, 0
	v_cmp_ge_i64_e32 vcc, s[36:37], v[0:1]
	s_cbranch_vccnz .LBB28_27
.LBB28_6:                               ; =>This Loop Header: Depth=1
                                        ;     Child Loop BB28_8 Depth 2
                                        ;     Child Loop BB28_20 Depth 2
	;; [unrolled: 1-line block ×3, first 2 shown]
	s_lshl_b64 s[38:39], s[36:37], 3
	s_add_u32 s44, s8, s38
	s_addc_u32 s45, s9, s39
	s_load_dwordx4 s[40:43], s[44:45], 0x0
	v_mov_b32_e32 v7, 0
	v_mov_b32_e32 v6, v7
	s_waitcnt lgkmcnt(0)
	s_sub_u32 s42, s42, s20
	v_lshl_add_u64 v[8:9], s[40:41], 0, v[4:5]
	s_subb_u32 s43, s43, 0
	v_cmp_gt_i64_e32 vcc, s[42:43], v[8:9]
	s_and_saveexec_b64 s[40:41], vcc
	s_cbranch_execz .LBB28_10
; %bb.7:                                ;   in Loop: Header=BB28_6 Depth=1
	v_mov_b32_e32 v6, 0
	v_lshl_add_u64 v[10:11], v[8:9], 2, s[10:11]
	v_lshl_add_u64 v[12:13], v[8:9], 3, s[26:27]
	s_mov_b64 s[44:45], 0
	v_mov_b32_e32 v7, v6
.LBB28_8:                               ;   Parent Loop BB28_6 Depth=1
                                        ; =>  This Inner Loop Header: Depth=2
	global_load_dword v18, v[10:11], off
	global_load_dwordx2 v[16:17], v[12:13], off offset:-4
	v_lshl_add_u64 v[8:9], v[8:9], 0, s[28:29]
	v_cmp_le_i64_e32 vcc, s[42:43], v[8:9]
	v_lshl_add_u64 v[10:11], v[10:11], 0, s[30:31]
	v_lshl_add_u64 v[12:13], v[12:13], 0, s[34:35]
	s_or_b64 s[44:45], vcc, s[44:45]
	s_waitcnt vmcnt(1)
	v_subrev_u32_e32 v18, s20, v18
	v_ashrrev_i32_e32 v19, 31, v18
	v_lshl_add_u64 v[18:19], v[18:19], 3, s[14:15]
	global_load_dwordx2 v[18:19], v[18:19], off
	s_waitcnt vmcnt(1)
	v_cndmask_b32_e64 v17, v17, -v17, s[22:23]
	v_mov_b32_e32 v21, v16
	v_xor_b32_e32 v20, 0x80000000, v17
	s_waitcnt vmcnt(0)
	v_pk_fma_f32 v[6:7], v[16:17], v[18:19], v[6:7] op_sel_hi:[1,0,1]
	s_nop 0
	v_pk_fma_f32 v[6:7], v[20:21], v[18:19], v[6:7] op_sel:[0,1,0]
	s_andn2_b64 exec, exec, s[44:45]
	s_cbranch_execnz .LBB28_8
; %bb.9:                                ;   in Loop: Header=BB28_6 Depth=1
	s_or_b64 exec, exec, s[44:45]
.LBB28_10:                              ;   in Loop: Header=BB28_6 Depth=1
	s_or_b64 exec, exec, s[40:41]
	ds_write_b64 v14, v[6:7]
	s_waitcnt lgkmcnt(0)
	s_barrier
	ds_read2st64_b64 v[6:9], v14 offset1:4
	ds_read2st64_b64 v[10:13], v14 offset0:8 offset1:12
	s_waitcnt lgkmcnt(0)
	v_pk_add_f32 v[8:9], v[10:11], v[8:9]
	s_nop 0
	v_pk_add_f32 v[8:9], v[12:13], v[8:9]
	s_nop 0
	v_pk_add_f32 v[6:7], v[8:9], v[6:7]
	ds_write_b64 v14, v[6:7]
	s_waitcnt lgkmcnt(0)
	s_barrier
	s_and_saveexec_b64 s[40:41], s[0:1]
	s_cbranch_execz .LBB28_12
; %bb.11:                               ;   in Loop: Header=BB28_6 Depth=1
	ds_read2st64_b64 v[6:9], v14 offset1:1
	ds_read2st64_b64 v[10:13], v14 offset0:2 offset1:3
	s_waitcnt lgkmcnt(0)
	v_pk_add_f32 v[8:9], v[10:11], v[8:9]
	s_nop 0
	v_pk_add_f32 v[8:9], v[12:13], v[8:9]
	s_nop 0
	v_pk_add_f32 v[6:7], v[8:9], v[6:7]
	ds_write_b64 v14, v[6:7]
.LBB28_12:                              ;   in Loop: Header=BB28_6 Depth=1
	s_or_b64 exec, exec, s[40:41]
	s_waitcnt lgkmcnt(0)
	s_barrier
	s_and_saveexec_b64 s[40:41], s[2:3]
	s_cbranch_execz .LBB28_14
; %bb.13:                               ;   in Loop: Header=BB28_6 Depth=1
	ds_read2_b64 v[6:9], v14 offset1:16
	ds_read2_b64 v[10:13], v14 offset0:32 offset1:48
	s_waitcnt lgkmcnt(0)
	v_pk_add_f32 v[8:9], v[10:11], v[8:9]
	s_nop 0
	v_pk_add_f32 v[8:9], v[12:13], v[8:9]
	s_nop 0
	v_pk_add_f32 v[6:7], v[8:9], v[6:7]
	ds_write_b64 v14, v[6:7]
.LBB28_14:                              ;   in Loop: Header=BB28_6 Depth=1
	s_or_b64 exec, exec, s[40:41]
	s_waitcnt lgkmcnt(0)
	s_barrier
	s_and_saveexec_b64 s[40:41], s[4:5]
	s_cbranch_execz .LBB28_16
; %bb.15:                               ;   in Loop: Header=BB28_6 Depth=1
	ds_read2_b64 v[6:9], v14 offset1:4
	ds_read2_b64 v[10:13], v14 offset0:8 offset1:12
	s_waitcnt lgkmcnt(0)
	v_pk_add_f32 v[8:9], v[10:11], v[8:9]
	s_nop 0
	v_pk_add_f32 v[8:9], v[12:13], v[8:9]
	s_nop 0
	v_pk_add_f32 v[6:7], v[8:9], v[6:7]
	ds_write_b64 v14, v[6:7]
.LBB28_16:                              ;   in Loop: Header=BB28_6 Depth=1
	s_or_b64 exec, exec, s[40:41]
	s_waitcnt lgkmcnt(0)
	s_barrier
	s_and_saveexec_b64 s[40:41], s[6:7]
	s_cbranch_execz .LBB28_18
; %bb.17:                               ;   in Loop: Header=BB28_6 Depth=1
	ds_read_b128 v[6:9], v15 offset:16
	ds_read_b64 v[10:11], v15 offset:8
	ds_read_b64 v[12:13], v14
	s_waitcnt lgkmcnt(1)
	v_pk_add_f32 v[6:7], v[6:7], v[10:11]
	s_nop 0
	v_pk_add_f32 v[6:7], v[8:9], v[6:7]
	s_waitcnt lgkmcnt(0)
	v_pk_add_f32 v[6:7], v[6:7], v[12:13]
	ds_write_b64 v14, v[6:7]
.LBB28_18:                              ;   in Loop: Header=BB28_6 Depth=1
	s_or_b64 exec, exec, s[40:41]
	s_waitcnt lgkmcnt(0)
	s_barrier
	s_and_saveexec_b64 s[40:41], s[6:7]
	s_cbranch_execz .LBB28_5
; %bb.19:                               ;   in Loop: Header=BB28_6 Depth=1
	ds_read_b64 v[6:7], v15
	s_mov_b64 s[42:43], exec
	v_bfrev_b32_e32 v8, 1
	s_waitcnt lgkmcnt(0)
	v_mul_f32_e64 v9, v7, -v3
	v_fmac_f32_e32 v9, v2, v6
.LBB28_20:                              ;   Parent Loop BB28_6 Depth=1
                                        ; =>  This Inner Loop Header: Depth=2
	s_ff1_i32_b64 s21, s[42:43]
	s_lshl_b64 s[44:45], 1, s21
	v_readlane_b32 s33, v9, s21
	s_andn2_b64 s[42:43], s[42:43], s[44:45]
	s_cmp_lg_u64 s[42:43], 0
	v_add_f32_e32 v8, s33, v8
	s_cbranch_scc1 .LBB28_20
; %bb.21:                               ;   in Loop: Header=BB28_6 Depth=1
	v_mbcnt_lo_u32_b32 v9, exec_lo, 0
	s_add_u32 s38, s24, s38
	v_mbcnt_hi_u32_b32 v9, exec_hi, v9
	s_addc_u32 s39, s25, s39
	v_cmp_eq_u32_e32 vcc, 0, v9
	s_and_saveexec_b64 s[42:43], vcc
	s_xor_b64 s[42:43], exec, s[42:43]
	s_cbranch_execz .LBB28_23
; %bb.22:                               ;   in Loop: Header=BB28_6 Depth=1
	global_atomic_add_f32 v15, v8, s[38:39]
.LBB28_23:                              ;   in Loop: Header=BB28_6 Depth=1
	s_or_b64 exec, exec, s[42:43]
	v_mul_f32_e32 v7, v2, v7
	s_mov_b64 s[42:43], exec
	v_fmac_f32_e32 v7, v3, v6
	v_bfrev_b32_e32 v6, 1
.LBB28_24:                              ;   Parent Loop BB28_6 Depth=1
                                        ; =>  This Inner Loop Header: Depth=2
	s_ff1_i32_b64 s21, s[42:43]
	s_lshl_b64 s[44:45], 1, s21
	v_readlane_b32 s33, v7, s21
	s_andn2_b64 s[42:43], s[42:43], s[44:45]
	s_cmp_lg_u64 s[42:43], 0
	v_add_f32_e32 v6, s33, v6
	s_cbranch_scc1 .LBB28_24
; %bb.25:                               ;   in Loop: Header=BB28_6 Depth=1
	v_mbcnt_lo_u32_b32 v7, exec_lo, 0
	v_mbcnt_hi_u32_b32 v7, exec_hi, v7
	v_cmp_eq_u32_e32 vcc, 0, v7
	s_and_saveexec_b64 s[42:43], vcc
	s_xor_b64 s[42:43], exec, s[42:43]
	s_cbranch_execz .LBB28_5
; %bb.26:                               ;   in Loop: Header=BB28_6 Depth=1
	global_atomic_add_f32 v15, v6, s[38:39] offset:4
	s_branch .LBB28_5
.LBB28_27:
	s_lshl_b64 s[0:1], s[16:17], 3
	s_add_u32 s0, s8, s0
	s_addc_u32 s1, s9, s1
	s_lshl_b64 s[2:3], s[18:19], 3
	s_add_u32 s2, s8, s2
	s_addc_u32 s3, s9, s3
	s_load_dwordx2 s[4:5], s[2:3], 0x0
	s_load_dwordx2 s[6:7], s[0:1], 0x0
	s_waitcnt lgkmcnt(0)
	s_sub_u32 s4, s4, s20
	s_subb_u32 s5, s5, 0
	v_lshl_add_u64 v[0:1], s[6:7], 0, v[4:5]
	v_cmp_gt_i64_e32 vcc, s[4:5], v[0:1]
	s_and_b64 exec, exec, vcc
	s_cbranch_execz .LBB28_36
; %bb.28:
	s_add_u32 s6, s18, -1
	s_addc_u32 s7, s19, -1
	s_add_u32 s0, s18, -2
	s_addc_u32 s1, s19, -1
	v_mov_b64_e32 v[4:5], s[6:7]
	s_cmp_lg_u64 s[16:17], s[0:1]
	v_cmp_lt_i64_e32 vcc, s[16:17], v[4:5]
	s_cselect_b64 s[0:1], -1, 0
	s_and_b64 s[0:1], vcc, s[0:1]
	v_cndmask_b32_e64 v4, 0, 1, s[0:1]
	s_mov_b64 s[18:19], 0
	v_cmp_ne_u32_e64 s[0:1], 1, v4
	v_mov_b32_e32 v5, 0
	s_mov_b64 s[26:27], 0x100
	s_branch .LBB28_30
.LBB28_29:                              ;   in Loop: Header=BB28_30 Depth=1
	s_or_b64 exec, exec, s[2:3]
	v_lshl_add_u64 v[0:1], v[0:1], 0, s[26:27]
	v_cmp_le_i64_e32 vcc, s[4:5], v[0:1]
	s_or_b64 s[18:19], vcc, s[18:19]
	s_andn2_b64 exec, exec, s[18:19]
	s_cbranch_execz .LBB28_36
.LBB28_30:                              ; =>This Loop Header: Depth=1
                                        ;     Child Loop BB28_32 Depth 2
	s_and_b64 vcc, exec, s[0:1]
	v_mov_b64_e32 v[6:7], s[16:17]
	v_mov_b64_e32 v[8:9], s[6:7]
	s_cbranch_vccnz .LBB28_34
; %bb.31:                               ;   in Loop: Header=BB28_30 Depth=1
	s_mov_b64 s[28:29], 0
	v_mov_b64_e32 v[6:7], s[16:17]
	v_mov_b64_e32 v[8:9], s[6:7]
.LBB28_32:                              ;   Parent Loop BB28_30 Depth=1
                                        ; =>  This Inner Loop Header: Depth=2
	v_lshl_add_u64 v[10:11], v[8:9], 0, v[6:7]
	v_lshrrev_b32_e32 v4, 31, v11
	v_lshl_add_u64 v[10:11], v[10:11], 0, v[4:5]
	v_ashrrev_i64 v[10:11], 1, v[10:11]
	v_lshl_add_u64 v[12:13], v[10:11], 3, s[8:9]
	global_load_dwordx2 v[12:13], v[12:13], off
	s_waitcnt vmcnt(0)
	v_subrev_co_u32_e32 v12, vcc, s20, v12
	s_nop 1
	v_subbrev_co_u32_e32 v13, vcc, 0, v13, vcc
	v_cmp_lt_i64_e32 vcc, v[0:1], v[12:13]
	s_nop 1
	v_cndmask_b32_e32 v9, v9, v11, vcc
	v_cndmask_b32_e32 v8, v8, v10, vcc
	;; [unrolled: 1-line block ×4, first 2 shown]
	v_lshl_add_u64 v[10:11], v[8:9], 0, -1
	v_cmp_ge_i64_e32 vcc, v[6:7], v[8:9]
	v_cmp_eq_u64_e64 s[2:3], v[6:7], v[10:11]
	s_or_b64 s[2:3], vcc, s[2:3]
	s_and_b64 s[2:3], exec, s[2:3]
	s_or_b64 s[28:29], s[2:3], s[28:29]
	s_andn2_b64 exec, exec, s[28:29]
	s_cbranch_execnz .LBB28_32
; %bb.33:                               ;   in Loop: Header=BB28_30 Depth=1
	s_or_b64 exec, exec, s[28:29]
.LBB28_34:                              ;   in Loop: Header=BB28_30 Depth=1
	v_lshl_add_u64 v[10:11], v[8:9], 3, s[8:9]
	global_load_dwordx2 v[10:11], v[10:11], off
	v_lshl_add_u64 v[12:13], v[0:1], 2, s[10:11]
	global_load_dword v4, v[12:13], off
	s_waitcnt vmcnt(1)
	v_subrev_co_u32_e32 v12, vcc, s20, v10
	s_nop 1
	v_subbrev_co_u32_e32 v13, vcc, 0, v11, vcc
	s_waitcnt vmcnt(0)
	v_subrev_u32_e32 v10, s20, v4
	v_cmp_lt_i64_e32 vcc, v[0:1], v[12:13]
	v_ashrrev_i32_e32 v11, 31, v10
	s_nop 0
	v_cndmask_b32_e32 v7, v9, v7, vcc
	v_cndmask_b32_e32 v6, v8, v6, vcc
	v_cmp_ne_u64_e32 vcc, v[6:7], v[10:11]
	s_and_saveexec_b64 s[2:3], vcc
	s_cbranch_execz .LBB28_29
; %bb.35:                               ;   in Loop: Header=BB28_30 Depth=1
	v_lshl_add_u64 v[8:9], v[0:1], 3, s[12:13]
	global_load_dwordx2 v[8:9], v[8:9], off
	v_lshl_add_u64 v[6:7], v[6:7], 3, s[14:15]
	global_load_dwordx2 v[6:7], v[6:7], off
	v_lshl_add_u64 v[10:11], v[10:11], 3, s[24:25]
	s_waitcnt vmcnt(1)
	v_cndmask_b32_e64 v4, v9, -v9, s[22:23]
	v_mul_f32_e64 v9, v4, -v3
	v_mul_f32_e32 v4, v2, v4
	v_fmac_f32_e32 v4, v3, v8
	v_fmac_f32_e32 v9, v2, v8
	s_waitcnt vmcnt(0)
	v_mul_f32_e64 v8, v7, -v4
	v_mul_f32_e32 v7, v7, v9
	v_fmac_f32_e32 v8, v9, v6
	v_fmac_f32_e32 v7, v4, v6
	global_atomic_add_f32 v[10:11], v8, off
	global_atomic_add_f32 v[10:11], v7, off offset:4
	s_branch .LBB28_29
.LBB28_36:
	s_endpgm
	.section	.rodata,"a",@progbits
	.p2align	6, 0x0
	.amdhsa_kernel _ZL33csrmvn_symm_large_adaptive_kernelIli21rocsparse_complex_numIfES1_S1_S1_EvbT_PKS2_N9rocsparse24const_host_device_scalarIT4_EES4_PKT0_PKT1_PKT2_S8_PT3_21rocsparse_index_base_b
		.amdhsa_group_segment_fixed_size 8192
		.amdhsa_private_segment_fixed_size 0
		.amdhsa_kernarg_size 88
		.amdhsa_user_sgpr_count 2
		.amdhsa_user_sgpr_dispatch_ptr 0
		.amdhsa_user_sgpr_queue_ptr 0
		.amdhsa_user_sgpr_kernarg_segment_ptr 1
		.amdhsa_user_sgpr_dispatch_id 0
		.amdhsa_user_sgpr_kernarg_preload_length 0
		.amdhsa_user_sgpr_kernarg_preload_offset 0
		.amdhsa_user_sgpr_private_segment_size 0
		.amdhsa_uses_dynamic_stack 0
		.amdhsa_enable_private_segment 0
		.amdhsa_system_sgpr_workgroup_id_x 1
		.amdhsa_system_sgpr_workgroup_id_y 0
		.amdhsa_system_sgpr_workgroup_id_z 0
		.amdhsa_system_sgpr_workgroup_info 0
		.amdhsa_system_vgpr_workitem_id 0
		.amdhsa_next_free_vgpr 22
		.amdhsa_next_free_sgpr 46
		.amdhsa_accum_offset 24
		.amdhsa_reserve_vcc 1
		.amdhsa_float_round_mode_32 0
		.amdhsa_float_round_mode_16_64 0
		.amdhsa_float_denorm_mode_32 3
		.amdhsa_float_denorm_mode_16_64 3
		.amdhsa_dx10_clamp 1
		.amdhsa_ieee_mode 1
		.amdhsa_fp16_overflow 0
		.amdhsa_tg_split 0
		.amdhsa_exception_fp_ieee_invalid_op 0
		.amdhsa_exception_fp_denorm_src 0
		.amdhsa_exception_fp_ieee_div_zero 0
		.amdhsa_exception_fp_ieee_overflow 0
		.amdhsa_exception_fp_ieee_underflow 0
		.amdhsa_exception_fp_ieee_inexact 0
		.amdhsa_exception_int_div_zero 0
	.end_amdhsa_kernel
	.section	.text._ZL33csrmvn_symm_large_adaptive_kernelIli21rocsparse_complex_numIfES1_S1_S1_EvbT_PKS2_N9rocsparse24const_host_device_scalarIT4_EES4_PKT0_PKT1_PKT2_S8_PT3_21rocsparse_index_base_b,"axG",@progbits,_ZL33csrmvn_symm_large_adaptive_kernelIli21rocsparse_complex_numIfES1_S1_S1_EvbT_PKS2_N9rocsparse24const_host_device_scalarIT4_EES4_PKT0_PKT1_PKT2_S8_PT3_21rocsparse_index_base_b,comdat
.Lfunc_end28:
	.size	_ZL33csrmvn_symm_large_adaptive_kernelIli21rocsparse_complex_numIfES1_S1_S1_EvbT_PKS2_N9rocsparse24const_host_device_scalarIT4_EES4_PKT0_PKT1_PKT2_S8_PT3_21rocsparse_index_base_b, .Lfunc_end28-_ZL33csrmvn_symm_large_adaptive_kernelIli21rocsparse_complex_numIfES1_S1_S1_EvbT_PKS2_N9rocsparse24const_host_device_scalarIT4_EES4_PKT0_PKT1_PKT2_S8_PT3_21rocsparse_index_base_b
                                        ; -- End function
	.set _ZL33csrmvn_symm_large_adaptive_kernelIli21rocsparse_complex_numIfES1_S1_S1_EvbT_PKS2_N9rocsparse24const_host_device_scalarIT4_EES4_PKT0_PKT1_PKT2_S8_PT3_21rocsparse_index_base_b.num_vgpr, 22
	.set _ZL33csrmvn_symm_large_adaptive_kernelIli21rocsparse_complex_numIfES1_S1_S1_EvbT_PKS2_N9rocsparse24const_host_device_scalarIT4_EES4_PKT0_PKT1_PKT2_S8_PT3_21rocsparse_index_base_b.num_agpr, 0
	.set _ZL33csrmvn_symm_large_adaptive_kernelIli21rocsparse_complex_numIfES1_S1_S1_EvbT_PKS2_N9rocsparse24const_host_device_scalarIT4_EES4_PKT0_PKT1_PKT2_S8_PT3_21rocsparse_index_base_b.numbered_sgpr, 46
	.set _ZL33csrmvn_symm_large_adaptive_kernelIli21rocsparse_complex_numIfES1_S1_S1_EvbT_PKS2_N9rocsparse24const_host_device_scalarIT4_EES4_PKT0_PKT1_PKT2_S8_PT3_21rocsparse_index_base_b.num_named_barrier, 0
	.set _ZL33csrmvn_symm_large_adaptive_kernelIli21rocsparse_complex_numIfES1_S1_S1_EvbT_PKS2_N9rocsparse24const_host_device_scalarIT4_EES4_PKT0_PKT1_PKT2_S8_PT3_21rocsparse_index_base_b.private_seg_size, 0
	.set _ZL33csrmvn_symm_large_adaptive_kernelIli21rocsparse_complex_numIfES1_S1_S1_EvbT_PKS2_N9rocsparse24const_host_device_scalarIT4_EES4_PKT0_PKT1_PKT2_S8_PT3_21rocsparse_index_base_b.uses_vcc, 1
	.set _ZL33csrmvn_symm_large_adaptive_kernelIli21rocsparse_complex_numIfES1_S1_S1_EvbT_PKS2_N9rocsparse24const_host_device_scalarIT4_EES4_PKT0_PKT1_PKT2_S8_PT3_21rocsparse_index_base_b.uses_flat_scratch, 0
	.set _ZL33csrmvn_symm_large_adaptive_kernelIli21rocsparse_complex_numIfES1_S1_S1_EvbT_PKS2_N9rocsparse24const_host_device_scalarIT4_EES4_PKT0_PKT1_PKT2_S8_PT3_21rocsparse_index_base_b.has_dyn_sized_stack, 0
	.set _ZL33csrmvn_symm_large_adaptive_kernelIli21rocsparse_complex_numIfES1_S1_S1_EvbT_PKS2_N9rocsparse24const_host_device_scalarIT4_EES4_PKT0_PKT1_PKT2_S8_PT3_21rocsparse_index_base_b.has_recursion, 0
	.set _ZL33csrmvn_symm_large_adaptive_kernelIli21rocsparse_complex_numIfES1_S1_S1_EvbT_PKS2_N9rocsparse24const_host_device_scalarIT4_EES4_PKT0_PKT1_PKT2_S8_PT3_21rocsparse_index_base_b.has_indirect_call, 0
	.section	.AMDGPU.csdata,"",@progbits
; Kernel info:
; codeLenInByte = 1816
; TotalNumSgprs: 52
; NumVgprs: 22
; NumAgprs: 0
; TotalNumVgprs: 22
; ScratchSize: 0
; MemoryBound: 0
; FloatMode: 240
; IeeeMode: 1
; LDSByteSize: 8192 bytes/workgroup (compile time only)
; SGPRBlocks: 6
; VGPRBlocks: 2
; NumSGPRsForWavesPerEU: 52
; NumVGPRsForWavesPerEU: 22
; AccumOffset: 24
; Occupancy: 8
; WaveLimiterHint : 1
; COMPUTE_PGM_RSRC2:SCRATCH_EN: 0
; COMPUTE_PGM_RSRC2:USER_SGPR: 2
; COMPUTE_PGM_RSRC2:TRAP_HANDLER: 0
; COMPUTE_PGM_RSRC2:TGID_X_EN: 1
; COMPUTE_PGM_RSRC2:TGID_Y_EN: 0
; COMPUTE_PGM_RSRC2:TGID_Z_EN: 0
; COMPUTE_PGM_RSRC2:TIDIG_COMP_CNT: 0
; COMPUTE_PGM_RSRC3_GFX90A:ACCUM_OFFSET: 5
; COMPUTE_PGM_RSRC3_GFX90A:TG_SPLIT: 0
	.section	.text._ZN9rocsparseL22csrmvn_adaptive_kernelIll21rocsparse_complex_numIfES2_S2_S2_EEvbT_PKS3_PjPKT0_NS_24const_host_device_scalarIT4_EES5_S9_PKT1_PKT2_SC_PT3_21rocsparse_index_base_b,"axG",@progbits,_ZN9rocsparseL22csrmvn_adaptive_kernelIll21rocsparse_complex_numIfES2_S2_S2_EEvbT_PKS3_PjPKT0_NS_24const_host_device_scalarIT4_EES5_S9_PKT1_PKT2_SC_PT3_21rocsparse_index_base_b,comdat
	.globl	_ZN9rocsparseL22csrmvn_adaptive_kernelIll21rocsparse_complex_numIfES2_S2_S2_EEvbT_PKS3_PjPKT0_NS_24const_host_device_scalarIT4_EES5_S9_PKT1_PKT2_SC_PT3_21rocsparse_index_base_b ; -- Begin function _ZN9rocsparseL22csrmvn_adaptive_kernelIll21rocsparse_complex_numIfES2_S2_S2_EEvbT_PKS3_PjPKT0_NS_24const_host_device_scalarIT4_EES5_S9_PKT1_PKT2_SC_PT3_21rocsparse_index_base_b
	.p2align	8
	.type	_ZN9rocsparseL22csrmvn_adaptive_kernelIll21rocsparse_complex_numIfES2_S2_S2_EEvbT_PKS3_PjPKT0_NS_24const_host_device_scalarIT4_EES5_S9_PKT1_PKT2_SC_PT3_21rocsparse_index_base_b,@function
_ZN9rocsparseL22csrmvn_adaptive_kernelIll21rocsparse_complex_numIfES2_S2_S2_EEvbT_PKS3_PjPKT0_NS_24const_host_device_scalarIT4_EES5_S9_PKT1_PKT2_SC_PT3_21rocsparse_index_base_b: ; @_ZN9rocsparseL22csrmvn_adaptive_kernelIll21rocsparse_complex_numIfES2_S2_S2_EEvbT_PKS3_PjPKT0_NS_24const_host_device_scalarIT4_EES5_S9_PKT1_PKT2_SC_PT3_21rocsparse_index_base_b
; %bb.0:
	s_load_dwordx2 s[4:5], s[0:1], 0x28
	s_load_dwordx2 s[44:45], s[0:1], 0x60
	s_add_u32 s3, s0, 40
	s_addc_u32 s8, s1, 0
	s_load_dwordx2 s[6:7], s[0:1], 0x50
	s_add_u32 s9, s0, 0x50
	s_addc_u32 s10, s1, 0
	s_waitcnt lgkmcnt(0)
	s_bitcmp1_b32 s45, 0
	s_cselect_b32 s3, s3, s4
	s_cselect_b32 s5, s8, s5
	v_mov_b32_e32 v2, s3
	s_cselect_b32 s3, s10, s7
	s_cselect_b32 s4, s9, s6
	v_mov_b32_e32 v3, s5
	v_mov_b32_e32 v4, s4
	;; [unrolled: 1-line block ×3, first 2 shown]
	flat_load_dwordx2 v[2:3], v[2:3]
	s_waitcnt vmcnt(0) lgkmcnt(0)
	v_cmp_neq_f32_e32 vcc, 0, v2
	flat_load_dwordx2 v[6:7], v[4:5]
	v_cmp_neq_f32_e64 s[6:7], 0, v3
	s_or_b64 s[6:7], vcc, s[6:7]
	s_waitcnt vmcnt(0) lgkmcnt(0)
	v_cmp_neq_f32_e64 s[8:9], 1.0, v6
	v_cmp_neq_f32_e64 s[4:5], 0, v7
	s_or_b64 s[8:9], s[8:9], s[4:5]
	s_or_b64 s[6:7], s[6:7], s[8:9]
	s_and_saveexec_b64 s[8:9], s[6:7]
	s_cbranch_execz .LBB29_112
; %bb.1:
	s_load_dwordx2 s[8:9], s[0:1], 0x20
	s_load_dword s3, s[0:1], 0x0
	s_load_dwordx2 s[6:7], s[0:1], 0x10
	s_waitcnt lgkmcnt(0)
	s_bitcmp1_b32 s3, 0
	s_cselect_b64 s[46:47], -1, 0
	s_ashr_i32 s3, s2, 31
	s_lshl_b64 s[10:11], s[2:3], 3
	s_add_u32 s6, s6, s10
	s_addc_u32 s7, s7, s11
	s_load_dwordx4 s[36:39], s[6:7], 0x0
	s_load_dwordx2 s[22:23], s[0:1], 0x58
	s_load_dwordx8 s[24:31], s[0:1], 0x30
	s_waitcnt lgkmcnt(0)
	s_sub_u32 s6, s38, s36
	s_subb_u32 s7, s39, s37
	s_add_u32 s8, s8, s10
	s_addc_u32 s9, s9, s11
	s_lshl_b64 s[48:49], s[36:37], 3
	s_add_u32 s42, s24, s48
	s_addc_u32 s43, s25, s49
	s_load_dwordx2 s[34:35], s[8:9], 0x0
	s_load_dwordx2 s[40:41], s[42:43], 0x0
	v_cmp_lt_i64_e64 s[10:11], s[6:7], 2
	s_mov_b64 s[8:9], -1
	s_and_b64 vcc, exec, s[10:11]
	s_cbranch_vccz .LBB29_68
; %bb.2:
	s_cmp_lg_u64 s[6:7], 1
	s_cselect_b64 s[6:7], -1, 0
	s_waitcnt lgkmcnt(0)
	s_cmp_lg_u64 s[34:35], 0
	s_cselect_b64 s[8:9], -1, 0
	s_or_b64 s[6:7], s[6:7], s[8:9]
	s_mov_b64 s[20:21], -1
	s_and_b64 vcc, exec, s[6:7]
	v_cmp_gt_u32_e64 s[6:7], 64, v0
	v_cmp_gt_u32_e64 s[8:9], 32, v0
	;; [unrolled: 1-line block ×6, first 2 shown]
	v_cmp_eq_u32_e64 s[18:19], 0, v0
	s_cbranch_vccnz .LBB29_30
; %bb.3:
	v_subrev_co_u32_e32 v4, vcc, s44, v0
	v_mov_b32_e32 v1, 0
	s_nop 0
	v_subb_co_u32_e64 v5, s[20:21], 0, 0, vcc
	v_cmp_neq_f32_e32 vcc, 0, v6
	s_or_b64 s[50:51], vcc, s[4:5]
	s_movk_i32 s20, 0x80
	s_add_u32 s52, s28, 4
	v_xor_b32_e32 v8, 0x80000000, v3
	v_lshlrev_b32_e32 v22, 3, v0
	v_cmp_gt_u32_e64 s[20:21], s20, v0
	v_xor_b32_e32 v10, 0x80000000, v7
	v_mov_b32_e32 v11, v6
	v_mov_b32_e32 v9, v2
	s_addc_u32 s53, s29, 0
	s_mov_b64 s[54:55], 0x100
	s_mov_b64 s[56:57], 0x800
	v_mov_b64_e32 v[12:13], s[38:39]
	s_mov_b64 s[58:59], s[36:37]
	s_branch .LBB29_6
.LBB29_4:                               ;   in Loop: Header=BB29_6 Depth=1
	s_or_b64 exec, exec, s[64:65]
	s_add_u32 s60, s22, s60
	s_addc_u32 s61, s23, s61
	s_waitcnt lgkmcnt(0)
	global_store_dwordx2 v1, v[14:15], s[60:61]
.LBB29_5:                               ;   in Loop: Header=BB29_6 Depth=1
	s_or_b64 exec, exec, s[62:63]
	s_add_u32 s58, s58, 1
	s_addc_u32 s59, s59, 0
	v_cmp_ge_i64_e32 vcc, s[58:59], v[12:13]
	s_cbranch_vccnz .LBB29_29
.LBB29_6:                               ; =>This Loop Header: Depth=1
                                        ;     Child Loop BB29_8 Depth 2
	s_lshl_b64 s[60:61], s[58:59], 3
	s_add_u32 s62, s24, s60
	s_addc_u32 s63, s25, s61
	s_load_dwordx4 s[68:71], s[62:63], 0x0
	v_mov_b32_e32 v15, 0
	v_mov_b32_e32 v14, 0
	s_waitcnt lgkmcnt(0)
	s_sub_u32 s64, s70, s44
	v_lshl_add_u64 v[16:17], s[68:69], 0, v[4:5]
	s_subb_u32 s65, s71, 0
	v_cmp_gt_i64_e32 vcc, s[64:65], v[16:17]
	s_and_saveexec_b64 s[62:63], vcc
	s_cbranch_execz .LBB29_10
; %bb.7:                                ;   in Loop: Header=BB29_6 Depth=1
	v_lshlrev_b64 v[14:15], 3, v[16:17]
	v_lshl_add_u64 v[18:19], s[52:53], 0, v[14:15]
	v_lshl_add_u64 v[20:21], s[26:27], 0, v[14:15]
	v_mov_b32_e32 v14, 0
	s_mov_b64 s[66:67], 0
	v_mov_b32_e32 v15, v14
.LBB29_8:                               ;   Parent Loop BB29_6 Depth=1
                                        ; =>  This Inner Loop Header: Depth=2
	global_load_dwordx2 v[24:25], v[20:21], off
	global_load_dwordx2 v[26:27], v[18:19], off offset:-4
	v_lshl_add_u64 v[16:17], v[16:17], 0, s[54:55]
	v_lshl_add_u64 v[18:19], v[18:19], 0, s[56:57]
	v_lshl_add_u64 v[20:21], v[20:21], 0, s[56:57]
	s_waitcnt vmcnt(1)
	v_subrev_co_u32_e32 v24, vcc, s44, v24
	s_nop 1
	v_subbrev_co_u32_e32 v25, vcc, 0, v25, vcc
	v_lshl_add_u64 v[24:25], v[24:25], 3, s[30:31]
	global_load_dwordx2 v[24:25], v[24:25], off
	s_waitcnt vmcnt(1)
	v_cndmask_b32_e64 v28, v27, -v27, s[46:47]
	v_pk_mul_f32 v[28:29], v[28:29], v[8:9] op_sel_hi:[0,1]
	v_pk_fma_f32 v[26:27], v[2:3], v[26:27], v[28:29] op_sel_hi:[1,0,1]
	v_cmp_le_i64_e32 vcc, s[64:65], v[16:17]
	v_xor_b32_e32 v28, 0x80000000, v27
	v_mov_b32_e32 v29, v26
	s_or_b64 s[66:67], vcc, s[66:67]
	s_waitcnt vmcnt(0)
	v_pk_fma_f32 v[14:15], v[26:27], v[24:25], v[14:15] op_sel_hi:[1,0,1]
	s_nop 0
	v_pk_fma_f32 v[14:15], v[28:29], v[24:25], v[14:15] op_sel:[0,1,0]
	s_andn2_b64 exec, exec, s[66:67]
	s_cbranch_execnz .LBB29_8
; %bb.9:                                ;   in Loop: Header=BB29_6 Depth=1
	s_or_b64 exec, exec, s[66:67]
.LBB29_10:                              ;   in Loop: Header=BB29_6 Depth=1
	s_or_b64 exec, exec, s[62:63]
	ds_write_b64 v22, v[14:15]
	s_waitcnt lgkmcnt(0)
	s_barrier
	s_and_saveexec_b64 s[62:63], s[20:21]
	s_cbranch_execz .LBB29_12
; %bb.11:                               ;   in Loop: Header=BB29_6 Depth=1
	ds_read2st64_b64 v[14:17], v22 offset1:2
	s_waitcnt lgkmcnt(0)
	v_pk_add_f32 v[14:15], v[16:17], v[14:15]
	ds_write_b64 v22, v[14:15]
.LBB29_12:                              ;   in Loop: Header=BB29_6 Depth=1
	s_or_b64 exec, exec, s[62:63]
	s_waitcnt lgkmcnt(0)
	s_barrier
	s_and_saveexec_b64 s[62:63], s[6:7]
	s_cbranch_execz .LBB29_14
; %bb.13:                               ;   in Loop: Header=BB29_6 Depth=1
	ds_read2st64_b64 v[14:17], v22 offset1:1
	s_waitcnt lgkmcnt(0)
	v_pk_add_f32 v[14:15], v[16:17], v[14:15]
	ds_write_b64 v22, v[14:15]
.LBB29_14:                              ;   in Loop: Header=BB29_6 Depth=1
	s_or_b64 exec, exec, s[62:63]
	s_waitcnt lgkmcnt(0)
	s_barrier
	s_and_saveexec_b64 s[62:63], s[8:9]
	s_cbranch_execz .LBB29_16
; %bb.15:                               ;   in Loop: Header=BB29_6 Depth=1
	ds_read2_b64 v[14:17], v22 offset1:32
	s_waitcnt lgkmcnt(0)
	v_pk_add_f32 v[14:15], v[16:17], v[14:15]
	ds_write_b64 v22, v[14:15]
.LBB29_16:                              ;   in Loop: Header=BB29_6 Depth=1
	s_or_b64 exec, exec, s[62:63]
	s_waitcnt lgkmcnt(0)
	s_barrier
	s_and_saveexec_b64 s[62:63], s[10:11]
	s_cbranch_execz .LBB29_18
; %bb.17:                               ;   in Loop: Header=BB29_6 Depth=1
	ds_read2_b64 v[14:17], v22 offset1:16
	s_waitcnt lgkmcnt(0)
	v_pk_add_f32 v[14:15], v[16:17], v[14:15]
	ds_write_b64 v22, v[14:15]
.LBB29_18:                              ;   in Loop: Header=BB29_6 Depth=1
	;; [unrolled: 11-line block ×6, first 2 shown]
	s_or_b64 exec, exec, s[62:63]
	s_waitcnt lgkmcnt(0)
	s_barrier
	s_and_saveexec_b64 s[62:63], s[18:19]
	s_cbranch_execz .LBB29_5
; %bb.27:                               ;   in Loop: Header=BB29_6 Depth=1
	ds_read_b64 v[14:15], v1
	s_and_saveexec_b64 s[64:65], s[50:51]
	s_cbranch_execz .LBB29_4
; %bb.28:                               ;   in Loop: Header=BB29_6 Depth=1
	s_add_u32 s66, s22, s60
	s_addc_u32 s67, s23, s61
	global_load_dwordx2 v[16:17], v1, s[66:67]
	s_waitcnt vmcnt(0) lgkmcnt(0)
	v_pk_fma_f32 v[14:15], v[6:7], v[16:17], v[14:15] op_sel_hi:[1,0,1]
	s_nop 0
	v_pk_fma_f32 v[14:15], v[10:11], v[16:17], v[14:15] op_sel:[0,1,0]
	s_branch .LBB29_4
.LBB29_29:
	s_mov_b64 s[20:21], 0
.LBB29_30:
	s_and_b64 vcc, exec, s[20:21]
	s_cbranch_vccz .LBB29_67
; %bb.31:
	s_load_dwordx2 s[8:9], s[0:1], 0x18
	s_sub_u32 s10, s2, s34
	s_subb_u32 s11, s3, s35
	s_lshl_b64 s[2:3], s[2:3], 2
	v_mov_b32_e32 v1, 0
	s_waitcnt lgkmcnt(0)
	s_add_u32 s6, s8, s2
	s_addc_u32 s7, s9, s3
	global_load_dword v16, v1, s[6:7]
	s_cmp_lg_u64 s[34:35], 0
	s_cselect_b64 s[12:13], -1, 0
	s_cmp_eq_u64 s[34:35], 0
	s_cselect_b64 s[2:3], -1, 0
	v_cmp_eq_u32_e32 vcc, 0, v0
	s_and_b64 s[2:3], vcc, s[2:3]
	v_mov_b32_e32 v4, v1
	v_mov_b32_e32 v5, v1
	s_and_saveexec_b64 s[14:15], s[2:3]
	s_cbranch_execz .LBB29_35
; %bb.32:
	s_add_u32 s2, s22, s48
	s_addc_u32 s3, s23, s49
	global_load_dwordx2 v[4:5], v1, s[2:3]
	s_mov_b64 s[16:17], exec
	v_mbcnt_lo_u32_b32 v12, s16, 0
	v_add_f32_e32 v11, -1.0, v6
	v_xor_b32_e32 v10, 0x80000000, v7
	v_mbcnt_hi_u32_b32 v12, s17, v12
	v_mov_b32_e32 v9, v7
	v_mov_b32_e32 v8, v11
	v_cmp_eq_u32_e64 s[2:3], 0, v12
	s_waitcnt vmcnt(0) expcnt(0) lgkmcnt(0)
	v_pk_mul_f32 v[10:11], v[4:5], v[10:11] op_sel:[1,0]
	s_and_saveexec_b64 s[18:19], s[2:3]
	s_cbranch_execz .LBB29_34
; %bb.33:
	s_lshl_b64 s[2:3], s[10:11], 2
	s_add_u32 s2, s8, s2
	s_addc_u32 s3, s9, s3
	s_bcnt1_i32_b64 s16, s[16:17]
	s_and_b32 s16, s16, 1
	v_mov_b32_e32 v12, 0
	v_mov_b32_e32 v13, s16
	global_atomic_xor v12, v13, s[2:3]
.LBB29_34:
	s_or_b64 exec, exec, s[18:19]
	v_pk_fma_f32 v[4:5], v[8:9], v[4:5], v[10:11] op_sel_hi:[1,0,1]
.LBB29_35:
	s_or_b64 exec, exec, s[14:15]
	s_mul_i32 s2, s35, 0xc00
	s_mul_hi_u32 s3, s34, 0xc00
	s_add_i32 s14, s3, s2
	s_load_dwordx2 s[2:3], s[42:43], 0x8
	s_sub_u32 s16, s40, s44
	s_mul_i32 s15, s34, 0xc00
	s_subb_u32 s17, s41, 0
	s_add_u32 s18, s16, s15
	s_addc_u32 s19, s17, s14
	s_waitcnt lgkmcnt(0)
	s_sub_u32 s16, s2, s44
	s_subb_u32 s17, s3, 0
	v_lshl_add_u64 v[8:9], s[18:19], 0, v[0:1]
	v_cmp_gt_i64_e64 s[2:3], s[16:17], v[8:9]
	s_and_saveexec_b64 s[14:15], s[2:3]
	s_cbranch_execz .LBB29_39
; %bb.36:
	s_add_u32 s18, s18, 0xc00
	s_addc_u32 s19, s19, 0
	v_mov_b64_e32 v[10:11], s[16:17]
	v_cmp_lt_i64_e64 s[2:3], s[18:19], v[10:11]
	v_lshlrev_b64 v[14:15], 3, v[8:9]
	s_and_b64 s[2:3], s[2:3], exec
	v_lshl_add_u64 v[12:13], s[28:29], 0, v[14:15]
	s_cselect_b32 s17, s19, s17
	s_cselect_b32 s16, s18, s16
	v_xor_b32_e32 v10, 0x80000000, v3
	v_mov_b32_e32 v11, v2
	v_lshl_add_u64 v[12:13], v[12:13], 0, 4
	v_lshl_add_u64 v[14:15], s[26:27], 0, v[14:15]
	s_mov_b64 s[18:19], 0
	s_mov_b64 s[20:21], 0x100
	;; [unrolled: 1-line block ×3, first 2 shown]
.LBB29_37:                              ; =>This Inner Loop Header: Depth=1
	global_load_dwordx2 v[18:19], v[14:15], off
	global_load_dwordx2 v[20:21], v[12:13], off offset:-4
	v_lshl_add_u64 v[8:9], v[8:9], 0, s[20:21]
	v_lshl_add_u64 v[12:13], v[12:13], 0, s[50:51]
	;; [unrolled: 1-line block ×3, first 2 shown]
	s_waitcnt vmcnt(1)
	v_subrev_co_u32_e64 v18, s[2:3], s44, v18
	s_nop 1
	v_subbrev_co_u32_e64 v19, s[2:3], 0, v19, s[2:3]
	v_lshl_add_u64 v[18:19], v[18:19], 3, s[30:31]
	global_load_dwordx2 v[18:19], v[18:19], off
	s_waitcnt vmcnt(1)
	v_cndmask_b32_e64 v22, v21, -v21, s[46:47]
	v_pk_mul_f32 v[22:23], v[22:23], v[10:11] op_sel_hi:[0,1]
	v_pk_fma_f32 v[20:21], v[2:3], v[20:21], v[22:23] op_sel_hi:[1,0,1]
	v_cmp_le_i64_e64 s[2:3], s[16:17], v[8:9]
	v_xor_b32_e32 v22, 0x80000000, v21
	v_mov_b32_e32 v23, v20
	s_or_b64 s[18:19], s[2:3], s[18:19]
	s_waitcnt vmcnt(0)
	v_pk_fma_f32 v[4:5], v[20:21], v[18:19], v[4:5] op_sel_hi:[1,0,1]
	s_nop 0
	v_pk_fma_f32 v[4:5], v[22:23], v[18:19], v[4:5] op_sel:[0,1,0]
	s_andn2_b64 exec, exec, s[18:19]
	s_cbranch_execnz .LBB29_37
; %bb.38:
	s_or_b64 exec, exec, s[18:19]
.LBB29_39:
	s_or_b64 exec, exec, s[14:15]
	s_movk_i32 s2, 0x80
	v_lshlrev_b32_e32 v1, 3, v0
	v_cmp_gt_u32_e64 s[2:3], s2, v0
	ds_write_b64 v1, v[4:5]
	s_waitcnt lgkmcnt(0)
	s_barrier
	s_and_saveexec_b64 s[14:15], s[2:3]
	s_cbranch_execz .LBB29_41
; %bb.40:
	ds_read2st64_b64 v[8:11], v1 offset1:2
	s_waitcnt lgkmcnt(0)
	v_pk_add_f32 v[4:5], v[10:11], v[8:9]
	ds_write_b64 v1, v[4:5]
.LBB29_41:
	s_or_b64 exec, exec, s[14:15]
	v_cmp_gt_u32_e64 s[2:3], 64, v0
	s_waitcnt lgkmcnt(0)
	s_barrier
	s_and_saveexec_b64 s[14:15], s[2:3]
	s_cbranch_execz .LBB29_43
; %bb.42:
	ds_read2st64_b64 v[8:11], v1 offset1:1
	s_waitcnt lgkmcnt(0)
	v_pk_add_f32 v[4:5], v[10:11], v[8:9]
	ds_write_b64 v1, v[4:5]
.LBB29_43:
	s_or_b64 exec, exec, s[14:15]
	v_cmp_gt_u32_e64 s[2:3], 32, v0
	s_waitcnt lgkmcnt(0)
	s_barrier
	s_and_saveexec_b64 s[14:15], s[2:3]
	s_cbranch_execz .LBB29_45
; %bb.44:
	ds_read2_b64 v[8:11], v1 offset1:32
	s_waitcnt lgkmcnt(0)
	v_pk_add_f32 v[4:5], v[10:11], v[8:9]
	ds_write_b64 v1, v[4:5]
.LBB29_45:
	s_or_b64 exec, exec, s[14:15]
	v_cmp_gt_u32_e64 s[2:3], 16, v0
	s_waitcnt lgkmcnt(0)
	s_barrier
	s_and_saveexec_b64 s[14:15], s[2:3]
	s_cbranch_execz .LBB29_47
; %bb.46:
	ds_read2_b64 v[8:11], v1 offset1:16
	s_waitcnt lgkmcnt(0)
	v_pk_add_f32 v[4:5], v[10:11], v[8:9]
	ds_write_b64 v1, v[4:5]
.LBB29_47:
	;; [unrolled: 12-line block ×5, first 2 shown]
	s_or_b64 exec, exec, s[14:15]
	s_waitcnt lgkmcnt(0)
	s_barrier
	s_and_saveexec_b64 s[2:3], vcc
	s_cbranch_execz .LBB29_55
; %bb.54:
	v_mov_b32_e32 v1, 0
	ds_read2_b64 v[8:11], v1 offset1:1
	s_waitcnt lgkmcnt(0)
	v_pk_add_f32 v[4:5], v[10:11], v[8:9]
	ds_write_b64 v1, v[4:5]
.LBB29_55:
	s_or_b64 exec, exec, s[2:3]
	s_waitcnt lgkmcnt(0)
	s_barrier
	s_and_saveexec_b64 s[2:3], vcc
	s_cbranch_execz .LBB29_66
; %bb.56:
	s_andn2_b64 vcc, exec, s[12:13]
	s_cbranch_vccnz .LBB29_62
; %bb.57:
	s_lshl_b64 s[10:11], s[10:11], 2
	s_add_u32 s8, s8, s10
	s_addc_u32 s9, s9, s11
	v_mov_b32_e32 v1, 0
	s_branch .LBB29_59
.LBB29_58:                              ;   in Loop: Header=BB29_59 Depth=1
	s_or_b64 exec, exec, s[10:11]
	s_waitcnt vmcnt(0)
	v_readfirstlane_b32 s10, v4
	s_nop 1
	v_cmp_eq_u32_e32 vcc, s10, v16
	s_cbranch_vccz .LBB29_61
.LBB29_59:                              ; =>This Inner Loop Header: Depth=1
	v_mbcnt_lo_u32_b32 v4, exec_lo, 0
	v_mbcnt_hi_u32_b32 v4, exec_hi, v4
	v_cmp_eq_u32_e32 vcc, 0, v4
                                        ; implicit-def: $vgpr4
	s_and_saveexec_b64 s[10:11], vcc
	s_cbranch_execz .LBB29_58
; %bb.60:                               ;   in Loop: Header=BB29_59 Depth=1
	global_load_dword v4, v1, s[8:9] sc1
	s_branch .LBB29_58
.LBB29_61:
	v_mov_b32_e32 v1, 0
	global_load_ushort v4, v1, s[6:7]
	s_waitcnt vmcnt(0)
	v_xor_b32_e32 v4, 1, v4
	global_store_short v1, v4, s[6:7]
.LBB29_62:
	v_mov_b32_e32 v1, 0
	ds_read_b64 v[4:5], v1
	s_mov_b64 s[8:9], exec
	v_mbcnt_lo_u32_b32 v8, s8, 0
	s_add_u32 s6, s22, s48
	v_mbcnt_hi_u32_b32 v8, s9, v8
	s_addc_u32 s7, s23, s49
	v_cmp_eq_u32_e32 vcc, 0, v8
	s_and_saveexec_b64 s[10:11], vcc
	s_cbranch_execz .LBB29_64
; %bb.63:
	s_bcnt1_i32_b64 s8, s[8:9]
	v_cvt_f32_ubyte0_e32 v8, s8
	s_waitcnt lgkmcnt(0)
	v_mul_f32_e32 v4, v4, v8
	global_atomic_add_f32 v1, v4, s[6:7]
.LBB29_64:
	s_or_b64 exec, exec, s[10:11]
	s_mov_b64 s[8:9], exec
	v_mbcnt_lo_u32_b32 v1, s8, 0
	v_mbcnt_hi_u32_b32 v1, s9, v1
	v_cmp_eq_u32_e32 vcc, 0, v1
	s_and_b64 s[10:11], exec, vcc
	s_mov_b64 exec, s[10:11]
	s_cbranch_execz .LBB29_66
; %bb.65:
	s_bcnt1_i32_b64 s8, s[8:9]
	v_cvt_f32_ubyte0_e32 v1, s8
	s_waitcnt lgkmcnt(0)
	v_mul_f32_e32 v1, v5, v1
	v_mov_b32_e32 v4, 0
	global_atomic_add_f32 v4, v1, s[6:7] offset:4
.LBB29_66:
	s_or_b64 exec, exec, s[2:3]
.LBB29_67:
	s_mov_b64 s[8:9], 0
.LBB29_68:
	s_andn2_b64 vcc, exec, s[8:9]
	s_cbranch_vccnz .LBB29_112
; %bb.69:
	s_load_dwordx2 s[0:1], s[0:1], 0x8
	s_waitcnt lgkmcnt(0)
	v_subrev_co_u32_e32 v4, vcc, s44, v0
	v_mov_b32_e32 v1, 0
	s_nop 0
	v_subb_co_u32_e64 v5, s[2:3], 0, 0, vcc
	v_lshl_add_u64 v[4:5], s[40:41], 0, v[4:5]
	s_mov_b64 s[2:3], 0x300
	v_lshl_add_u64 v[8:9], v[4:5], 0, s[2:3]
	v_cmp_le_i64_e32 vcc, s[0:1], v[8:9]
	s_waitcnt vmcnt(0)
	v_lshlrev_b32_e32 v16, 3, v0
	s_and_saveexec_b64 s[0:1], vcc
	s_xor_b64 s[0:1], exec, s[0:1]
	s_cbranch_execz .LBB29_74
; %bb.70:
	s_lshl_b64 s[2:3], s[38:39], 3
	s_add_u32 s2, s24, s2
	s_addc_u32 s3, s25, s3
	s_load_dwordx2 s[2:3], s[2:3], 0x0
	s_waitcnt lgkmcnt(0)
	s_sub_u32 s2, s2, s44
	s_subb_u32 s3, s3, 0
	v_cmp_gt_i64_e32 vcc, s[2:3], v[4:5]
	s_and_saveexec_b64 s[6:7], vcc
	s_cbranch_execz .LBB29_73
; %bb.71:
	v_lshlrev_b64 v[12:13], 3, v[4:5]
	v_lshl_add_u64 v[10:11], s[26:27], 0, v[12:13]
	v_lshl_add_u64 v[12:13], s[28:29], 0, v[12:13]
	v_xor_b32_e32 v8, 0x80000000, v3
	v_mov_b32_e32 v9, v2
	v_lshl_add_u64 v[12:13], v[12:13], 0, 4
	s_mov_b64 s[8:9], 0
	s_mov_b64 s[10:11], 0x100
	;; [unrolled: 1-line block ×3, first 2 shown]
	v_mov_b32_e32 v14, v16
.LBB29_72:                              ; =>This Inner Loop Header: Depth=1
	global_load_dwordx2 v[18:19], v[10:11], off
	global_load_dwordx2 v[20:21], v[12:13], off offset:-4
	v_lshl_add_u64 v[4:5], v[4:5], 0, s[10:11]
	v_lshl_add_u64 v[10:11], v[10:11], 0, s[12:13]
	v_lshl_add_u64 v[12:13], v[12:13], 0, s[12:13]
	s_waitcnt vmcnt(1)
	v_subrev_co_u32_e32 v18, vcc, s44, v18
	s_nop 1
	v_subbrev_co_u32_e32 v19, vcc, 0, v19, vcc
	v_lshl_add_u64 v[18:19], v[18:19], 3, s[30:31]
	global_load_dwordx2 v[18:19], v[18:19], off
	s_waitcnt vmcnt(1)
	v_cndmask_b32_e64 v22, v21, -v21, s[46:47]
	v_pk_mul_f32 v[22:23], v[22:23], v[8:9] op_sel_hi:[0,1]
	v_pk_fma_f32 v[20:21], v[2:3], v[20:21], v[22:23] op_sel_hi:[1,0,1]
	v_cmp_le_i64_e32 vcc, s[2:3], v[4:5]
	v_xor_b32_e32 v22, 0x80000000, v21
	v_mov_b32_e32 v23, v20
	s_or_b64 s[8:9], vcc, s[8:9]
	s_waitcnt vmcnt(0)
	v_pk_mul_f32 v[22:23], v[18:19], v[22:23] op_sel:[1,0]
	s_nop 0
	v_pk_fma_f32 v[18:19], v[20:21], v[18:19], v[22:23] op_sel_hi:[1,0,1]
	ds_write_b64 v14, v[18:19]
	v_add_u32_e32 v14, 0x800, v14
	s_andn2_b64 exec, exec, s[8:9]
	s_cbranch_execnz .LBB29_72
.LBB29_73:
	s_or_b64 exec, exec, s[6:7]
                                        ; implicit-def: $vgpr2_vgpr3
                                        ; implicit-def: $vgpr4_vgpr5
.LBB29_74:
	s_andn2_saveexec_b64 s[0:1], s[0:1]
	s_cbranch_execz .LBB29_76
; %bb.75:
	v_lshlrev_b64 v[4:5], 3, v[4:5]
	v_lshl_add_u64 v[8:9], s[26:27], 0, v[4:5]
	global_load_dwordx2 v[10:11], v[8:9], off
	global_load_dwordx2 v[12:13], v[8:9], off offset:2048
	s_movk_i32 s2, 0x1000
	v_add_co_u32_e32 v8, vcc, s2, v8
	v_lshl_add_u64 v[4:5], s[28:29], 0, v[4:5]
	s_nop 0
	v_addc_co_u32_e32 v9, vcc, 0, v9, vcc
	global_load_dwordx2 v[14:15], v[8:9], off
	global_load_dwordx2 v[18:19], v[8:9], off offset:2048
	s_nop 0
	global_load_dwordx2 v[8:9], v[4:5], off
	global_load_dwordx2 v[20:21], v[4:5], off offset:2048
	v_add_co_u32_e32 v4, vcc, s2, v4
	s_waitcnt vmcnt(0)
	v_cndmask_b32_e64 v28, v21, -v21, s[46:47]
	v_addc_co_u32_e32 v5, vcc, 0, v5, vcc
	global_load_dwordx2 v[22:23], v[4:5], off
	global_load_dwordx2 v[24:25], v[4:5], off offset:2048
	v_subrev_co_u32_e32 v4, vcc, s44, v10
	s_waitcnt vmcnt(1)
	v_cndmask_b32_e64 v30, v23, -v23, s[46:47]
	v_subbrev_co_u32_e32 v5, vcc, 0, v11, vcc
	v_subrev_co_u32_e32 v10, vcc, s44, v12
	v_lshl_add_u64 v[4:5], v[4:5], 3, s[30:31]
	s_nop 0
	v_subbrev_co_u32_e32 v11, vcc, 0, v13, vcc
	v_subrev_co_u32_e32 v12, vcc, s44, v14
	v_lshl_add_u64 v[10:11], v[10:11], 3, s[30:31]
	s_nop 0
	v_subbrev_co_u32_e32 v13, vcc, 0, v15, vcc
	v_subrev_co_u32_e32 v14, vcc, s44, v18
	s_waitcnt vmcnt(0)
	v_cndmask_b32_e64 v32, v25, -v25, s[46:47]
	v_subbrev_co_u32_e32 v15, vcc, 0, v19, vcc
	global_load_dwordx2 v[18:19], v[4:5], off
	global_load_dwordx2 v[26:27], v[10:11], off
	v_lshl_add_u64 v[4:5], v[12:13], 3, s[30:31]
	v_lshl_add_u64 v[10:11], v[14:15], 3, s[30:31]
	global_load_dwordx2 v[12:13], v[4:5], off
	global_load_dwordx2 v[14:15], v[10:11], off
	v_xor_b32_e32 v4, 0x80000000, v3
	v_mov_b32_e32 v5, v2
	v_cndmask_b32_e64 v10, v9, -v9, s[46:47]
	v_pk_mul_f32 v[10:11], v[10:11], v[4:5] op_sel_hi:[0,1]
	v_pk_mul_f32 v[28:29], v[28:29], v[4:5] op_sel_hi:[0,1]
	v_pk_fma_f32 v[8:9], v[2:3], v[8:9], v[10:11] op_sel_hi:[1,0,1]
	v_pk_fma_f32 v[10:11], v[2:3], v[20:21], v[28:29] op_sel_hi:[1,0,1]
	v_pk_mul_f32 v[20:21], v[30:31], v[4:5] op_sel_hi:[0,1]
	v_pk_mul_f32 v[4:5], v[32:33], v[4:5] op_sel_hi:[0,1]
	v_xor_b32_e32 v28, 0x80000000, v9
	v_mov_b32_e32 v29, v8
	v_pk_fma_f32 v[20:21], v[2:3], v[22:23], v[20:21] op_sel_hi:[1,0,1]
	v_pk_fma_f32 v[2:3], v[2:3], v[24:25], v[4:5] op_sel_hi:[1,0,1]
	v_xor_b32_e32 v30, 0x80000000, v11
	v_mov_b32_e32 v31, v10
	v_xor_b32_e32 v4, 0x80000000, v21
	v_mov_b32_e32 v5, v20
	;; [unrolled: 2-line block ×3, first 2 shown]
	s_waitcnt vmcnt(3)
	v_pk_mul_f32 v[24:25], v[18:19], v[28:29] op_sel:[1,0]
	s_waitcnt vmcnt(2)
	v_pk_mul_f32 v[28:29], v[26:27], v[30:31] op_sel:[1,0]
	v_pk_fma_f32 v[8:9], v[8:9], v[18:19], v[24:25] op_sel_hi:[1,0,1]
	s_waitcnt vmcnt(1)
	v_pk_mul_f32 v[4:5], v[12:13], v[4:5] op_sel:[1,0]
	s_waitcnt vmcnt(0)
	v_pk_mul_f32 v[18:19], v[14:15], v[22:23] op_sel:[1,0]
	v_pk_fma_f32 v[10:11], v[10:11], v[26:27], v[28:29] op_sel_hi:[1,0,1]
	v_pk_fma_f32 v[4:5], v[20:21], v[12:13], v[4:5] op_sel_hi:[1,0,1]
	;; [unrolled: 1-line block ×3, first 2 shown]
	ds_write2st64_b64 v16, v[8:9], v[10:11] offset1:4
	ds_write2st64_b64 v16, v[4:5], v[2:3] offset0:8 offset1:12
.LBB29_76:
	s_or_b64 exec, exec, s[0:1]
	v_cmp_lt_i64_e64 s[2:3], s[34:35], 2
	s_mov_b64 s[0:1], -1
	s_and_b64 vcc, exec, s[2:3]
	s_waitcnt lgkmcnt(0)
	s_barrier
	s_cbranch_vccz .LBB29_87
; %bb.77:
	v_lshl_add_u64 v[8:9], s[36:37], 0, v[0:1]
	v_cmp_gt_i64_e32 vcc, s[38:39], v[8:9]
	s_and_saveexec_b64 s[0:1], vcc
	s_cbranch_execz .LBB29_86
; %bb.78:
	v_cmp_neq_f32_e32 vcc, 0, v6
	s_lshl_b32 s6, s40, 3
	s_or_b64 s[2:3], vcc, s[4:5]
	v_xor_b32_e32 v10, 0x80000000, v7
	v_mov_b32_e32 v11, v6
	s_sub_i32 s14, 0, s6
	s_mov_b64 s[6:7], 0
	v_mov_b32_e32 v18, 0
	s_mov_b64 s[8:9], 0x100
	s_branch .LBB29_80
.LBB29_79:                              ;   in Loop: Header=BB29_80 Depth=1
	s_or_b64 exec, exec, s[10:11]
	v_lshl_add_u64 v[8:9], v[8:9], 0, s[8:9]
	v_cmp_le_i64_e32 vcc, s[38:39], v[8:9]
	s_or_b64 s[6:7], vcc, s[6:7]
	global_store_dwordx2 v[2:3], v[12:13], off
	s_andn2_b64 exec, exec, s[6:7]
	s_cbranch_execz .LBB29_86
.LBB29_80:                              ; =>This Loop Header: Depth=1
                                        ;     Child Loop BB29_82 Depth 2
	v_lshl_add_u64 v[2:3], v[8:9], 3, s[24:25]
	global_load_dwordx4 v[2:5], v[2:3], off
	v_mov_b32_e32 v19, v18
	v_mov_b64_e32 v[12:13], v[18:19]
	s_waitcnt vmcnt(0)
	v_cmp_lt_i64_e32 vcc, v[2:3], v[4:5]
	s_and_saveexec_b64 s[10:11], vcc
	s_cbranch_execz .LBB29_84
; %bb.81:                               ;   in Loop: Header=BB29_80 Depth=1
	v_mov_b32_e32 v1, s41
	v_subrev_co_u32_e32 v4, vcc, s40, v4
	v_mov_b32_e32 v12, 0
	s_nop 0
	v_subb_co_u32_e32 v5, vcc, v5, v1, vcc
	v_subrev_co_u32_e32 v14, vcc, s40, v2
	s_mov_b64 s[12:13], 0
	s_nop 0
	v_subb_co_u32_e32 v15, vcc, v3, v1, vcc
	v_lshl_add_u32 v1, v2, 3, s14
	v_mov_b32_e32 v13, v12
.LBB29_82:                              ;   Parent Loop BB29_80 Depth=1
                                        ; =>  This Inner Loop Header: Depth=2
	ds_read_b64 v[2:3], v1
	v_lshl_add_u64 v[14:15], v[14:15], 0, 1
	v_cmp_ge_i64_e32 vcc, v[14:15], v[4:5]
	v_add_u32_e32 v1, 8, v1
	s_or_b64 s[12:13], vcc, s[12:13]
	s_waitcnt lgkmcnt(0)
	v_pk_add_f32 v[12:13], v[12:13], v[2:3]
	s_andn2_b64 exec, exec, s[12:13]
	s_cbranch_execnz .LBB29_82
; %bb.83:                               ;   in Loop: Header=BB29_80 Depth=1
	s_or_b64 exec, exec, s[12:13]
.LBB29_84:                              ;   in Loop: Header=BB29_80 Depth=1
	s_or_b64 exec, exec, s[10:11]
	v_lshl_add_u64 v[2:3], v[8:9], 3, s[22:23]
	s_and_saveexec_b64 s[10:11], s[2:3]
	s_cbranch_execz .LBB29_79
; %bb.85:                               ;   in Loop: Header=BB29_80 Depth=1
	global_load_dwordx2 v[4:5], v[2:3], off
	s_waitcnt vmcnt(0)
	v_pk_fma_f32 v[12:13], v[6:7], v[4:5], v[12:13] op_sel_hi:[1,0,1]
	s_nop 0
	v_pk_fma_f32 v[12:13], v[10:11], v[4:5], v[12:13] op_sel:[0,1,0]
	s_branch .LBB29_79
.LBB29_86:
	s_or_b64 exec, exec, s[0:1]
	s_mov_b64 s[0:1], 0
.LBB29_87:
	s_andn2_b64 vcc, exec, s[0:1]
	s_cbranch_vccnz .LBB29_112
; %bb.88:
	s_flbit_i32_b32 s0, s34
	s_min_u32 s0, s0, 32
	s_sub_i32 s0, 31, s0
	v_lshrrev_b32_e32 v8, s0, v0
	v_mov_b32_e32 v9, 0
	v_lshl_add_u64 v[2:3], s[36:37], 0, v[8:9]
	s_add_i32 s0, s34, -1
	v_and_b32_e32 v0, s0, v0
	v_mov_b32_e32 v1, v9
	v_cmp_le_i64_e64 s[0:1], s[38:39], v[2:3]
	v_cmp_gt_i64_e32 vcc, s[38:39], v[2:3]
	v_mov_b32_e32 v4, v9
	v_mov_b32_e32 v5, v9
	s_and_saveexec_b64 s[2:3], vcc
	s_cbranch_execz .LBB29_94
; %bb.89:
	v_lshlrev_b32_e32 v4, 3, v8
	global_load_dwordx4 v[10:13], v4, s[42:43]
	v_mov_b32_e32 v4, s41
	v_subrev_co_u32_e32 v14, vcc, s40, v0
	v_mov_b32_e32 v5, s41
	s_nop 0
	v_subb_co_u32_e32 v15, vcc, 0, v4, vcc
	v_mov_b32_e32 v8, v9
	s_waitcnt vmcnt(0)
	v_subrev_co_u32_e32 v4, vcc, s40, v12
	s_nop 1
	v_subb_co_u32_e32 v5, vcc, v13, v5, vcc
	v_lshl_add_u64 v[10:11], v[10:11], 0, v[14:15]
	v_cmp_lt_i64_e32 vcc, v[10:11], v[4:5]
	s_and_saveexec_b64 s[6:7], vcc
	s_cbranch_execz .LBB29_93
; %bb.90:
	v_mov_b32_e32 v8, 0
	v_lshlrev_b32_e32 v12, 3, v10
	s_lshl_b32 s10, s34, 3
	s_mov_b64 s[8:9], 0
	v_mov_b32_e32 v9, v8
.LBB29_91:                              ; =>This Inner Loop Header: Depth=1
	ds_read_b64 v[14:15], v12
	v_lshl_add_u64 v[10:11], v[10:11], 0, s[34:35]
	v_cmp_ge_i64_e32 vcc, v[10:11], v[4:5]
	v_add_u32_e32 v12, s10, v12
	s_or_b64 s[8:9], vcc, s[8:9]
	s_waitcnt lgkmcnt(0)
	v_pk_add_f32 v[8:9], v[8:9], v[14:15]
	s_andn2_b64 exec, exec, s[8:9]
	s_cbranch_execnz .LBB29_91
; %bb.92:
	s_or_b64 exec, exec, s[8:9]
.LBB29_93:
	s_or_b64 exec, exec, s[6:7]
	v_mov_b64_e32 v[4:5], v[8:9]
.LBB29_94:
	s_or_b64 exec, exec, s[2:3]
	v_mov_b64_e32 v[8:9], 0x81
	v_cmp_lt_u64_e32 vcc, s[34:35], v[8:9]
	s_and_b64 vcc, exec, vcc
	s_barrier
	ds_write_b64 v16, v[4:5]
	s_waitcnt lgkmcnt(0)
	s_barrier
	s_cbranch_vccnz .LBB29_96
; %bb.95:
	ds_read_b64 v[8:9], v16 offset:1024
	s_waitcnt lgkmcnt(0)
	s_barrier
	v_pk_add_f32 v[4:5], v[4:5], v[8:9]
	ds_write_b64 v16, v[4:5]
.LBB29_96:
	v_mov_b64_e32 v[8:9], 0x41
	v_cmp_lt_u64_e32 vcc, s[34:35], v[8:9]
	s_waitcnt lgkmcnt(0)
	s_barrier
	s_cbranch_vccnz .LBB29_98
; %bb.97:
	ds_read_b64 v[8:9], v16 offset:512
	s_waitcnt lgkmcnt(0)
	s_barrier
	v_pk_add_f32 v[4:5], v[4:5], v[8:9]
	ds_write_b64 v16, v[4:5]
.LBB29_98:
	v_cmp_lt_u64_e64 s[2:3], s[34:35], 33
	s_and_b64 vcc, exec, s[2:3]
	s_waitcnt lgkmcnt(0)
	s_barrier
	s_cbranch_vccnz .LBB29_100
; %bb.99:
	ds_read_b64 v[8:9], v16 offset:256
	s_waitcnt lgkmcnt(0)
	s_barrier
	v_pk_add_f32 v[4:5], v[4:5], v[8:9]
	ds_write_b64 v16, v[4:5]
.LBB29_100:
	v_cmp_lt_u64_e64 s[2:3], s[34:35], 17
	s_and_b64 vcc, exec, s[2:3]
	s_waitcnt lgkmcnt(0)
	s_barrier
	s_cbranch_vccnz .LBB29_102
; %bb.101:
	ds_read_b64 v[8:9], v16 offset:128
	s_waitcnt lgkmcnt(0)
	s_barrier
	v_pk_add_f32 v[4:5], v[4:5], v[8:9]
	ds_write_b64 v16, v[4:5]
.LBB29_102:
	v_cmp_lt_u64_e64 s[2:3], s[34:35], 9
	s_and_b64 vcc, exec, s[2:3]
	s_waitcnt lgkmcnt(0)
	s_barrier
	s_cbranch_vccnz .LBB29_104
; %bb.103:
	ds_read_b64 v[8:9], v16 offset:64
	s_waitcnt lgkmcnt(0)
	s_barrier
	v_pk_add_f32 v[4:5], v[4:5], v[8:9]
	ds_write_b64 v16, v[4:5]
.LBB29_104:
	v_cmp_lt_u64_e64 s[2:3], s[34:35], 5
	s_and_b64 vcc, exec, s[2:3]
	s_waitcnt lgkmcnt(0)
	s_barrier
	s_cbranch_vccnz .LBB29_106
; %bb.105:
	ds_read_b64 v[8:9], v16 offset:32
	s_waitcnt lgkmcnt(0)
	s_barrier
	v_pk_add_f32 v[4:5], v[4:5], v[8:9]
	ds_write_b64 v16, v[4:5]
.LBB29_106:
	s_cmp_eq_u64 s[34:35], 2
	s_waitcnt lgkmcnt(0)
	s_barrier
	s_cbranch_scc1 .LBB29_108
; %bb.107:
	ds_read_b64 v[8:9], v16 offset:16
	s_waitcnt lgkmcnt(0)
	s_barrier
	v_pk_add_f32 v[4:5], v[4:5], v[8:9]
	ds_write_b64 v16, v[4:5]
.LBB29_108:
	s_waitcnt lgkmcnt(0)
	s_barrier
	ds_read_b64 v[8:9], v16 offset:8
	v_cmp_eq_u64_e32 vcc, 0, v[0:1]
	s_xor_b64 s[0:1], s[0:1], -1
	s_and_b64 s[0:1], vcc, s[0:1]
	s_waitcnt lgkmcnt(0)
	v_pk_add_f32 v[4:5], v[4:5], v[8:9]
	s_barrier
	ds_write_b64 v16, v[4:5]
	s_and_b64 exec, exec, s[0:1]
	s_cbranch_execz .LBB29_112
; %bb.109:
	v_cmp_neq_f32_e32 vcc, 0, v6
	s_or_b64 s[2:3], vcc, s[4:5]
	v_lshl_add_u64 v[0:1], v[2:3], 3, s[22:23]
	s_and_saveexec_b64 s[0:1], s[2:3]
	s_cbranch_execz .LBB29_111
; %bb.110:
	global_load_dwordx2 v[2:3], v[0:1], off
	v_xor_b32_e32 v8, 0x80000000, v7
	v_mov_b32_e32 v9, v6
	s_waitcnt vmcnt(0)
	v_pk_fma_f32 v[4:5], v[6:7], v[2:3], v[4:5] op_sel_hi:[1,0,1]
	s_nop 0
	v_pk_fma_f32 v[4:5], v[8:9], v[2:3], v[4:5] op_sel:[0,1,0]
.LBB29_111:
	s_or_b64 exec, exec, s[0:1]
	global_store_dwordx2 v[0:1], v[4:5], off
.LBB29_112:
	s_endpgm
	.section	.rodata,"a",@progbits
	.p2align	6, 0x0
	.amdhsa_kernel _ZN9rocsparseL22csrmvn_adaptive_kernelIll21rocsparse_complex_numIfES2_S2_S2_EEvbT_PKS3_PjPKT0_NS_24const_host_device_scalarIT4_EES5_S9_PKT1_PKT2_SC_PT3_21rocsparse_index_base_b
		.amdhsa_group_segment_fixed_size 8192
		.amdhsa_private_segment_fixed_size 0
		.amdhsa_kernarg_size 104
		.amdhsa_user_sgpr_count 2
		.amdhsa_user_sgpr_dispatch_ptr 0
		.amdhsa_user_sgpr_queue_ptr 0
		.amdhsa_user_sgpr_kernarg_segment_ptr 1
		.amdhsa_user_sgpr_dispatch_id 0
		.amdhsa_user_sgpr_kernarg_preload_length 0
		.amdhsa_user_sgpr_kernarg_preload_offset 0
		.amdhsa_user_sgpr_private_segment_size 0
		.amdhsa_uses_dynamic_stack 0
		.amdhsa_enable_private_segment 0
		.amdhsa_system_sgpr_workgroup_id_x 1
		.amdhsa_system_sgpr_workgroup_id_y 0
		.amdhsa_system_sgpr_workgroup_id_z 0
		.amdhsa_system_sgpr_workgroup_info 0
		.amdhsa_system_vgpr_workitem_id 0
		.amdhsa_next_free_vgpr 34
		.amdhsa_next_free_sgpr 72
		.amdhsa_accum_offset 36
		.amdhsa_reserve_vcc 1
		.amdhsa_float_round_mode_32 0
		.amdhsa_float_round_mode_16_64 0
		.amdhsa_float_denorm_mode_32 3
		.amdhsa_float_denorm_mode_16_64 3
		.amdhsa_dx10_clamp 1
		.amdhsa_ieee_mode 1
		.amdhsa_fp16_overflow 0
		.amdhsa_tg_split 0
		.amdhsa_exception_fp_ieee_invalid_op 0
		.amdhsa_exception_fp_denorm_src 0
		.amdhsa_exception_fp_ieee_div_zero 0
		.amdhsa_exception_fp_ieee_overflow 0
		.amdhsa_exception_fp_ieee_underflow 0
		.amdhsa_exception_fp_ieee_inexact 0
		.amdhsa_exception_int_div_zero 0
	.end_amdhsa_kernel
	.section	.text._ZN9rocsparseL22csrmvn_adaptive_kernelIll21rocsparse_complex_numIfES2_S2_S2_EEvbT_PKS3_PjPKT0_NS_24const_host_device_scalarIT4_EES5_S9_PKT1_PKT2_SC_PT3_21rocsparse_index_base_b,"axG",@progbits,_ZN9rocsparseL22csrmvn_adaptive_kernelIll21rocsparse_complex_numIfES2_S2_S2_EEvbT_PKS3_PjPKT0_NS_24const_host_device_scalarIT4_EES5_S9_PKT1_PKT2_SC_PT3_21rocsparse_index_base_b,comdat
.Lfunc_end29:
	.size	_ZN9rocsparseL22csrmvn_adaptive_kernelIll21rocsparse_complex_numIfES2_S2_S2_EEvbT_PKS3_PjPKT0_NS_24const_host_device_scalarIT4_EES5_S9_PKT1_PKT2_SC_PT3_21rocsparse_index_base_b, .Lfunc_end29-_ZN9rocsparseL22csrmvn_adaptive_kernelIll21rocsparse_complex_numIfES2_S2_S2_EEvbT_PKS3_PjPKT0_NS_24const_host_device_scalarIT4_EES5_S9_PKT1_PKT2_SC_PT3_21rocsparse_index_base_b
                                        ; -- End function
	.set _ZN9rocsparseL22csrmvn_adaptive_kernelIll21rocsparse_complex_numIfES2_S2_S2_EEvbT_PKS3_PjPKT0_NS_24const_host_device_scalarIT4_EES5_S9_PKT1_PKT2_SC_PT3_21rocsparse_index_base_b.num_vgpr, 34
	.set _ZN9rocsparseL22csrmvn_adaptive_kernelIll21rocsparse_complex_numIfES2_S2_S2_EEvbT_PKS3_PjPKT0_NS_24const_host_device_scalarIT4_EES5_S9_PKT1_PKT2_SC_PT3_21rocsparse_index_base_b.num_agpr, 0
	.set _ZN9rocsparseL22csrmvn_adaptive_kernelIll21rocsparse_complex_numIfES2_S2_S2_EEvbT_PKS3_PjPKT0_NS_24const_host_device_scalarIT4_EES5_S9_PKT1_PKT2_SC_PT3_21rocsparse_index_base_b.numbered_sgpr, 72
	.set _ZN9rocsparseL22csrmvn_adaptive_kernelIll21rocsparse_complex_numIfES2_S2_S2_EEvbT_PKS3_PjPKT0_NS_24const_host_device_scalarIT4_EES5_S9_PKT1_PKT2_SC_PT3_21rocsparse_index_base_b.num_named_barrier, 0
	.set _ZN9rocsparseL22csrmvn_adaptive_kernelIll21rocsparse_complex_numIfES2_S2_S2_EEvbT_PKS3_PjPKT0_NS_24const_host_device_scalarIT4_EES5_S9_PKT1_PKT2_SC_PT3_21rocsparse_index_base_b.private_seg_size, 0
	.set _ZN9rocsparseL22csrmvn_adaptive_kernelIll21rocsparse_complex_numIfES2_S2_S2_EEvbT_PKS3_PjPKT0_NS_24const_host_device_scalarIT4_EES5_S9_PKT1_PKT2_SC_PT3_21rocsparse_index_base_b.uses_vcc, 1
	.set _ZN9rocsparseL22csrmvn_adaptive_kernelIll21rocsparse_complex_numIfES2_S2_S2_EEvbT_PKS3_PjPKT0_NS_24const_host_device_scalarIT4_EES5_S9_PKT1_PKT2_SC_PT3_21rocsparse_index_base_b.uses_flat_scratch, 0
	.set _ZN9rocsparseL22csrmvn_adaptive_kernelIll21rocsparse_complex_numIfES2_S2_S2_EEvbT_PKS3_PjPKT0_NS_24const_host_device_scalarIT4_EES5_S9_PKT1_PKT2_SC_PT3_21rocsparse_index_base_b.has_dyn_sized_stack, 0
	.set _ZN9rocsparseL22csrmvn_adaptive_kernelIll21rocsparse_complex_numIfES2_S2_S2_EEvbT_PKS3_PjPKT0_NS_24const_host_device_scalarIT4_EES5_S9_PKT1_PKT2_SC_PT3_21rocsparse_index_base_b.has_recursion, 0
	.set _ZN9rocsparseL22csrmvn_adaptive_kernelIll21rocsparse_complex_numIfES2_S2_S2_EEvbT_PKS3_PjPKT0_NS_24const_host_device_scalarIT4_EES5_S9_PKT1_PKT2_SC_PT3_21rocsparse_index_base_b.has_indirect_call, 0
	.section	.AMDGPU.csdata,"",@progbits
; Kernel info:
; codeLenInByte = 4584
; TotalNumSgprs: 78
; NumVgprs: 34
; NumAgprs: 0
; TotalNumVgprs: 34
; ScratchSize: 0
; MemoryBound: 0
; FloatMode: 240
; IeeeMode: 1
; LDSByteSize: 8192 bytes/workgroup (compile time only)
; SGPRBlocks: 9
; VGPRBlocks: 4
; NumSGPRsForWavesPerEU: 78
; NumVGPRsForWavesPerEU: 34
; AccumOffset: 36
; Occupancy: 8
; WaveLimiterHint : 1
; COMPUTE_PGM_RSRC2:SCRATCH_EN: 0
; COMPUTE_PGM_RSRC2:USER_SGPR: 2
; COMPUTE_PGM_RSRC2:TRAP_HANDLER: 0
; COMPUTE_PGM_RSRC2:TGID_X_EN: 1
; COMPUTE_PGM_RSRC2:TGID_Y_EN: 0
; COMPUTE_PGM_RSRC2:TGID_Z_EN: 0
; COMPUTE_PGM_RSRC2:TIDIG_COMP_CNT: 0
; COMPUTE_PGM_RSRC3_GFX90A:ACCUM_OFFSET: 8
; COMPUTE_PGM_RSRC3_GFX90A:TG_SPLIT: 0
	.section	.text._ZN9rocsparseL22partial_scale_y_kernelIl21rocsparse_complex_numIfES2_EEvT_S3_S3_NS_24const_host_device_scalarIT1_EEPT0_b,"axG",@progbits,_ZN9rocsparseL22partial_scale_y_kernelIl21rocsparse_complex_numIfES2_EEvT_S3_S3_NS_24const_host_device_scalarIT1_EEPT0_b,comdat
	.globl	_ZN9rocsparseL22partial_scale_y_kernelIl21rocsparse_complex_numIfES2_EEvT_S3_S3_NS_24const_host_device_scalarIT1_EEPT0_b ; -- Begin function _ZN9rocsparseL22partial_scale_y_kernelIl21rocsparse_complex_numIfES2_EEvT_S3_S3_NS_24const_host_device_scalarIT1_EEPT0_b
	.p2align	8
	.type	_ZN9rocsparseL22partial_scale_y_kernelIl21rocsparse_complex_numIfES2_EEvT_S3_S3_NS_24const_host_device_scalarIT1_EEPT0_b,@function
_ZN9rocsparseL22partial_scale_y_kernelIl21rocsparse_complex_numIfES2_EEvT_S3_S3_NS_24const_host_device_scalarIT1_EEPT0_b: ; @_ZN9rocsparseL22partial_scale_y_kernelIl21rocsparse_complex_numIfES2_EEvT_S3_S3_NS_24const_host_device_scalarIT1_EEPT0_b
; %bb.0:
	s_load_dword s3, s[0:1], 0x28
	s_load_dwordx8 s[8:15], s[0:1], 0x0
	s_add_u32 s4, s0, 24
	s_addc_u32 s5, s1, 0
	s_waitcnt lgkmcnt(0)
	s_bitcmp1_b32 s3, 0
	s_cselect_b32 s3, s5, s15
	s_cselect_b32 s4, s4, s14
	v_mov_b32_e32 v2, s4
	v_mov_b32_e32 v3, s3
	flat_load_dwordx2 v[2:3], v[2:3]
	s_waitcnt vmcnt(0) lgkmcnt(0)
	v_cmp_neq_f32_e32 vcc, 1.0, v2
	v_cmp_neq_f32_e64 s[4:5], 0, v3
	s_or_b64 s[4:5], vcc, s[4:5]
	s_and_saveexec_b64 s[6:7], s[4:5]
	s_cbranch_execz .LBB30_13
; %bb.1:
	v_lshl_or_b32 v0, s2, 8, v0
	s_add_u32 s2, s10, s8
	s_addc_u32 s3, s11, s9
	s_sub_u32 s2, s2, s12
	v_mov_b32_e32 v1, 0
	s_subb_u32 s3, s3, s13
	v_cmp_gt_i64_e32 vcc, s[2:3], v[0:1]
	s_and_b64 exec, exec, vcc
	s_cbranch_execz .LBB30_13
; %bb.2:
	s_load_dwordx2 s[4:5], s[0:1], 0x20
	v_cmp_neq_f32_e64 s[0:1], 0, v2
	v_cmp_neq_f32_e64 s[2:3], 0, v3
	v_cmp_le_i64_e32 vcc, s[10:11], v[0:1]
	s_or_b64 s[0:1], s[0:1], s[2:3]
	s_and_saveexec_b64 s[2:3], vcc
	s_xor_b64 s[2:3], exec, s[2:3]
	s_cbranch_execz .LBB30_8
; %bb.3:
	s_lshl_b64 s[6:7], s[12:13], 3
	v_mov_b32_e32 v1, s11
	v_subrev_co_u32_e32 v0, vcc, s10, v0
	s_waitcnt lgkmcnt(0)
	s_add_u32 s6, s4, s6
	v_subb_co_u32_e32 v1, vcc, 0, v1, vcc
	s_addc_u32 s7, s5, s7
	v_lshl_add_u64 v[0:1], v[0:1], 3, s[6:7]
	s_and_saveexec_b64 s[6:7], s[0:1]
	s_xor_b64 s[6:7], exec, s[6:7]
	s_cbranch_execz .LBB30_5
; %bb.4:
	global_load_dwordx2 v[4:5], v[0:1], off
	v_mov_b32_e32 v6, v3
	s_waitcnt vmcnt(0)
	v_xor_b32_e32 v8, 0x80000000, v5
	v_mov_b32_e32 v9, v4
	v_pk_mul_f32 v[6:7], v[6:7], v[8:9] op_sel_hi:[0,1]
	v_pk_fma_f32 v[2:3], v[4:5], v[2:3], v[6:7] op_sel_hi:[1,0,1]
	global_store_dwordx2 v[0:1], v[2:3], off
                                        ; implicit-def: $vgpr0_vgpr1
.LBB30_5:
	s_andn2_saveexec_b64 s[6:7], s[6:7]
	s_cbranch_execz .LBB30_7
; %bb.6:
	v_mov_b32_e32 v2, 0
	v_mov_b32_e32 v3, v2
	global_store_dwordx2 v[0:1], v[2:3], off
.LBB30_7:
	s_or_b64 exec, exec, s[6:7]
                                        ; implicit-def: $vgpr0_vgpr1
                                        ; implicit-def: $vgpr3
.LBB30_8:
	s_andn2_saveexec_b64 s[2:3], s[2:3]
	s_cbranch_execz .LBB30_13
; %bb.9:
	s_waitcnt lgkmcnt(0)
	v_lshl_add_u64 v[0:1], v[0:1], 3, s[4:5]
	s_and_saveexec_b64 s[2:3], s[0:1]
	s_xor_b64 s[0:1], exec, s[2:3]
	s_cbranch_execz .LBB30_11
; %bb.10:
	global_load_dwordx2 v[4:5], v[0:1], off
	v_mov_b32_e32 v6, v3
	s_waitcnt vmcnt(0)
	v_xor_b32_e32 v8, 0x80000000, v5
	v_mov_b32_e32 v9, v4
	v_pk_mul_f32 v[6:7], v[6:7], v[8:9] op_sel_hi:[0,1]
	v_pk_fma_f32 v[2:3], v[4:5], v[2:3], v[6:7] op_sel_hi:[1,0,1]
	global_store_dwordx2 v[0:1], v[2:3], off
                                        ; implicit-def: $vgpr0_vgpr1
.LBB30_11:
	s_andn2_saveexec_b64 s[0:1], s[0:1]
	s_cbranch_execz .LBB30_13
; %bb.12:
	v_mov_b32_e32 v2, 0
	v_mov_b32_e32 v3, v2
	global_store_dwordx2 v[0:1], v[2:3], off
.LBB30_13:
	s_endpgm
	.section	.rodata,"a",@progbits
	.p2align	6, 0x0
	.amdhsa_kernel _ZN9rocsparseL22partial_scale_y_kernelIl21rocsparse_complex_numIfES2_EEvT_S3_S3_NS_24const_host_device_scalarIT1_EEPT0_b
		.amdhsa_group_segment_fixed_size 0
		.amdhsa_private_segment_fixed_size 0
		.amdhsa_kernarg_size 44
		.amdhsa_user_sgpr_count 2
		.amdhsa_user_sgpr_dispatch_ptr 0
		.amdhsa_user_sgpr_queue_ptr 0
		.amdhsa_user_sgpr_kernarg_segment_ptr 1
		.amdhsa_user_sgpr_dispatch_id 0
		.amdhsa_user_sgpr_kernarg_preload_length 0
		.amdhsa_user_sgpr_kernarg_preload_offset 0
		.amdhsa_user_sgpr_private_segment_size 0
		.amdhsa_uses_dynamic_stack 0
		.amdhsa_enable_private_segment 0
		.amdhsa_system_sgpr_workgroup_id_x 1
		.amdhsa_system_sgpr_workgroup_id_y 0
		.amdhsa_system_sgpr_workgroup_id_z 0
		.amdhsa_system_sgpr_workgroup_info 0
		.amdhsa_system_vgpr_workitem_id 0
		.amdhsa_next_free_vgpr 10
		.amdhsa_next_free_sgpr 16
		.amdhsa_accum_offset 12
		.amdhsa_reserve_vcc 1
		.amdhsa_float_round_mode_32 0
		.amdhsa_float_round_mode_16_64 0
		.amdhsa_float_denorm_mode_32 3
		.amdhsa_float_denorm_mode_16_64 3
		.amdhsa_dx10_clamp 1
		.amdhsa_ieee_mode 1
		.amdhsa_fp16_overflow 0
		.amdhsa_tg_split 0
		.amdhsa_exception_fp_ieee_invalid_op 0
		.amdhsa_exception_fp_denorm_src 0
		.amdhsa_exception_fp_ieee_div_zero 0
		.amdhsa_exception_fp_ieee_overflow 0
		.amdhsa_exception_fp_ieee_underflow 0
		.amdhsa_exception_fp_ieee_inexact 0
		.amdhsa_exception_int_div_zero 0
	.end_amdhsa_kernel
	.section	.text._ZN9rocsparseL22partial_scale_y_kernelIl21rocsparse_complex_numIfES2_EEvT_S3_S3_NS_24const_host_device_scalarIT1_EEPT0_b,"axG",@progbits,_ZN9rocsparseL22partial_scale_y_kernelIl21rocsparse_complex_numIfES2_EEvT_S3_S3_NS_24const_host_device_scalarIT1_EEPT0_b,comdat
.Lfunc_end30:
	.size	_ZN9rocsparseL22partial_scale_y_kernelIl21rocsparse_complex_numIfES2_EEvT_S3_S3_NS_24const_host_device_scalarIT1_EEPT0_b, .Lfunc_end30-_ZN9rocsparseL22partial_scale_y_kernelIl21rocsparse_complex_numIfES2_EEvT_S3_S3_NS_24const_host_device_scalarIT1_EEPT0_b
                                        ; -- End function
	.set _ZN9rocsparseL22partial_scale_y_kernelIl21rocsparse_complex_numIfES2_EEvT_S3_S3_NS_24const_host_device_scalarIT1_EEPT0_b.num_vgpr, 10
	.set _ZN9rocsparseL22partial_scale_y_kernelIl21rocsparse_complex_numIfES2_EEvT_S3_S3_NS_24const_host_device_scalarIT1_EEPT0_b.num_agpr, 0
	.set _ZN9rocsparseL22partial_scale_y_kernelIl21rocsparse_complex_numIfES2_EEvT_S3_S3_NS_24const_host_device_scalarIT1_EEPT0_b.numbered_sgpr, 16
	.set _ZN9rocsparseL22partial_scale_y_kernelIl21rocsparse_complex_numIfES2_EEvT_S3_S3_NS_24const_host_device_scalarIT1_EEPT0_b.num_named_barrier, 0
	.set _ZN9rocsparseL22partial_scale_y_kernelIl21rocsparse_complex_numIfES2_EEvT_S3_S3_NS_24const_host_device_scalarIT1_EEPT0_b.private_seg_size, 0
	.set _ZN9rocsparseL22partial_scale_y_kernelIl21rocsparse_complex_numIfES2_EEvT_S3_S3_NS_24const_host_device_scalarIT1_EEPT0_b.uses_vcc, 1
	.set _ZN9rocsparseL22partial_scale_y_kernelIl21rocsparse_complex_numIfES2_EEvT_S3_S3_NS_24const_host_device_scalarIT1_EEPT0_b.uses_flat_scratch, 0
	.set _ZN9rocsparseL22partial_scale_y_kernelIl21rocsparse_complex_numIfES2_EEvT_S3_S3_NS_24const_host_device_scalarIT1_EEPT0_b.has_dyn_sized_stack, 0
	.set _ZN9rocsparseL22partial_scale_y_kernelIl21rocsparse_complex_numIfES2_EEvT_S3_S3_NS_24const_host_device_scalarIT1_EEPT0_b.has_recursion, 0
	.set _ZN9rocsparseL22partial_scale_y_kernelIl21rocsparse_complex_numIfES2_EEvT_S3_S3_NS_24const_host_device_scalarIT1_EEPT0_b.has_indirect_call, 0
	.section	.AMDGPU.csdata,"",@progbits
; Kernel info:
; codeLenInByte = 408
; TotalNumSgprs: 22
; NumVgprs: 10
; NumAgprs: 0
; TotalNumVgprs: 10
; ScratchSize: 0
; MemoryBound: 0
; FloatMode: 240
; IeeeMode: 1
; LDSByteSize: 0 bytes/workgroup (compile time only)
; SGPRBlocks: 2
; VGPRBlocks: 1
; NumSGPRsForWavesPerEU: 22
; NumVGPRsForWavesPerEU: 10
; AccumOffset: 12
; Occupancy: 8
; WaveLimiterHint : 0
; COMPUTE_PGM_RSRC2:SCRATCH_EN: 0
; COMPUTE_PGM_RSRC2:USER_SGPR: 2
; COMPUTE_PGM_RSRC2:TRAP_HANDLER: 0
; COMPUTE_PGM_RSRC2:TGID_X_EN: 1
; COMPUTE_PGM_RSRC2:TGID_Y_EN: 0
; COMPUTE_PGM_RSRC2:TGID_Z_EN: 0
; COMPUTE_PGM_RSRC2:TIDIG_COMP_CNT: 0
; COMPUTE_PGM_RSRC3_GFX90A:ACCUM_OFFSET: 2
; COMPUTE_PGM_RSRC3_GFX90A:TG_SPLIT: 0
	.section	.text._ZN9rocsparseL27csrmvn_symm_adaptive_kernelIll21rocsparse_complex_numIfES2_S2_S2_EEvbT_S3_PKS3_NS_24const_host_device_scalarIT4_EES5_PKT0_PKT1_PKT2_S8_PT3_21rocsparse_index_base_b,"axG",@progbits,_ZN9rocsparseL27csrmvn_symm_adaptive_kernelIll21rocsparse_complex_numIfES2_S2_S2_EEvbT_S3_PKS3_NS_24const_host_device_scalarIT4_EES5_PKT0_PKT1_PKT2_S8_PT3_21rocsparse_index_base_b,comdat
	.globl	_ZN9rocsparseL27csrmvn_symm_adaptive_kernelIll21rocsparse_complex_numIfES2_S2_S2_EEvbT_S3_PKS3_NS_24const_host_device_scalarIT4_EES5_PKT0_PKT1_PKT2_S8_PT3_21rocsparse_index_base_b ; -- Begin function _ZN9rocsparseL27csrmvn_symm_adaptive_kernelIll21rocsparse_complex_numIfES2_S2_S2_EEvbT_S3_PKS3_NS_24const_host_device_scalarIT4_EES5_PKT0_PKT1_PKT2_S8_PT3_21rocsparse_index_base_b
	.p2align	8
	.type	_ZN9rocsparseL27csrmvn_symm_adaptive_kernelIll21rocsparse_complex_numIfES2_S2_S2_EEvbT_S3_PKS3_NS_24const_host_device_scalarIT4_EES5_PKT0_PKT1_PKT2_S8_PT3_21rocsparse_index_base_b,@function
_ZN9rocsparseL27csrmvn_symm_adaptive_kernelIll21rocsparse_complex_numIfES2_S2_S2_EEvbT_S3_PKS3_NS_24const_host_device_scalarIT4_EES5_PKT0_PKT1_PKT2_S8_PT3_21rocsparse_index_base_b: ; @_ZN9rocsparseL27csrmvn_symm_adaptive_kernelIll21rocsparse_complex_numIfES2_S2_S2_EEvbT_S3_PKS3_NS_24const_host_device_scalarIT4_EES5_PKT0_PKT1_PKT2_S8_PT3_21rocsparse_index_base_b
; %bb.0:
	s_load_dwordx2 s[34:35], s[0:1], 0x58
	s_load_dwordx2 s[4:5], s[0:1], 0x20
	s_add_u32 s3, s0, 32
	s_addc_u32 s10, s1, 0
	s_waitcnt lgkmcnt(0)
	s_bitcmp1_b32 s35, 0
	s_cselect_b64 s[8:9], -1, 0
	s_and_b64 s[6:7], s[8:9], exec
	s_cselect_b32 s5, s10, s5
	s_cselect_b32 s3, s3, s4
	v_mov_b32_e32 v2, s3
	v_mov_b32_e32 v3, s5
	flat_load_dwordx2 v[2:3], v[2:3]
	s_waitcnt vmcnt(0) lgkmcnt(0)
	v_cmp_eq_f32_e32 vcc, 0, v2
	v_cmp_eq_f32_e64 s[4:5], 0, v3
	s_and_b64 s[10:11], vcc, s[4:5]
	s_mov_b64 s[4:5], -1
	s_and_saveexec_b64 s[6:7], s[10:11]
	s_cbranch_execz .LBB31_2
; %bb.1:
	s_load_dwordx2 s[4:5], s[0:1], 0x48
	s_add_u32 s3, s0, 0x48
	s_addc_u32 s10, s1, 0
	s_and_b64 s[8:9], s[8:9], exec
	s_waitcnt lgkmcnt(0)
	s_cselect_b32 s5, s10, s5
	s_cselect_b32 s3, s3, s4
	v_mov_b32_e32 v4, s3
	v_mov_b32_e32 v5, s5
	flat_load_dwordx2 v[4:5], v[4:5]
	s_waitcnt vmcnt(0) lgkmcnt(0)
	v_cmp_neq_f32_e32 vcc, 1.0, v4
	v_cmp_neq_f32_e64 s[4:5], 0, v5
	s_or_b64 s[4:5], vcc, s[4:5]
	s_orn2_b64 s[4:5], s[4:5], exec
.LBB31_2:
	s_or_b64 exec, exec, s[6:7]
	s_and_saveexec_b64 s[6:7], s[4:5]
	s_cbranch_execz .LBB31_153
; %bb.3:
	s_load_dword s3, s[0:1], 0x0
	s_load_dwordx2 s[4:5], s[0:1], 0x18
	s_mov_b32 s6, 0
	s_mov_b32 s7, s6
	v_lshlrev_b32_e32 v22, 3, v0
	s_waitcnt lgkmcnt(0)
	s_bitcmp1_b32 s3, 0
	s_cselect_b64 s[14:15], -1, 0
	s_ashr_i32 s3, s2, 31
	s_lshl_b64 s[2:3], s[2:3], 3
	s_add_u32 s2, s4, s2
	v_mov_b64_e32 v[4:5], s[6:7]
	s_addc_u32 s3, s5, s3
	ds_write2st64_b64 v22, v[4:5], v[4:5] offset1:4
	ds_write2st64_b64 v22, v[4:5], v[4:5] offset0:8 offset1:12
	s_waitcnt lgkmcnt(0)
	s_barrier
	s_load_dwordx4 s[24:27], s[2:3], 0x0
	s_load_dwordx8 s[16:23], s[0:1], 0x28
	s_load_dwordx2 s[28:29], s[0:1], 0x50
	s_mov_b64 s[2:3], -1
	s_waitcnt lgkmcnt(0)
	s_sub_u32 s30, s26, s24
	s_subb_u32 s31, s27, s25
	v_cmp_gt_i64_e64 s[4:5], s[30:31], 2
	s_and_b64 vcc, exec, s[4:5]
	s_cbranch_vccnz .LBB31_40
; %bb.4:
	v_mov_b64_e32 v[4:5], s[24:25]
	v_cmp_le_i64_e32 vcc, s[26:27], v[4:5]
	v_subrev_co_u32_e64 v4, s[2:3], s34, v0
	v_mov_b32_e32 v1, 0
	s_nop 0
	v_subb_co_u32_e64 v5, s[2:3], 0, 0, s[2:3]
	s_cbranch_vccnz .LBB31_30
; %bb.5:
	s_movk_i32 s2, 0x100
	v_cmp_gt_u32_e64 s[4:5], s2, v0
	s_add_u32 s2, s20, 4
	v_cmp_gt_u32_e64 s[6:7], 64, v0
	v_cmp_gt_u32_e64 s[8:9], 16, v0
	v_cmp_gt_u32_e64 s[10:11], 4, v0
	v_cmp_eq_u32_e64 s[12:13], 0, v0
	s_addc_u32 s3, s21, 0
	s_mov_b64 s[36:37], 0x100
	s_mov_b64 s[38:39], 0x800
	v_mov_b64_e32 v[6:7], s[26:27]
	s_mov_b64 s[40:41], s[24:25]
	s_branch .LBB31_7
.LBB31_6:                               ;   in Loop: Header=BB31_7 Depth=1
	s_or_b64 exec, exec, s[44:45]
	s_add_u32 s40, s40, 1
	s_addc_u32 s41, s41, 0
	v_cmp_ge_i64_e32 vcc, s[40:41], v[6:7]
	s_cbranch_vccnz .LBB31_30
.LBB31_7:                               ; =>This Loop Header: Depth=1
                                        ;     Child Loop BB31_9 Depth 2
                                        ;     Child Loop BB31_23 Depth 2
	;; [unrolled: 1-line block ×3, first 2 shown]
	s_lshl_b64 s[42:43], s[40:41], 3
	s_add_u32 s48, s16, s42
	s_addc_u32 s49, s17, s43
	s_load_dwordx4 s[44:47], s[48:49], 0x0
	v_mov_b32_e32 v9, 0
	v_mov_b32_e32 v8, v9
	s_waitcnt lgkmcnt(0)
	s_sub_u32 s46, s46, s34
	v_lshl_add_u64 v[10:11], s[44:45], 0, v[4:5]
	s_subb_u32 s47, s47, 0
	v_cmp_gt_i64_e32 vcc, s[46:47], v[10:11]
	s_and_saveexec_b64 s[44:45], vcc
	s_cbranch_execz .LBB31_11
; %bb.8:                                ;   in Loop: Header=BB31_7 Depth=1
	v_lshlrev_b64 v[8:9], 3, v[10:11]
	v_lshl_add_u64 v[12:13], s[18:19], 0, v[8:9]
	v_lshl_add_u64 v[14:15], s[2:3], 0, v[8:9]
	v_mov_b32_e32 v8, 0
	s_mov_b64 s[48:49], 0
	v_mov_b32_e32 v9, v8
.LBB31_9:                               ;   Parent Loop BB31_7 Depth=1
                                        ; =>  This Inner Loop Header: Depth=2
	global_load_dwordx2 v[16:17], v[12:13], off
	global_load_dwordx2 v[18:19], v[14:15], off offset:-4
	v_lshl_add_u64 v[10:11], v[10:11], 0, s[36:37]
	v_lshl_add_u64 v[12:13], v[12:13], 0, s[38:39]
	;; [unrolled: 1-line block ×3, first 2 shown]
	s_waitcnt vmcnt(1)
	v_subrev_co_u32_e32 v16, vcc, s34, v16
	s_nop 1
	v_subbrev_co_u32_e32 v17, vcc, 0, v17, vcc
	v_lshl_add_u64 v[16:17], v[16:17], 3, s[22:23]
	global_load_dwordx2 v[16:17], v[16:17], off
	s_waitcnt vmcnt(1)
	v_cndmask_b32_e64 v19, v19, -v19, s[14:15]
	v_cmp_le_i64_e32 vcc, s[46:47], v[10:11]
	v_mov_b32_e32 v21, v18
	v_xor_b32_e32 v20, 0x80000000, v19
	s_or_b64 s[48:49], vcc, s[48:49]
	s_waitcnt vmcnt(0)
	v_pk_fma_f32 v[8:9], v[18:19], v[16:17], v[8:9] op_sel_hi:[1,0,1]
	s_nop 0
	v_pk_fma_f32 v[8:9], v[20:21], v[16:17], v[8:9] op_sel:[0,1,0]
	s_andn2_b64 exec, exec, s[48:49]
	s_cbranch_execnz .LBB31_9
; %bb.10:                               ;   in Loop: Header=BB31_7 Depth=1
	s_or_b64 exec, exec, s[48:49]
.LBB31_11:                              ;   in Loop: Header=BB31_7 Depth=1
	s_or_b64 exec, exec, s[44:45]
	ds_write_b64 v22, v[8:9]
	s_waitcnt lgkmcnt(0)
	s_barrier
	s_and_saveexec_b64 s[44:45], s[4:5]
	s_cbranch_execz .LBB31_13
; %bb.12:                               ;   in Loop: Header=BB31_7 Depth=1
	ds_read2st64_b64 v[8:11], v22 offset1:4
	ds_read2st64_b64 v[12:15], v22 offset0:8 offset1:12
	s_waitcnt lgkmcnt(0)
	v_pk_add_f32 v[10:11], v[12:13], v[10:11]
	s_nop 0
	v_pk_add_f32 v[10:11], v[14:15], v[10:11]
	s_nop 0
	v_pk_add_f32 v[8:9], v[10:11], v[8:9]
	ds_write_b64 v22, v[8:9]
.LBB31_13:                              ;   in Loop: Header=BB31_7 Depth=1
	s_or_b64 exec, exec, s[44:45]
	s_waitcnt lgkmcnt(0)
	s_barrier
	s_and_saveexec_b64 s[44:45], s[6:7]
	s_cbranch_execz .LBB31_15
; %bb.14:                               ;   in Loop: Header=BB31_7 Depth=1
	ds_read2st64_b64 v[8:11], v22 offset1:1
	ds_read2st64_b64 v[12:15], v22 offset0:2 offset1:3
	s_waitcnt lgkmcnt(0)
	v_pk_add_f32 v[10:11], v[12:13], v[10:11]
	s_nop 0
	v_pk_add_f32 v[10:11], v[14:15], v[10:11]
	s_nop 0
	v_pk_add_f32 v[8:9], v[10:11], v[8:9]
	ds_write_b64 v22, v[8:9]
.LBB31_15:                              ;   in Loop: Header=BB31_7 Depth=1
	s_or_b64 exec, exec, s[44:45]
	s_waitcnt lgkmcnt(0)
	s_barrier
	s_and_saveexec_b64 s[44:45], s[8:9]
	s_cbranch_execz .LBB31_17
; %bb.16:                               ;   in Loop: Header=BB31_7 Depth=1
	ds_read2_b64 v[8:11], v22 offset1:16
	ds_read2_b64 v[12:15], v22 offset0:32 offset1:48
	s_waitcnt lgkmcnt(0)
	v_pk_add_f32 v[10:11], v[12:13], v[10:11]
	s_nop 0
	v_pk_add_f32 v[10:11], v[14:15], v[10:11]
	s_nop 0
	v_pk_add_f32 v[8:9], v[10:11], v[8:9]
	ds_write_b64 v22, v[8:9]
.LBB31_17:                              ;   in Loop: Header=BB31_7 Depth=1
	s_or_b64 exec, exec, s[44:45]
	s_waitcnt lgkmcnt(0)
	s_barrier
	s_and_saveexec_b64 s[44:45], s[10:11]
	s_cbranch_execz .LBB31_19
; %bb.18:                               ;   in Loop: Header=BB31_7 Depth=1
	ds_read2_b64 v[8:11], v22 offset1:4
	ds_read2_b64 v[12:15], v22 offset0:8 offset1:12
	s_waitcnt lgkmcnt(0)
	v_pk_add_f32 v[10:11], v[12:13], v[10:11]
	s_nop 0
	v_pk_add_f32 v[10:11], v[14:15], v[10:11]
	s_nop 0
	v_pk_add_f32 v[8:9], v[10:11], v[8:9]
	ds_write_b64 v22, v[8:9]
.LBB31_19:                              ;   in Loop: Header=BB31_7 Depth=1
	s_or_b64 exec, exec, s[44:45]
	s_waitcnt lgkmcnt(0)
	s_barrier
	s_and_saveexec_b64 s[44:45], s[12:13]
	s_cbranch_execz .LBB31_21
; %bb.20:                               ;   in Loop: Header=BB31_7 Depth=1
	ds_read_b128 v[8:11], v1 offset:16
	ds_read_b64 v[12:13], v1 offset:8
	ds_read_b64 v[14:15], v22
	s_waitcnt lgkmcnt(1)
	v_pk_add_f32 v[8:9], v[8:9], v[12:13]
	s_nop 0
	v_pk_add_f32 v[8:9], v[10:11], v[8:9]
	s_waitcnt lgkmcnt(0)
	v_pk_add_f32 v[8:9], v[8:9], v[14:15]
	ds_write_b64 v22, v[8:9]
.LBB31_21:                              ;   in Loop: Header=BB31_7 Depth=1
	s_or_b64 exec, exec, s[44:45]
	s_waitcnt lgkmcnt(0)
	s_barrier
	s_and_saveexec_b64 s[44:45], s[12:13]
	s_cbranch_execz .LBB31_6
; %bb.22:                               ;   in Loop: Header=BB31_7 Depth=1
	ds_read_b64 v[8:9], v1
	s_mov_b64 s[46:47], exec
	v_bfrev_b32_e32 v10, 1
	s_waitcnt lgkmcnt(0)
	v_mul_f32_e64 v11, v9, -v3
	v_fmac_f32_e32 v11, v2, v8
.LBB31_23:                              ;   Parent Loop BB31_7 Depth=1
                                        ; =>  This Inner Loop Header: Depth=2
	s_ff1_i32_b64 s33, s[46:47]
	s_lshl_b64 s[48:49], 1, s33
	v_readlane_b32 s35, v11, s33
	s_andn2_b64 s[46:47], s[46:47], s[48:49]
	s_cmp_lg_u64 s[46:47], 0
	v_add_f32_e32 v10, s35, v10
	s_cbranch_scc1 .LBB31_23
; %bb.24:                               ;   in Loop: Header=BB31_7 Depth=1
	v_mbcnt_lo_u32_b32 v11, exec_lo, 0
	s_add_u32 s42, s28, s42
	v_mbcnt_hi_u32_b32 v11, exec_hi, v11
	s_addc_u32 s43, s29, s43
	v_cmp_eq_u32_e32 vcc, 0, v11
	s_and_saveexec_b64 s[46:47], vcc
	s_xor_b64 s[46:47], exec, s[46:47]
	s_cbranch_execz .LBB31_26
; %bb.25:                               ;   in Loop: Header=BB31_7 Depth=1
	global_atomic_add_f32 v1, v10, s[42:43]
.LBB31_26:                              ;   in Loop: Header=BB31_7 Depth=1
	s_or_b64 exec, exec, s[46:47]
	v_mul_f32_e32 v9, v2, v9
	s_mov_b64 s[46:47], exec
	v_fmac_f32_e32 v9, v3, v8
	v_bfrev_b32_e32 v8, 1
.LBB31_27:                              ;   Parent Loop BB31_7 Depth=1
                                        ; =>  This Inner Loop Header: Depth=2
	s_ff1_i32_b64 s33, s[46:47]
	s_lshl_b64 s[48:49], 1, s33
	v_readlane_b32 s35, v9, s33
	s_andn2_b64 s[46:47], s[46:47], s[48:49]
	s_cmp_lg_u64 s[46:47], 0
	v_add_f32_e32 v8, s35, v8
	s_cbranch_scc1 .LBB31_27
; %bb.28:                               ;   in Loop: Header=BB31_7 Depth=1
	v_mbcnt_lo_u32_b32 v9, exec_lo, 0
	v_mbcnt_hi_u32_b32 v9, exec_hi, v9
	v_cmp_eq_u32_e32 vcc, 0, v9
	s_and_saveexec_b64 s[46:47], vcc
	s_xor_b64 s[46:47], exec, s[46:47]
	s_cbranch_execz .LBB31_6
; %bb.29:                               ;   in Loop: Header=BB31_7 Depth=1
	global_atomic_add_f32 v1, v8, s[42:43] offset:4
	s_branch .LBB31_6
.LBB31_30:
	s_lshl_b64 s[2:3], s[24:25], 3
	s_add_u32 s2, s16, s2
	s_addc_u32 s3, s17, s3
	s_lshl_b64 s[4:5], s[26:27], 3
	s_add_u32 s4, s16, s4
	s_addc_u32 s5, s17, s5
	s_load_dwordx2 s[6:7], s[4:5], 0x0
	s_load_dwordx2 s[8:9], s[2:3], 0x0
	s_waitcnt lgkmcnt(0)
	s_sub_u32 s6, s6, s34
	s_subb_u32 s7, s7, 0
	v_lshl_add_u64 v[4:5], s[8:9], 0, v[4:5]
	v_cmp_gt_i64_e32 vcc, s[6:7], v[4:5]
	s_and_saveexec_b64 s[8:9], vcc
	s_cbranch_execz .LBB31_39
; %bb.31:
	s_add_u32 s10, s26, -1
	s_addc_u32 s11, s27, -1
	s_add_u32 s2, s26, -2
	s_addc_u32 s3, s27, -1
	v_mov_b64_e32 v[6:7], s[10:11]
	s_cmp_lg_u64 s[24:25], s[2:3]
	v_cmp_lt_i64_e32 vcc, s[24:25], v[6:7]
	s_cselect_b64 s[2:3], -1, 0
	s_and_b64 s[2:3], vcc, s[2:3]
	v_cndmask_b32_e64 v1, 0, 1, s[2:3]
	s_mov_b64 s[12:13], 0
	v_cmp_ne_u32_e64 s[4:5], 1, v1
	v_mov_b32_e32 v7, 0
	s_mov_b64 s[36:37], 0x100
	s_branch .LBB31_33
.LBB31_32:                              ;   in Loop: Header=BB31_33 Depth=1
	s_or_b64 exec, exec, s[2:3]
	v_lshl_add_u64 v[4:5], v[4:5], 0, s[36:37]
	v_cmp_le_i64_e32 vcc, s[6:7], v[4:5]
	s_or_b64 s[12:13], vcc, s[12:13]
	s_andn2_b64 exec, exec, s[12:13]
	s_cbranch_execz .LBB31_39
.LBB31_33:                              ; =>This Loop Header: Depth=1
                                        ;     Child Loop BB31_35 Depth 2
	s_and_b64 vcc, exec, s[4:5]
	v_mov_b64_e32 v[8:9], s[24:25]
	v_mov_b64_e32 v[10:11], s[10:11]
	s_cbranch_vccnz .LBB31_37
; %bb.34:                               ;   in Loop: Header=BB31_33 Depth=1
	s_mov_b64 s[38:39], 0
	v_mov_b64_e32 v[8:9], s[24:25]
	v_mov_b64_e32 v[10:11], s[10:11]
.LBB31_35:                              ;   Parent Loop BB31_33 Depth=1
                                        ; =>  This Inner Loop Header: Depth=2
	v_lshl_add_u64 v[12:13], v[10:11], 0, v[8:9]
	v_lshrrev_b32_e32 v6, 31, v13
	v_lshl_add_u64 v[12:13], v[12:13], 0, v[6:7]
	v_ashrrev_i64 v[12:13], 1, v[12:13]
	v_lshl_add_u64 v[14:15], v[12:13], 3, s[16:17]
	global_load_dwordx2 v[14:15], v[14:15], off
	s_waitcnt vmcnt(0)
	v_subrev_co_u32_e32 v14, vcc, s34, v14
	s_nop 1
	v_subbrev_co_u32_e32 v15, vcc, 0, v15, vcc
	v_cmp_lt_i64_e32 vcc, v[4:5], v[14:15]
	s_nop 1
	v_cndmask_b32_e32 v11, v11, v13, vcc
	v_cndmask_b32_e32 v10, v10, v12, vcc
	;; [unrolled: 1-line block ×4, first 2 shown]
	v_lshl_add_u64 v[12:13], v[10:11], 0, -1
	v_cmp_ge_i64_e32 vcc, v[8:9], v[10:11]
	v_cmp_eq_u64_e64 s[2:3], v[8:9], v[12:13]
	s_or_b64 s[2:3], vcc, s[2:3]
	s_and_b64 s[2:3], exec, s[2:3]
	s_or_b64 s[38:39], s[2:3], s[38:39]
	s_andn2_b64 exec, exec, s[38:39]
	s_cbranch_execnz .LBB31_35
; %bb.36:                               ;   in Loop: Header=BB31_33 Depth=1
	s_or_b64 exec, exec, s[38:39]
.LBB31_37:                              ;   in Loop: Header=BB31_33 Depth=1
	v_lshl_add_u64 v[12:13], v[10:11], 3, s[16:17]
	global_load_dwordx2 v[12:13], v[12:13], off
	v_lshl_add_u64 v[14:15], v[4:5], 3, s[18:19]
	global_load_dwordx2 v[14:15], v[14:15], off
	s_waitcnt vmcnt(1)
	v_subrev_co_u32_e32 v12, vcc, s34, v12
	s_nop 1
	v_subbrev_co_u32_e32 v13, vcc, 0, v13, vcc
	v_cmp_lt_i64_e32 vcc, v[4:5], v[12:13]
	s_nop 1
	v_cndmask_b32_e32 v11, v11, v9, vcc
	v_cndmask_b32_e32 v10, v10, v8, vcc
	s_waitcnt vmcnt(0)
	v_subrev_co_u32_e32 v8, vcc, s34, v14
	s_nop 1
	v_subbrev_co_u32_e32 v9, vcc, 0, v15, vcc
	v_cmp_ne_u64_e32 vcc, v[8:9], v[10:11]
	s_and_saveexec_b64 s[2:3], vcc
	s_cbranch_execz .LBB31_32
; %bb.38:                               ;   in Loop: Header=BB31_33 Depth=1
	v_lshl_add_u64 v[12:13], v[4:5], 3, s[20:21]
	global_load_dwordx2 v[12:13], v[12:13], off
	v_lshl_add_u64 v[10:11], v[10:11], 3, s[22:23]
	global_load_dwordx2 v[10:11], v[10:11], off
	v_lshl_add_u64 v[8:9], v[8:9], 3, s[28:29]
	s_waitcnt vmcnt(1)
	v_cndmask_b32_e64 v1, v13, -v13, s[14:15]
	v_mul_f32_e64 v6, v1, -v3
	v_mul_f32_e32 v1, v2, v1
	v_fmac_f32_e32 v1, v3, v12
	v_fmac_f32_e32 v6, v2, v12
	s_waitcnt vmcnt(0)
	v_mul_f32_e64 v12, v11, -v1
	v_mul_f32_e32 v11, v11, v6
	v_fmac_f32_e32 v12, v6, v10
	v_fmac_f32_e32 v11, v1, v10
	global_atomic_add_f32 v[8:9], v12, off
	global_atomic_add_f32 v[8:9], v11, off offset:4
	s_branch .LBB31_32
.LBB31_39:
	s_or_b64 exec, exec, s[8:9]
	s_mov_b64 s[2:3], 0
.LBB31_40:
	s_and_b64 vcc, exec, s[2:3]
	s_cbranch_vccz .LBB31_153
; %bb.41:
	s_load_dword s2, s[0:1], 0x6c
	s_mov_b32 s13, 0
	v_mov_b64_e32 v[4:5], s[30:31]
	s_mov_b64 s[36:37], 0
	s_waitcnt lgkmcnt(0)
	s_and_b32 s12, s2, 0xffff
	v_cmp_lt_u64_e32 vcc, s[12:13], v[4:5]
	s_cbranch_vccnz .LBB31_43
; %bb.42:
	v_cvt_f32_u32_e32 v1, s30
	s_sub_i32 s2, 0, s30
	v_rcp_iflag_f32_e32 v1, v1
	s_nop 0
	v_mul_f32_e32 v1, 0x4f7ffffe, v1
	v_cvt_u32_f32_e32 v1, v1
	s_nop 0
	v_readfirstlane_b32 s3, v1
	s_mul_i32 s2, s2, s3
	s_mul_hi_u32 s2, s3, s2
	s_add_i32 s3, s3, s2
	s_mul_hi_u32 s2, s12, s3
	s_mul_i32 s4, s2, s30
	s_sub_i32 s4, s12, s4
	s_add_i32 s3, s2, 1
	s_sub_i32 s5, s4, s30
	s_cmp_ge_u32 s4, s30
	s_cselect_b32 s2, s3, s2
	s_cselect_b32 s4, s5, s4
	s_add_i32 s3, s2, 1
	s_cmp_ge_u32 s4, s30
	s_cselect_b32 s36, s3, s2
.LBB31_43:
	s_load_dwordx4 s[4:7], s[0:1], 0x8
	s_lshl_b64 s[0:1], s[24:25], 3
	s_add_u32 s10, s16, s0
	s_addc_u32 s11, s17, s1
	s_load_dwordx2 s[8:9], s[10:11], 0x0
	v_subrev_co_u32_e32 v4, vcc, s34, v0
	v_mov_b32_e32 v1, 0
	s_nop 0
	v_subb_co_u32_e64 v5, s[0:1], 0, 0, vcc
	s_waitcnt lgkmcnt(0)
	v_lshl_add_u64 v[10:11], s[8:9], 0, v[4:5]
	s_mov_b64 s[0:1], 0x300
	v_lshl_add_u64 v[8:9], v[10:11], 0, s[0:1]
	v_cmp_le_i64_e32 vcc, s[4:5], v[8:9]
	s_and_saveexec_b64 s[0:1], vcc
	s_xor_b64 s[38:39], exec, s[0:1]
	s_cbranch_execnz .LBB31_46
; %bb.44:
	s_andn2_saveexec_b64 s[2:3], s[38:39]
	s_cbranch_execnz .LBB31_57
.LBB31_45:
	s_or_b64 exec, exec, s[2:3]
	v_cmp_gt_i64_e64 s[0:1], s[6:7], v[0:1]
	s_and_saveexec_b64 s[2:3], s[0:1]
	s_cbranch_execnz .LBB31_58
	s_branch .LBB31_65
.LBB31_46:
	s_lshl_b64 s[0:1], s[26:27], 3
	s_add_u32 s0, s16, s0
	s_addc_u32 s1, s17, s1
	s_load_dwordx2 s[2:3], s[0:1], 0x0
	s_waitcnt lgkmcnt(0)
	s_sub_u32 s40, s2, s8
	s_subb_u32 s41, s3, s9
	v_cmp_gt_i64_e64 s[0:1], s[40:41], v[0:1]
	s_and_saveexec_b64 s[42:43], s[0:1]
	s_cbranch_execz .LBB31_56
; %bb.47:
	s_not_b64 s[0:1], s[8:9]
	s_add_u32 s0, s2, s0
	s_addc_u32 s1, s3, s1
	v_mov_b32_e32 v5, s1
	v_sub_co_u32_e64 v4, s[0:1], s0, v0
	v_mov_b64_e32 v[12:13], 0
	s_nop 0
	v_subbrev_co_u32_e64 v5, s[0:1], 0, v5, s[0:1]
	s_mov_b64 s[0:1], 0xf00
	s_nop 0
	v_cmp_gt_u64_e64 s[44:45], s[0:1], v[4:5]
	s_mov_b64 s[0:1], 0xeff
	v_cmp_lt_u64_e64 s[0:1], s[0:1], v[4:5]
	s_and_saveexec_b64 s[46:47], s[0:1]
	s_cbranch_execz .LBB31_53
; %bb.48:
	s_mov_b32 s4, 0
	v_alignbit_b32 v6, v5, v4, 8
	s_mov_b32 s0, 0x200000
	s_movk_i32 s5, 0x100
	v_cmp_gt_u32_e64 s[0:1], s0, v6
	v_lshl_or_b32 v6, v6, 11, v22
	v_cmp_gt_u64_e64 s[4:5], s[4:5], v[4:5]
	v_cmp_ge_u32_e64 s[2:3], v6, v22
	s_and_b64 s[0:1], s[0:1], s[4:5]
	s_and_b64 s[4:5], s[0:1], s[2:3]
	s_mov_b64 s[0:1], -1
	v_mov_b64_e32 v[12:13], 0
	s_and_saveexec_b64 s[2:3], s[4:5]
	s_cbranch_execz .LBB31_52
; %bb.49:
	v_lshrrev_b64 v[4:5], 8, v[4:5]
	v_lshl_add_u64 v[4:5], v[4:5], 0, 1
	v_and_b32_e32 v6, -2, v4
	v_mov_b32_e32 v7, v5
	v_xor_b32_e32 v12, 0x80000000, v3
	v_lshl_add_u64 v[18:19], v[10:11], 3, s[20:21]
	s_mov_b64 s[0:1], 0x804
	v_mov_b32_e32 v13, v12
	v_mov_b32_e32 v14, v2
	;; [unrolled: 1-line block ×5, first 2 shown]
	v_lshl_add_u64 v[18:19], v[18:19], 0, s[0:1]
	s_mov_b64 s[48:49], 0x100
	s_mov_b64 s[4:5], 0
	;; [unrolled: 1-line block ×3, first 2 shown]
	v_mov_b64_e32 v[20:21], v[6:7]
	s_mov_b64 s[52:53], 0
.LBB31_50:                              ; =>This Inner Loop Header: Depth=1
	global_load_dwordx2 v[24:25], v[18:19], off offset:-2052
	global_load_dwordx2 v[26:27], v[18:19], off offset:-4
	v_lshl_add_u32 v23, s52, 3, v22
	s_add_u32 s52, s52, 0x200
	s_addc_u32 s53, s53, 0
	v_lshl_add_u32 v32, s48, 3, v22
	v_lshl_add_u64 v[20:21], v[20:21], 0, -2
	s_add_u32 s48, s48, 0x200
	v_cmp_eq_u64_e64 s[0:1], 0, v[20:21]
	s_addc_u32 s49, s49, 0
	v_lshl_add_u64 v[18:19], v[18:19], 0, s[50:51]
	s_or_b64 s[4:5], s[0:1], s[4:5]
	s_waitcnt vmcnt(1)
	v_mov_b32_e32 v28, v24
	s_waitcnt vmcnt(0)
	v_mov_b32_e32 v29, v26
	v_mov_b32_e32 v26, v25
	v_pk_add_f32 v[30:31], v[26:27], 0 neg_lo:[1,1] neg_hi:[1,1]
	s_nop 0
	v_cndmask_b32_e64 v27, v27, v31, s[14:15]
	v_cndmask_b32_e64 v26, v25, v30, s[14:15]
	v_pk_mul_f32 v[24:25], v[26:27], v[12:13]
	v_pk_mul_f32 v[26:27], v[14:15], v[26:27]
	v_pk_fma_f32 v[24:25], v[14:15], v[28:29], v[24:25]
	v_pk_fma_f32 v[26:27], v[16:17], v[28:29], v[26:27]
	v_mov_b32_e32 v28, v24
	v_mov_b32_e32 v29, v26
	;; [unrolled: 1-line block ×3, first 2 shown]
	ds_write_b64 v23, v[28:29]
	ds_write_b64 v32, v[26:27]
	s_andn2_b64 exec, exec, s[4:5]
	s_cbranch_execnz .LBB31_50
; %bb.51:
	s_or_b64 exec, exec, s[4:5]
	v_cmp_ne_u64_e64 s[0:1], v[4:5], v[6:7]
	v_lshlrev_b64 v[12:13], 8, v[6:7]
	s_orn2_b64 s[0:1], s[0:1], exec
.LBB31_52:
	s_or_b64 exec, exec, s[2:3]
	s_andn2_b64 s[2:3], s[44:45], exec
	s_and_b64 s[0:1], s[0:1], exec
	s_or_b64 s[44:45], s[2:3], s[0:1]
.LBB31_53:
	s_or_b64 exec, exec, s[46:47]
	s_and_b64 exec, exec, s[44:45]
	s_cbranch_execz .LBB31_56
; %bb.54:
	v_lshlrev_b64 v[6:7], 3, v[10:11]
	v_lshl_add_u64 v[6:7], v[12:13], 3, v[6:7]
	v_lshl_add_u64 v[6:7], s[20:21], 0, v[6:7]
	;; [unrolled: 1-line block ×3, first 2 shown]
	v_lshlrev_b32_e32 v12, 3, v12
	v_xor_b32_e32 v4, 0x80000000, v3
	v_mov_b32_e32 v5, v2
	v_lshl_add_u64 v[6:7], v[6:7], 0, 4
	v_lshl_add_u32 v12, v0, 3, v12
	s_mov_b64 s[2:3], 0
	s_mov_b64 s[4:5], 0x800
	;; [unrolled: 1-line block ×3, first 2 shown]
.LBB31_55:                              ; =>This Inner Loop Header: Depth=1
	global_load_dwordx2 v[16:17], v[6:7], off offset:-4
	v_lshl_add_u64 v[14:15], v[14:15], 0, s[44:45]
	v_cmp_le_i64_e64 s[0:1], s[40:41], v[14:15]
	v_lshl_add_u64 v[6:7], v[6:7], 0, s[4:5]
	s_or_b64 s[2:3], s[0:1], s[2:3]
	s_waitcnt vmcnt(0)
	v_cndmask_b32_e64 v18, v17, -v17, s[14:15]
	v_pk_mul_f32 v[18:19], v[18:19], v[4:5] op_sel_hi:[0,1]
	v_pk_fma_f32 v[16:17], v[2:3], v[16:17], v[18:19] op_sel_hi:[1,0,1]
	ds_write_b64 v12, v[16:17]
	v_add_u32_e32 v12, 0x800, v12
	s_andn2_b64 exec, exec, s[2:3]
	s_cbranch_execnz .LBB31_55
.LBB31_56:
	s_or_b64 exec, exec, s[42:43]
                                        ; implicit-def: $vgpr2_vgpr3
	s_andn2_saveexec_b64 s[2:3], s[38:39]
	s_cbranch_execz .LBB31_45
.LBB31_57:
	v_lshl_add_u64 v[4:5], v[10:11], 3, s[20:21]
	s_movk_i32 s0, 0x1000
	global_load_dwordx2 v[6:7], v[4:5], off
	global_load_dwordx2 v[12:13], v[4:5], off offset:2048
	v_add_co_u32_e64 v4, s[0:1], s0, v4
	s_waitcnt vmcnt(1)
	v_cndmask_b32_e64 v18, v7, -v7, s[14:15]
	v_addc_co_u32_e64 v5, s[0:1], 0, v5, s[0:1]
	global_load_dwordx2 v[14:15], v[4:5], off
	global_load_dwordx2 v[16:17], v[4:5], off offset:2048
	v_xor_b32_e32 v4, 0x80000000, v3
	v_mov_b32_e32 v5, v2
	s_waitcnt vmcnt(2)
	v_cndmask_b32_e64 v20, v13, -v13, s[14:15]
	v_pk_mul_f32 v[18:19], v[18:19], v[4:5] op_sel_hi:[0,1]
	v_pk_mul_f32 v[20:21], v[20:21], v[4:5] op_sel_hi:[0,1]
	v_pk_fma_f32 v[6:7], v[2:3], v[6:7], v[18:19] op_sel_hi:[1,0,1]
	v_pk_fma_f32 v[12:13], v[2:3], v[12:13], v[20:21] op_sel_hi:[1,0,1]
	ds_write2st64_b64 v22, v[6:7], v[12:13] offset1:4
	s_waitcnt vmcnt(1)
	v_cndmask_b32_e64 v24, v15, -v15, s[14:15]
	s_waitcnt vmcnt(0)
	v_cndmask_b32_e64 v26, v17, -v17, s[14:15]
	v_pk_mul_f32 v[18:19], v[24:25], v[4:5] op_sel_hi:[0,1]
	v_pk_mul_f32 v[4:5], v[26:27], v[4:5] op_sel_hi:[0,1]
	v_pk_fma_f32 v[6:7], v[2:3], v[14:15], v[18:19] op_sel_hi:[1,0,1]
	v_pk_fma_f32 v[2:3], v[2:3], v[16:17], v[4:5] op_sel_hi:[1,0,1]
	ds_write2st64_b64 v22, v[6:7], v[2:3] offset0:8 offset1:12
	s_or_b64 exec, exec, s[2:3]
	v_cmp_gt_i64_e64 s[0:1], s[6:7], v[0:1]
	s_and_saveexec_b64 s[2:3], s[0:1]
	s_cbranch_execz .LBB31_65
.LBB31_58:
	v_mov_b32_e32 v3, -1
	v_not_b32_e32 v2, v0
	v_lshl_add_u64 v[4:5], s[6:7], 0, v[2:3]
	s_mov_b64 s[0:1], 0xff
	v_cmp_lt_u64_e64 s[0:1], s[0:1], v[4:5]
	s_mov_b64 s[14:15], -1
	v_mov_b64_e32 v[2:3], v[0:1]
	s_and_saveexec_b64 s[4:5], s[0:1]
	s_cbranch_execz .LBB31_62
; %bb.59:
	v_lshrrev_b64 v[2:3], 8, v[4:5]
	v_lshl_add_u64 v[12:13], v[2:3], 0, 1
	v_mov_b32_e32 v3, 0
	v_or_b32_e32 v4, 0x100, v0
	v_mov_b32_e32 v5, v3
	v_and_b32_e32 v14, -2, v12
	v_mov_b32_e32 v15, v13
	v_mov_b32_e32 v2, v0
	v_mov_b64_e32 v[6:7], v[4:5]
	s_mov_b64 s[14:15], 0
	v_mov_b32_e32 v18, 0x2000
	s_mov_b64 s[20:21], 0x200
	v_mov_b64_e32 v[16:17], v[14:15]
	v_mov_b64_e32 v[4:5], v[2:3]
.LBB31_60:                              ; =>This Inner Loop Header: Depth=1
	v_lshl_add_u64 v[16:17], v[16:17], 0, -2
	v_cmp_eq_u64_e64 s[0:1], 0, v[16:17]
	v_lshl_add_u32 v2, v4, 3, v18
	v_lshl_add_u32 v19, v6, 3, v18
	v_lshl_add_u64 v[6:7], v[6:7], 0, s[20:21]
	v_lshl_add_u64 v[4:5], v[4:5], 0, s[20:21]
	s_or_b64 s[14:15], s[0:1], s[14:15]
	ds_write2_b32 v2, v3, v3 offset1:1
	ds_write2_b32 v19, v3, v3 offset1:1
	s_andn2_b64 exec, exec, s[14:15]
	s_cbranch_execnz .LBB31_60
; %bb.61:
	s_or_b64 exec, exec, s[14:15]
	v_lshlrev_b64 v[2:3], 8, v[14:15]
	v_cmp_ne_u64_e64 s[0:1], v[12:13], v[14:15]
	v_or_b32_e32 v2, v2, v0
	s_orn2_b64 s[14:15], s[0:1], exec
.LBB31_62:
	s_or_b64 exec, exec, s[4:5]
	s_and_b64 exec, exec, s[14:15]
	s_cbranch_execz .LBB31_65
; %bb.63:
	v_mov_b32_e32 v4, 0x2000
	v_lshl_add_u32 v4, v2, 3, v4
	s_mov_b64 s[4:5], 0
	v_mov_b32_e32 v5, 0
	s_mov_b64 s[14:15], 0x100
.LBB31_64:                              ; =>This Inner Loop Header: Depth=1
	v_lshl_add_u64 v[2:3], v[2:3], 0, s[14:15]
	v_cmp_le_i64_e64 s[0:1], s[6:7], v[2:3]
	ds_write2_b32 v4, v5, v5 offset1:1
	s_or_b64 s[4:5], s[0:1], s[4:5]
	v_add_u32_e32 v4, 0x800, v4
	s_andn2_b64 exec, exec, s[4:5]
	s_cbranch_execnz .LBB31_64
.LBB31_65:
	s_or_b64 exec, exec, s[2:3]
	s_sub_u32 s2, s26, s6
	v_mov_b64_e32 v[2:3], s[6:7]
	s_subb_u32 s3, s27, s7
	v_cmp_ge_i64_e64 s[0:1], s[26:27], v[2:3]
	s_and_b64 s[0:1], s[0:1], exec
	s_cselect_b32 s5, s3, 0
	s_cselect_b32 s4, s2, 0
	s_waitcnt lgkmcnt(0)
	s_barrier
	s_and_saveexec_b64 s[0:1], vcc
	s_xor_b64 s[14:15], exec, s[0:1]
	s_cbranch_execz .LBB31_82
; %bb.66:
	s_lshl_b64 s[0:1], s[26:27], 3
	s_add_u32 s0, s16, s0
	s_addc_u32 s1, s17, s1
	s_load_dwordx2 s[0:1], s[0:1], 0x0
	s_waitcnt lgkmcnt(0)
	s_sub_u32 s20, s0, s8
	s_subb_u32 s21, s1, s9
	v_cmp_gt_i64_e32 vcc, s[20:21], v[0:1]
	s_and_saveexec_b64 s[38:39], vcc
	s_cbranch_execz .LBB31_81
; %bb.67:
	s_add_u32 s40, s26, -1
	s_addc_u32 s41, s27, -1
	s_add_u32 s2, s26, -2
	s_addc_u32 s3, s27, -1
	s_cmp_lg_u64 s[24:25], s[2:3]
	s_cselect_b64 s[2:3], -1, 0
	s_sub_u32 s42, s0, s34
	v_cndmask_b32_e64 v2, 0, 1, s[2:3]
	s_subb_u32 s43, s1, 0
	s_mov_b64 s[44:45], 0
	v_cmp_ne_u32_e64 s[0:1], 1, v2
	v_mov_b32_e32 v3, 0
	v_mov_b32_e32 v16, 0x2000
	s_mov_b64 s[46:47], 0
	s_branch .LBB31_70
.LBB31_68:                              ;   in Loop: Header=BB31_70 Depth=1
	s_or_b64 exec, exec, s[2:3]
.LBB31_69:                              ;   in Loop: Header=BB31_70 Depth=1
	s_or_b64 exec, exec, s[48:49]
	v_lshl_add_u64 v[6:7], v[6:7], 3, s[22:23]
	global_load_dwordx2 v[6:7], v[6:7], off
	s_add_u32 s46, s46, 0x100
	s_addc_u32 s47, s47, 0
	v_lshlrev_b32_e32 v2, 3, v4
	s_waitcnt lgkmcnt(0)
	v_xor_b32_e32 v4, 0x80000000, v9
	v_mov_b32_e32 v5, v8
	v_lshl_add_u64 v[12:13], s[46:47], 0, v[0:1]
	v_cmp_le_i64_e32 vcc, s[20:21], v[12:13]
	s_or_b64 s[44:45], vcc, s[44:45]
	s_waitcnt vmcnt(0)
	v_pk_mul_f32 v[4:5], v[6:7], v[4:5] op_sel:[1,0]
	s_nop 0
	v_pk_fma_f32 v[4:5], v[8:9], v[6:7], v[4:5] op_sel_hi:[1,0,1]
	ds_write_b64 v2, v[4:5]
	s_andn2_b64 exec, exec, s[44:45]
	s_cbranch_execz .LBB31_81
.LBB31_70:                              ; =>This Loop Header: Depth=1
                                        ;     Child Loop BB31_72 Depth 2
	v_lshl_add_u64 v[8:9], s[46:47], 0, v[10:11]
	s_and_b64 vcc, exec, s[0:1]
	v_mov_b64_e32 v[12:13], s[24:25]
	v_mov_b64_e32 v[14:15], s[40:41]
	s_cbranch_vccnz .LBB31_74
; %bb.71:                               ;   in Loop: Header=BB31_70 Depth=1
	s_mov_b64 s[48:49], 0
	v_mov_b64_e32 v[12:13], s[24:25]
	v_mov_b64_e32 v[14:15], s[40:41]
.LBB31_72:                              ;   Parent Loop BB31_70 Depth=1
                                        ; =>  This Inner Loop Header: Depth=2
	v_lshl_add_u64 v[4:5], v[14:15], 0, v[12:13]
	v_lshrrev_b32_e32 v2, 31, v5
	v_lshl_add_u64 v[4:5], v[4:5], 0, v[2:3]
	v_ashrrev_i64 v[4:5], 1, v[4:5]
	v_lshl_add_u64 v[6:7], v[4:5], 3, s[16:17]
	global_load_dwordx2 v[6:7], v[6:7], off
	s_waitcnt vmcnt(0)
	v_subrev_co_u32_e32 v6, vcc, s34, v6
	s_nop 1
	v_subbrev_co_u32_e32 v7, vcc, 0, v7, vcc
	v_cmp_lt_i64_e32 vcc, v[8:9], v[6:7]
	s_nop 1
	v_cndmask_b32_e32 v15, v15, v5, vcc
	v_cndmask_b32_e32 v14, v14, v4, vcc
	v_cndmask_b32_e32 v13, v5, v13, vcc
	v_cndmask_b32_e32 v12, v4, v12, vcc
	v_lshl_add_u64 v[4:5], v[14:15], 0, -1
	v_cmp_ge_i64_e32 vcc, v[12:13], v[14:15]
	v_cmp_eq_u64_e64 s[2:3], v[12:13], v[4:5]
	s_or_b64 s[2:3], vcc, s[2:3]
	s_and_b64 s[2:3], exec, s[2:3]
	s_or_b64 s[48:49], s[2:3], s[48:49]
	s_andn2_b64 exec, exec, s[48:49]
	s_cbranch_execnz .LBB31_72
; %bb.73:                               ;   in Loop: Header=BB31_70 Depth=1
	s_or_b64 exec, exec, s[48:49]
.LBB31_74:                              ;   in Loop: Header=BB31_70 Depth=1
	v_lshl_add_u64 v[4:5], v[14:15], 3, s[16:17]
	global_load_dwordx2 v[6:7], v[4:5], off
	v_lshl_add_u64 v[4:5], v[8:9], 3, s[18:19]
	global_load_dwordx2 v[18:19], v[4:5], off
	v_lshl_add_u64 v[4:5], s[46:47], 0, v[0:1]
	v_cmp_le_i64_e32 vcc, s[42:43], v[8:9]
	v_lshlrev_b32_e32 v2, 3, v4
	s_waitcnt vmcnt(1)
	v_subrev_co_u32_e64 v20, s[2:3], s34, v6
	s_nop 1
	v_subbrev_co_u32_e64 v21, s[2:3], 0, v7, s[2:3]
	s_waitcnt vmcnt(0)
	v_subrev_co_u32_e64 v6, s[2:3], s34, v18
	s_nop 1
	v_subbrev_co_u32_e64 v7, s[2:3], 0, v19, s[2:3]
	v_cmp_lt_i64_e64 s[2:3], v[8:9], v[20:21]
                                        ; implicit-def: $vgpr8_vgpr9
	s_nop 1
	v_cndmask_b32_e64 v13, v15, v13, s[2:3]
	v_cndmask_b32_e64 v12, v14, v12, s[2:3]
	v_cmp_eq_u64_e64 s[2:3], v[6:7], v[12:13]
	s_or_b64 s[2:3], s[2:3], vcc
	s_and_saveexec_b64 s[48:49], s[2:3]
	s_xor_b64 s[2:3], exec, s[48:49]
; %bb.75:                               ;   in Loop: Header=BB31_70 Depth=1
	ds_read_b64 v[8:9], v2
                                        ; implicit-def: $vgpr2
                                        ; implicit-def: $vgpr12_vgpr13
; %bb.76:                               ;   in Loop: Header=BB31_70 Depth=1
	s_andn2_saveexec_b64 s[48:49], s[2:3]
	s_cbranch_execz .LBB31_69
; %bb.77:                               ;   in Loop: Header=BB31_70 Depth=1
	v_cmp_gt_i64_e32 vcc, s[4:5], v[6:7]
	v_cmp_le_i64_e64 s[2:3], s[26:27], v[6:7]
	s_or_b64 s[2:3], vcc, s[2:3]
	v_lshl_add_u64 v[12:13], v[12:13], 3, s[22:23]
                                        ; implicit-def: $vgpr8_vgpr9
	s_and_saveexec_b64 s[50:51], s[2:3]
	s_xor_b64 s[2:3], exec, s[50:51]
	s_cbranch_execz .LBB31_79
; %bb.78:                               ;   in Loop: Header=BB31_70 Depth=1
	global_load_dwordx2 v[12:13], v[12:13], off
	s_waitcnt lgkmcnt(0)
	ds_read_b64 v[8:9], v2
	v_lshl_add_u64 v[14:15], v[6:7], 3, s[28:29]
	s_waitcnt vmcnt(0) lgkmcnt(0)
	v_mul_f32_e64 v2, v13, -v9
	v_mul_f32_e32 v5, v13, v8
	v_fmac_f32_e32 v2, v8, v12
	v_fmac_f32_e32 v5, v9, v12
	global_atomic_add_f32 v[14:15], v2, off
	global_atomic_add_f32 v[14:15], v5, off offset:4
                                        ; implicit-def: $vgpr2
                                        ; implicit-def: $vgpr12_vgpr13
.LBB31_79:                              ;   in Loop: Header=BB31_70 Depth=1
	s_andn2_saveexec_b64 s[2:3], s[2:3]
	s_cbranch_execz .LBB31_68
; %bb.80:                               ;   in Loop: Header=BB31_70 Depth=1
	global_load_dwordx2 v[12:13], v[12:13], off
	s_waitcnt lgkmcnt(0)
	ds_read_b64 v[8:9], v2
	v_subrev_u32_e32 v2, s4, v6
	v_lshl_add_u32 v2, v2, 3, v16
	s_waitcnt vmcnt(0) lgkmcnt(0)
	v_mul_f32_e64 v5, v13, -v9
	v_mul_f32_e32 v13, v13, v8
	v_fmac_f32_e32 v5, v8, v12
	v_fmac_f32_e32 v13, v9, v12
	ds_add_f32 v2, v5
	ds_add_f32 v2, v13 offset:4
	s_branch .LBB31_68
.LBB31_81:
	s_or_b64 exec, exec, s[38:39]
                                        ; implicit-def: $vgpr8_vgpr9
                                        ; implicit-def: $vgpr10_vgpr11
.LBB31_82:
	s_andn2_saveexec_b64 s[14:15], s[14:15]
	s_cbranch_execz .LBB31_124
; %bb.83:
	s_add_u32 s20, s26, -1
	s_addc_u32 s21, s27, -1
	s_add_u32 s0, s26, -2
	s_addc_u32 s1, s27, -1
	s_cmp_lg_u64 s[24:25], s[0:1]
	s_cselect_b64 s[2:3], -1, 0
	s_cmp_eq_u64 s[24:25], s[0:1]
	v_mov_b64_e32 v[4:5], s[24:25]
	v_mov_b64_e32 v[6:7], s[20:21]
	s_cbranch_scc1 .LBB31_87
; %bb.84:
	s_mov_b64 s[38:39], 0
	v_mov_b64_e32 v[4:5], s[24:25]
	v_mov_b64_e32 v[6:7], s[20:21]
	v_mov_b32_e32 v3, 0
.LBB31_85:                              ; =>This Inner Loop Header: Depth=1
	v_lshl_add_u64 v[12:13], v[6:7], 0, v[4:5]
	v_lshrrev_b32_e32 v2, 31, v13
	v_lshl_add_u64 v[12:13], v[12:13], 0, v[2:3]
	v_ashrrev_i64 v[12:13], 1, v[12:13]
	v_lshl_add_u64 v[14:15], v[12:13], 3, s[16:17]
	global_load_dwordx2 v[14:15], v[14:15], off
	s_waitcnt vmcnt(0)
	v_subrev_co_u32_e32 v14, vcc, s34, v14
	s_nop 1
	v_subbrev_co_u32_e32 v15, vcc, 0, v15, vcc
	v_cmp_lt_i64_e32 vcc, v[10:11], v[14:15]
	s_nop 1
	v_cndmask_b32_e32 v7, v7, v13, vcc
	v_cndmask_b32_e32 v6, v6, v12, vcc
	;; [unrolled: 1-line block ×4, first 2 shown]
	v_lshl_add_u64 v[12:13], v[6:7], 0, -1
	v_cmp_ge_i64_e32 vcc, v[4:5], v[6:7]
	v_cmp_eq_u64_e64 s[0:1], v[4:5], v[12:13]
	s_or_b64 s[0:1], vcc, s[0:1]
	s_and_b64 s[0:1], exec, s[0:1]
	s_or_b64 s[38:39], s[0:1], s[38:39]
	s_andn2_b64 exec, exec, s[38:39]
	s_cbranch_execnz .LBB31_85
; %bb.86:
	s_or_b64 exec, exec, s[38:39]
.LBB31_87:
	v_lshl_add_u64 v[2:3], v[6:7], 3, s[16:17]
	global_load_dwordx2 v[12:13], v[2:3], off
	v_lshl_add_u64 v[2:3], v[10:11], 3, s[18:19]
	global_load_dwordx2 v[14:15], v[2:3], off
	s_lshl_b64 s[0:1], s[26:27], 3
	s_add_u32 s18, s16, s0
	s_addc_u32 s19, s17, s1
	s_waitcnt vmcnt(1)
	v_subrev_co_u32_e32 v12, vcc, s34, v12
	s_nop 1
	v_subbrev_co_u32_e32 v13, vcc, 0, v13, vcc
	v_cmp_lt_i64_e32 vcc, v[10:11], v[12:13]
	s_nop 1
	v_cndmask_b32_e32 v7, v7, v5, vcc
	v_cndmask_b32_e32 v6, v6, v4, vcc
	s_waitcnt vmcnt(0)
	v_subrev_co_u32_e32 v4, vcc, s34, v14
	s_nop 1
	v_subbrev_co_u32_e32 v5, vcc, 0, v15, vcc
	v_cmp_ne_u64_e32 vcc, v[4:5], v[6:7]
	s_and_saveexec_b64 s[38:39], vcc
	s_cbranch_execz .LBB31_93
; %bb.88:
	s_load_dwordx2 s[0:1], s[18:19], 0x0
	s_waitcnt lgkmcnt(0)
	s_sub_u32 s0, s0, s34
	s_subb_u32 s1, s1, 0
	v_cmp_gt_i64_e32 vcc, s[0:1], v[10:11]
	s_and_b64 exec, exec, vcc
	s_cbranch_execz .LBB31_93
; %bb.89:
	v_cmp_gt_i64_e32 vcc, s[4:5], v[4:5]
	v_cmp_le_i64_e64 s[0:1], s[26:27], v[4:5]
	s_or_b64 s[0:1], vcc, s[0:1]
	v_lshl_add_u64 v[6:7], v[6:7], 3, s[22:23]
	s_and_saveexec_b64 s[40:41], s[0:1]
	s_xor_b64 s[0:1], exec, s[40:41]
	s_cbranch_execz .LBB31_91
; %bb.90:
	global_load_dwordx2 v[6:7], v[6:7], off
	ds_read_b64 v[12:13], v22
	v_lshl_add_u64 v[14:15], v[4:5], 3, s[28:29]
	s_waitcnt vmcnt(0) lgkmcnt(0)
	v_mul_f32_e64 v16, v7, -v13
	v_mul_f32_e32 v7, v7, v12
	v_fmac_f32_e32 v16, v12, v6
	v_fmac_f32_e32 v7, v13, v6
	global_atomic_add_f32 v[14:15], v16, off
	global_atomic_add_f32 v[14:15], v7, off offset:4
                                        ; implicit-def: $vgpr6_vgpr7
.LBB31_91:
	s_andn2_saveexec_b64 s[0:1], s[0:1]
	s_cbranch_execz .LBB31_93
; %bb.92:
	global_load_dwordx2 v[6:7], v[6:7], off
	ds_read_b64 v[12:13], v22
	v_subrev_u32_e32 v14, s4, v4
	v_mov_b32_e32 v15, 0x2000
	v_lshl_add_u32 v14, v14, 3, v15
	s_waitcnt vmcnt(0) lgkmcnt(0)
	v_mul_f32_e64 v15, v7, -v13
	v_mul_f32_e32 v7, v7, v12
	v_fmac_f32_e32 v15, v12, v6
	v_fmac_f32_e32 v7, v13, v6
	ds_add_f32 v14, v15
	ds_add_f32 v14, v7 offset:4
.LBB31_93:
	s_or_b64 exec, exec, s[38:39]
	v_lshl_add_u64 v[4:5], v[4:5], 3, s[22:23]
	global_load_dwordx2 v[12:13], v[4:5], off
	ds_read_b64 v[14:15], v22
	s_mov_b64 s[0:1], 0x100
	v_cndmask_b32_e64 v16, 0, 1, s[2:3]
	v_lshl_add_u64 v[4:5], v[10:11], 0, s[0:1]
	v_cmp_ne_u32_e64 s[0:1], 1, v16
	s_waitcnt lgkmcnt(0)
	v_xor_b32_e32 v16, 0x80000000, v15
	v_mov_b32_e32 v17, v14
	v_mov_b64_e32 v[6:7], s[24:25]
	s_andn2_b64 vcc, exec, s[2:3]
	s_waitcnt vmcnt(0)
	v_pk_mul_f32 v[16:17], v[12:13], v[16:17] op_sel:[1,0]
	s_nop 0
	v_pk_fma_f32 v[12:13], v[14:15], v[12:13], v[16:17] op_sel_hi:[1,0,1]
	ds_write_b64 v22, v[12:13]
	v_mov_b64_e32 v[12:13], s[20:21]
	s_cbranch_vccnz .LBB31_97
; %bb.94:
	s_mov_b64 s[38:39], 0
	v_mov_b64_e32 v[6:7], s[24:25]
	v_mov_b64_e32 v[12:13], s[20:21]
	v_mov_b32_e32 v15, 0
.LBB31_95:                              ; =>This Inner Loop Header: Depth=1
	v_lshl_add_u64 v[16:17], v[12:13], 0, v[6:7]
	v_lshrrev_b32_e32 v14, 31, v17
	v_lshl_add_u64 v[16:17], v[16:17], 0, v[14:15]
	v_ashrrev_i64 v[16:17], 1, v[16:17]
	v_lshl_add_u64 v[18:19], v[16:17], 3, s[16:17]
	global_load_dwordx2 v[18:19], v[18:19], off
	s_waitcnt vmcnt(0)
	v_subrev_co_u32_e32 v18, vcc, s34, v18
	s_nop 1
	v_subbrev_co_u32_e32 v19, vcc, 0, v19, vcc
	v_cmp_lt_i64_e32 vcc, v[4:5], v[18:19]
	s_nop 1
	v_cndmask_b32_e32 v13, v13, v17, vcc
	v_cndmask_b32_e32 v12, v12, v16, vcc
	;; [unrolled: 1-line block ×4, first 2 shown]
	v_lshl_add_u64 v[16:17], v[12:13], 0, -1
	v_cmp_ge_i64_e32 vcc, v[6:7], v[12:13]
	v_cmp_eq_u64_e64 s[2:3], v[6:7], v[16:17]
	s_or_b64 s[2:3], vcc, s[2:3]
	s_and_b64 s[2:3], exec, s[2:3]
	s_or_b64 s[38:39], s[2:3], s[38:39]
	s_andn2_b64 exec, exec, s[38:39]
	s_cbranch_execnz .LBB31_95
; %bb.96:
	s_or_b64 exec, exec, s[38:39]
.LBB31_97:
	v_lshl_add_u64 v[14:15], v[12:13], 3, s[16:17]
	global_load_dwordx2 v[16:17], v[14:15], off
	global_load_dwordx2 v[18:19], v[2:3], off offset:2048
	s_waitcnt vmcnt(1)
	v_subrev_co_u32_e32 v14, vcc, s34, v16
	s_nop 1
	v_subbrev_co_u32_e32 v15, vcc, 0, v17, vcc
	v_cmp_lt_i64_e32 vcc, v[4:5], v[14:15]
	s_nop 1
	v_cndmask_b32_e32 v13, v13, v7, vcc
	v_cndmask_b32_e32 v12, v12, v6, vcc
	s_waitcnt vmcnt(0)
	v_subrev_co_u32_e32 v6, vcc, s34, v18
	s_nop 1
	v_subbrev_co_u32_e32 v7, vcc, 0, v19, vcc
	v_cmp_ne_u64_e32 vcc, v[6:7], v[12:13]
	s_and_saveexec_b64 s[38:39], vcc
	s_cbranch_execz .LBB31_103
; %bb.98:
	s_load_dwordx2 s[2:3], s[18:19], 0x0
	s_waitcnt lgkmcnt(0)
	s_sub_u32 s2, s2, s34
	s_subb_u32 s3, s3, 0
	v_cmp_gt_i64_e32 vcc, s[2:3], v[4:5]
	s_and_b64 exec, exec, vcc
	s_cbranch_execz .LBB31_103
; %bb.99:
	v_cmp_gt_i64_e32 vcc, s[4:5], v[6:7]
	v_cmp_le_i64_e64 s[2:3], s[26:27], v[6:7]
	s_or_b64 s[2:3], vcc, s[2:3]
	v_lshl_add_u64 v[4:5], v[12:13], 3, s[22:23]
	s_and_saveexec_b64 s[40:41], s[2:3]
	s_xor_b64 s[2:3], exec, s[40:41]
	s_cbranch_execz .LBB31_101
; %bb.100:
	global_load_dwordx2 v[4:5], v[4:5], off
	ds_read_b64 v[12:13], v22 offset:2048
	v_lshl_add_u64 v[14:15], v[6:7], 3, s[28:29]
	s_waitcnt vmcnt(0) lgkmcnt(0)
	v_mul_f32_e64 v16, v5, -v13
	v_mul_f32_e32 v5, v5, v12
	v_fmac_f32_e32 v16, v12, v4
	v_fmac_f32_e32 v5, v13, v4
	global_atomic_add_f32 v[14:15], v16, off
	global_atomic_add_f32 v[14:15], v5, off offset:4
                                        ; implicit-def: $vgpr4_vgpr5
.LBB31_101:
	s_andn2_saveexec_b64 s[2:3], s[2:3]
	s_cbranch_execz .LBB31_103
; %bb.102:
	global_load_dwordx2 v[4:5], v[4:5], off
	ds_read_b64 v[12:13], v22 offset:2048
	v_subrev_u32_e32 v14, s4, v6
	v_mov_b32_e32 v15, 0x2000
	v_lshl_add_u32 v14, v14, 3, v15
	s_waitcnt vmcnt(0) lgkmcnt(0)
	v_mul_f32_e64 v15, v5, -v13
	v_mul_f32_e32 v5, v5, v12
	v_fmac_f32_e32 v15, v12, v4
	v_fmac_f32_e32 v5, v13, v4
	ds_add_f32 v14, v15
	ds_add_f32 v14, v5 offset:4
.LBB31_103:
	s_or_b64 exec, exec, s[38:39]
	v_lshl_add_u64 v[4:5], v[6:7], 3, s[22:23]
	global_load_dwordx2 v[12:13], v[4:5], off
	ds_read_b64 v[14:15], v22 offset:2048
	s_mov_b64 s[2:3], 0x200
	v_lshl_add_u64 v[4:5], v[10:11], 0, s[2:3]
	s_and_b64 vcc, exec, s[0:1]
	v_mov_b64_e32 v[6:7], s[24:25]
	s_waitcnt lgkmcnt(0)
	v_xor_b32_e32 v10, 0x80000000, v15
	v_mov_b32_e32 v11, v14
	s_waitcnt vmcnt(0)
	v_pk_mul_f32 v[10:11], v[12:13], v[10:11] op_sel:[1,0]
	s_nop 0
	v_pk_fma_f32 v[10:11], v[14:15], v[12:13], v[10:11] op_sel_hi:[1,0,1]
	ds_write_b64 v22, v[10:11] offset:2048
	v_mov_b64_e32 v[10:11], s[20:21]
	s_cbranch_vccnz .LBB31_107
; %bb.104:
	s_mov_b64 s[38:39], 0
	v_mov_b64_e32 v[6:7], s[24:25]
	v_mov_b64_e32 v[10:11], s[20:21]
	v_mov_b32_e32 v13, 0
.LBB31_105:                             ; =>This Inner Loop Header: Depth=1
	v_lshl_add_u64 v[14:15], v[10:11], 0, v[6:7]
	v_lshrrev_b32_e32 v12, 31, v15
	v_lshl_add_u64 v[14:15], v[14:15], 0, v[12:13]
	v_ashrrev_i64 v[14:15], 1, v[14:15]
	v_lshl_add_u64 v[16:17], v[14:15], 3, s[16:17]
	global_load_dwordx2 v[16:17], v[16:17], off
	s_waitcnt vmcnt(0)
	v_subrev_co_u32_e32 v16, vcc, s34, v16
	s_nop 1
	v_subbrev_co_u32_e32 v17, vcc, 0, v17, vcc
	v_cmp_lt_i64_e32 vcc, v[4:5], v[16:17]
	s_nop 1
	v_cndmask_b32_e32 v11, v11, v15, vcc
	v_cndmask_b32_e32 v10, v10, v14, vcc
	v_cndmask_b32_e32 v7, v15, v7, vcc
	v_cndmask_b32_e32 v6, v14, v6, vcc
	v_lshl_add_u64 v[14:15], v[10:11], 0, -1
	v_cmp_ge_i64_e32 vcc, v[6:7], v[10:11]
	v_cmp_eq_u64_e64 s[2:3], v[6:7], v[14:15]
	s_or_b64 s[2:3], vcc, s[2:3]
	s_and_b64 s[2:3], exec, s[2:3]
	s_or_b64 s[38:39], s[2:3], s[38:39]
	s_andn2_b64 exec, exec, s[38:39]
	s_cbranch_execnz .LBB31_105
; %bb.106:
	s_or_b64 exec, exec, s[38:39]
.LBB31_107:
	v_lshl_add_u64 v[12:13], v[10:11], 3, s[16:17]
	global_load_dwordx2 v[12:13], v[12:13], off
	v_add_co_u32_e32 v14, vcc, 0x1000, v2
	s_nop 1
	v_addc_co_u32_e32 v15, vcc, 0, v3, vcc
	global_load_dwordx2 v[14:15], v[14:15], off
	s_waitcnt vmcnt(1)
	v_subrev_co_u32_e32 v12, vcc, s34, v12
	s_nop 1
	v_subbrev_co_u32_e32 v13, vcc, 0, v13, vcc
	v_cmp_lt_i64_e32 vcc, v[4:5], v[12:13]
	s_nop 1
	v_cndmask_b32_e32 v11, v11, v7, vcc
	v_cndmask_b32_e32 v10, v10, v6, vcc
	s_waitcnt vmcnt(0)
	v_subrev_co_u32_e32 v6, vcc, s34, v14
	s_nop 1
	v_subbrev_co_u32_e32 v7, vcc, 0, v15, vcc
	v_cmp_ne_u64_e32 vcc, v[6:7], v[10:11]
	s_and_saveexec_b64 s[38:39], vcc
	s_cbranch_execz .LBB31_113
; %bb.108:
	s_load_dwordx2 s[2:3], s[18:19], 0x0
	s_waitcnt lgkmcnt(0)
	s_sub_u32 s2, s2, s34
	s_subb_u32 s3, s3, 0
	v_cmp_gt_i64_e32 vcc, s[2:3], v[4:5]
	s_and_b64 exec, exec, vcc
	s_cbranch_execz .LBB31_113
; %bb.109:
	v_cmp_gt_i64_e32 vcc, s[4:5], v[6:7]
	v_cmp_le_i64_e64 s[2:3], s[26:27], v[6:7]
	s_or_b64 s[2:3], vcc, s[2:3]
	v_lshl_add_u64 v[4:5], v[10:11], 3, s[22:23]
	s_and_saveexec_b64 s[40:41], s[2:3]
	s_xor_b64 s[2:3], exec, s[40:41]
	s_cbranch_execz .LBB31_111
; %bb.110:
	global_load_dwordx2 v[4:5], v[4:5], off
	ds_read_b64 v[10:11], v22 offset:4096
	v_lshl_add_u64 v[12:13], v[6:7], 3, s[28:29]
	s_waitcnt vmcnt(0) lgkmcnt(0)
	v_mul_f32_e64 v14, v5, -v11
	v_mul_f32_e32 v5, v5, v10
	v_fmac_f32_e32 v14, v10, v4
	v_fmac_f32_e32 v5, v11, v4
	global_atomic_add_f32 v[12:13], v14, off
	global_atomic_add_f32 v[12:13], v5, off offset:4
                                        ; implicit-def: $vgpr4_vgpr5
.LBB31_111:
	s_andn2_saveexec_b64 s[2:3], s[2:3]
	s_cbranch_execz .LBB31_113
; %bb.112:
	global_load_dwordx2 v[4:5], v[4:5], off
	ds_read_b64 v[10:11], v22 offset:4096
	v_subrev_u32_e32 v12, s4, v6
	v_mov_b32_e32 v13, 0x2000
	v_lshl_add_u32 v12, v12, 3, v13
	s_waitcnt vmcnt(0) lgkmcnt(0)
	v_mul_f32_e64 v13, v5, -v11
	v_mul_f32_e32 v5, v5, v10
	v_fmac_f32_e32 v13, v10, v4
	v_fmac_f32_e32 v5, v11, v4
	ds_add_f32 v12, v13
	ds_add_f32 v12, v5 offset:4
.LBB31_113:
	s_or_b64 exec, exec, s[38:39]
	v_lshl_add_u64 v[4:5], v[6:7], 3, s[22:23]
	global_load_dwordx2 v[6:7], v[4:5], off
	ds_read_b64 v[10:11], v22 offset:4096
	s_and_b64 vcc, exec, s[0:1]
	v_mov_b64_e32 v[4:5], s[24:25]
	s_waitcnt lgkmcnt(0)
	v_xor_b32_e32 v12, 0x80000000, v11
	v_mov_b32_e32 v13, v10
	s_waitcnt vmcnt(0)
	v_pk_mul_f32 v[12:13], v[6:7], v[12:13] op_sel:[1,0]
	s_nop 0
	v_pk_fma_f32 v[6:7], v[10:11], v[6:7], v[12:13] op_sel_hi:[1,0,1]
	ds_write_b64 v22, v[6:7] offset:4096
	v_mov_b64_e32 v[6:7], s[20:21]
	s_cbranch_vccnz .LBB31_117
; %bb.114:
	s_mov_b64 s[2:3], 0
	v_mov_b64_e32 v[4:5], s[24:25]
	v_mov_b64_e32 v[6:7], s[20:21]
	v_mov_b32_e32 v11, 0
.LBB31_115:                             ; =>This Inner Loop Header: Depth=1
	v_lshl_add_u64 v[12:13], v[6:7], 0, v[4:5]
	v_lshrrev_b32_e32 v10, 31, v13
	v_lshl_add_u64 v[12:13], v[12:13], 0, v[10:11]
	v_ashrrev_i64 v[12:13], 1, v[12:13]
	v_lshl_add_u64 v[14:15], v[12:13], 3, s[16:17]
	global_load_dwordx2 v[14:15], v[14:15], off
	s_waitcnt vmcnt(0)
	v_subrev_co_u32_e32 v14, vcc, s34, v14
	s_nop 1
	v_subbrev_co_u32_e32 v15, vcc, 0, v15, vcc
	v_cmp_lt_i64_e32 vcc, v[8:9], v[14:15]
	s_nop 1
	v_cndmask_b32_e32 v7, v7, v13, vcc
	v_cndmask_b32_e32 v6, v6, v12, vcc
	;; [unrolled: 1-line block ×4, first 2 shown]
	v_lshl_add_u64 v[12:13], v[6:7], 0, -1
	v_cmp_ge_i64_e32 vcc, v[4:5], v[6:7]
	v_cmp_eq_u64_e64 s[0:1], v[4:5], v[12:13]
	s_or_b64 s[0:1], vcc, s[0:1]
	s_and_b64 s[0:1], exec, s[0:1]
	s_or_b64 s[2:3], s[0:1], s[2:3]
	s_andn2_b64 exec, exec, s[2:3]
	s_cbranch_execnz .LBB31_115
; %bb.116:
	s_or_b64 exec, exec, s[2:3]
.LBB31_117:
	v_lshl_add_u64 v[10:11], v[6:7], 3, s[16:17]
	global_load_dwordx2 v[10:11], v[10:11], off
	v_add_co_u32_e32 v2, vcc, 0x1000, v2
	s_nop 1
	v_addc_co_u32_e32 v3, vcc, 0, v3, vcc
	global_load_dwordx2 v[2:3], v[2:3], off offset:2048
	s_waitcnt vmcnt(1)
	v_subrev_co_u32_e32 v10, vcc, s34, v10
	s_nop 1
	v_subbrev_co_u32_e32 v11, vcc, 0, v11, vcc
	v_cmp_lt_i64_e32 vcc, v[8:9], v[10:11]
	s_nop 1
	v_cndmask_b32_e32 v5, v7, v5, vcc
	v_cndmask_b32_e32 v4, v6, v4, vcc
	s_waitcnt vmcnt(0)
	v_subrev_co_u32_e32 v2, vcc, s34, v2
	s_nop 1
	v_subbrev_co_u32_e32 v3, vcc, 0, v3, vcc
	v_cmp_ne_u64_e32 vcc, v[2:3], v[4:5]
	s_and_saveexec_b64 s[2:3], vcc
	s_cbranch_execz .LBB31_123
; %bb.118:
	s_load_dwordx2 s[0:1], s[18:19], 0x0
	s_waitcnt lgkmcnt(0)
	s_sub_u32 s0, s0, s34
	s_subb_u32 s1, s1, 0
	v_cmp_gt_i64_e32 vcc, s[0:1], v[8:9]
	s_and_b64 exec, exec, vcc
	s_cbranch_execz .LBB31_123
; %bb.119:
	v_cmp_gt_i64_e32 vcc, s[4:5], v[2:3]
	v_cmp_le_i64_e64 s[0:1], s[26:27], v[2:3]
	s_or_b64 s[0:1], vcc, s[0:1]
	v_lshl_add_u64 v[4:5], v[4:5], 3, s[22:23]
	s_and_saveexec_b64 s[18:19], s[0:1]
	s_xor_b64 s[0:1], exec, s[18:19]
	s_cbranch_execz .LBB31_121
; %bb.120:
	global_load_dwordx2 v[4:5], v[4:5], off
	ds_read_b64 v[6:7], v22 offset:6144
	v_lshl_add_u64 v[8:9], v[2:3], 3, s[28:29]
	s_waitcnt vmcnt(0) lgkmcnt(0)
	v_mul_f32_e64 v10, v5, -v7
	v_mul_f32_e32 v5, v5, v6
	v_fmac_f32_e32 v10, v6, v4
	v_fmac_f32_e32 v5, v7, v4
	global_atomic_add_f32 v[8:9], v10, off
	global_atomic_add_f32 v[8:9], v5, off offset:4
                                        ; implicit-def: $vgpr4_vgpr5
.LBB31_121:
	s_andn2_saveexec_b64 s[0:1], s[0:1]
	s_cbranch_execz .LBB31_123
; %bb.122:
	global_load_dwordx2 v[4:5], v[4:5], off
	ds_read_b64 v[6:7], v22 offset:6144
	v_subrev_u32_e32 v8, s4, v2
	v_mov_b32_e32 v9, 0x2000
	v_lshl_add_u32 v8, v8, 3, v9
	s_waitcnt vmcnt(0) lgkmcnt(0)
	v_mul_f32_e64 v9, v5, -v7
	v_mul_f32_e32 v5, v5, v6
	v_fmac_f32_e32 v9, v6, v4
	v_fmac_f32_e32 v5, v7, v4
	ds_add_f32 v8, v9
	ds_add_f32 v8, v5 offset:4
.LBB31_123:
	s_or_b64 exec, exec, s[2:3]
	v_lshl_add_u64 v[2:3], v[2:3], 3, s[22:23]
	global_load_dwordx2 v[2:3], v[2:3], off
	ds_read_b64 v[4:5], v22 offset:6144
	s_waitcnt lgkmcnt(0)
	v_xor_b32_e32 v6, 0x80000000, v5
	v_mov_b32_e32 v7, v4
	s_waitcnt vmcnt(0)
	v_pk_mul_f32 v[6:7], v[2:3], v[6:7] op_sel:[1,0]
	s_nop 0
	v_pk_fma_f32 v[2:3], v[4:5], v[2:3], v[6:7] op_sel_hi:[1,0,1]
	ds_write_b64 v22, v[2:3] offset:6144
.LBB31_124:
	s_or_b64 exec, exec, s[14:15]
	v_mov_b64_e32 v[2:3], s[6:7]
	v_cmp_lt_i64_e32 vcc, s[26:27], v[2:3]
	s_and_b64 s[0:1], vcc, exec
	s_cselect_b32 s18, s26, s6
	s_cselect_b32 s0, s27, s7
	s_sub_u32 s2, s18, s30
	s_subb_u32 s3, s0, s31
	v_cmp_gt_i64_e32 vcc, s[2:3], v[0:1]
	s_waitcnt lgkmcnt(0)
	s_barrier
	s_and_saveexec_b64 s[0:1], vcc
	s_cbranch_execz .LBB31_127
; %bb.125:
	v_mov_b64_e32 v[2:3], s[6:7]
	v_cmp_gt_i64_e32 vcc, s[26:27], v[2:3]
	s_and_b64 s[4:5], vcc, exec
	s_cselect_b32 s5, s27, s7
	s_cselect_b32 s4, s26, s6
	v_lshlrev_b32_e32 v2, 3, v0
	v_mov_b32_e32 v3, 0
	v_lshl_add_u64 v[2:3], s[4:5], 3, v[2:3]
	s_lshl_b64 s[4:5], s[6:7], 3
	v_mov_b32_e32 v4, s5
	v_subrev_co_u32_e32 v2, vcc, s4, v2
	v_or_b32_e32 v2, 4, v2
	s_nop 0
	v_subb_co_u32_e32 v3, vcc, v3, v4, vcc
	v_mov_b32_e32 v4, 0x2000
	v_lshl_add_u64 v[2:3], s[28:29], 0, v[2:3]
	v_lshl_add_u32 v6, v0, 3, v4
	s_mov_b64 s[4:5], 0
	s_mov_b64 s[6:7], 0x100
	;; [unrolled: 1-line block ×3, first 2 shown]
	v_mov_b64_e32 v[4:5], v[0:1]
.LBB31_126:                             ; =>This Inner Loop Header: Depth=1
	ds_read2_b32 v[8:9], v6 offset1:1
	v_lshl_add_u64 v[4:5], v[4:5], 0, s[6:7]
	v_cmp_le_i64_e32 vcc, s[2:3], v[4:5]
	v_add_u32_e32 v6, 0x800, v6
	s_or_b64 s[4:5], vcc, s[4:5]
	s_waitcnt lgkmcnt(0)
	global_atomic_add_f32 v[2:3], v8, off offset:-4
	global_atomic_add_f32 v[2:3], v9, off
	v_lshl_add_u64 v[2:3], v[2:3], 0, s[14:15]
	s_andn2_b64 exec, exec, s[4:5]
	s_cbranch_execnz .LBB31_126
.LBB31_127:
	s_or_b64 exec, exec, s[0:1]
	s_add_i32 s0, s36, -1
	s_ashr_i32 s1, s0, 1
	s_or_b32 s0, s1, s0
	s_ashr_i32 s1, s0, 2
	s_or_b32 s0, s1, s0
	;; [unrolled: 2-line block ×5, first 2 shown]
	s_add_i32 s0, s0, 1
	s_ashr_i32 s3, s0, 1
	v_lshl_add_u64 v[6:7], s[24:25], 0, v[0:1]
	s_cmp_gt_i32 s3, 1
	s_mov_b64 s[0:1], -1
	s_barrier
	s_cbranch_scc1 .LBB31_136
; %bb.128:
	v_cmp_gt_i64_e32 vcc, s[26:27], v[6:7]
	s_and_saveexec_b64 s[0:1], vcc
	s_cbranch_execz .LBB31_135
; %bb.129:
	s_sub_i32 s4, s18, s26
	s_lshl_b32 s4, s4, 3
	s_add_i32 s18, s4, 0x2000
	s_lshl_b32 s4, s8, 3
	s_sub_i32 s19, 0, s4
	s_mov_b64 s[4:5], 0
	v_mov_b64_e32 v[8:9], v[6:7]
	s_branch .LBB31_131
.LBB31_130:                             ;   in Loop: Header=BB31_131 Depth=1
	s_or_b64 exec, exec, s[6:7]
	v_lshl_add_u32 v2, v8, 3, s18
	ds_read2_b32 v[2:3], v2 offset1:1
	s_waitcnt lgkmcnt(0)
	v_add_f32_e32 v4, v10, v2
	v_add_f32_e32 v5, v11, v3
	v_lshl_add_u64 v[2:3], v[8:9], 3, s[28:29]
	global_atomic_add_f32 v[2:3], v4, off
	global_atomic_add_f32 v[2:3], v5, off offset:4
	v_lshl_add_u64 v[8:9], v[8:9], 0, s[12:13]
	v_cmp_le_i64_e32 vcc, s[26:27], v[8:9]
	s_or_b64 s[4:5], vcc, s[4:5]
	s_andn2_b64 exec, exec, s[4:5]
	s_cbranch_execz .LBB31_135
.LBB31_131:                             ; =>This Loop Header: Depth=1
                                        ;     Child Loop BB31_133 Depth 2
	v_lshl_add_u64 v[2:3], v[8:9], 3, s[16:17]
	global_load_dwordx4 v[2:5], v[2:3], off
	v_mov_b32_e32 v11, 0
	v_mov_b32_e32 v10, v11
	s_waitcnt vmcnt(0)
	v_cmp_lt_i64_e32 vcc, v[2:3], v[4:5]
	s_and_saveexec_b64 s[6:7], vcc
	s_cbranch_execz .LBB31_130
; %bb.132:                              ;   in Loop: Header=BB31_131 Depth=1
	v_mov_b32_e32 v10, s9
	v_subrev_co_u32_e32 v4, vcc, s8, v4
	s_mov_b64 s[14:15], 0
	s_nop 0
	v_subb_co_u32_e32 v5, vcc, v5, v10, vcc
	v_subrev_co_u32_e32 v12, vcc, s8, v2
	v_lshl_add_u32 v2, v2, 3, s19
	s_nop 0
	v_subb_co_u32_e32 v13, vcc, v3, v10, vcc
	v_mov_b32_e32 v10, 0
	v_mov_b32_e32 v11, v10
.LBB31_133:                             ;   Parent Loop BB31_131 Depth=1
                                        ; =>  This Inner Loop Header: Depth=2
	ds_read_b64 v[14:15], v2
	v_lshl_add_u64 v[12:13], v[12:13], 0, 1
	v_cmp_ge_i64_e32 vcc, v[12:13], v[4:5]
	v_add_u32_e32 v2, 8, v2
	s_or_b64 s[14:15], vcc, s[14:15]
	s_waitcnt lgkmcnt(0)
	v_pk_add_f32 v[10:11], v[10:11], v[14:15]
	s_andn2_b64 exec, exec, s[14:15]
	s_cbranch_execnz .LBB31_133
; %bb.134:                              ;   in Loop: Header=BB31_131 Depth=1
	s_or_b64 exec, exec, s[14:15]
	s_branch .LBB31_130
.LBB31_135:
	s_or_b64 exec, exec, s[0:1]
	s_mov_b64 s[0:1], 0
.LBB31_136:
	s_andn2_b64 vcc, exec, s[0:1]
	s_cbranch_vccnz .LBB31_153
; %bb.137:
	v_cvt_f32_u32_e32 v2, s3
	s_sub_i32 s12, 0, s3
	v_mov_b32_e32 v5, 0
	v_mov_b32_e32 v12, s9
	v_rcp_iflag_f32_e32 v2, v2
	s_nop 0
	v_mul_f32_e32 v2, 0x4f7ffffe, v2
	v_cvt_u32_f32_e32 v2, v2
	v_mul_lo_u32 v3, s12, v2
	v_mul_hi_u32 v3, v2, v3
	v_add_u32_e32 v2, v2, v3
	v_mul_hi_u32 v2, v0, v2
	v_mul_lo_u32 v3, v2, s3
	v_sub_u32_e32 v3, v0, v3
	v_add_u32_e32 v4, 1, v2
	v_cmp_le_u32_e32 vcc, s3, v3
	s_nop 1
	v_cndmask_b32_e32 v2, v2, v4, vcc
	v_subrev_u32_e32 v4, s3, v3
	v_cndmask_b32_e32 v3, v3, v4, vcc
	v_add_u32_e32 v4, 1, v2
	v_cmp_le_u32_e32 vcc, s3, v3
	s_nop 1
	v_cndmask_b32_e32 v4, v2, v4, vcc
	v_lshl_add_u64 v[2:3], v[4:5], 3, s[10:11]
	global_load_dwordx4 v[8:11], v[2:3], off
	v_mov_b32_e32 v3, s9
	s_waitcnt vmcnt(0)
	v_subrev_co_u32_e32 v2, vcc, s8, v8
	s_nop 1
	v_subb_co_u32_e32 v3, vcc, v9, v3, vcc
	v_subrev_co_u32_e32 v14, vcc, s8, v10
	v_mov_b32_e32 v10, v5
	s_nop 0
	v_subb_co_u32_e32 v15, vcc, v11, v12, vcc
	v_sub_co_u32_e32 v8, vcc, v14, v2
	s_nop 1
	v_subb_co_u32_e32 v9, vcc, v15, v3, vcc
	v_mov_b32_e32 v11, v9
	v_cmp_ne_u64_e32 vcc, 0, v[10:11]
                                        ; implicit-def: $vgpr10_vgpr11
	s_and_saveexec_b64 s[0:1], vcc
	s_xor_b64 s[4:5], exec, s[0:1]
	s_cbranch_execz .LBB31_139
; %bb.138:
	s_add_u32 s0, s3, 0
	s_addc_u32 s1, 0, 0
	s_xor_b64 s[6:7], s[0:1], 0
	v_cvt_f32_u32_e32 v10, s6
	v_cvt_f32_u32_e32 v11, s7
	s_sub_u32 s8, 0, s6
	s_subb_u32 s9, 0, s7
	v_ashrrev_i32_e32 v12, 31, v9
	v_fmamk_f32 v10, v11, 0x4f800000, v10
	v_rcp_f32_e32 v10, v10
	v_mov_b32_e32 v13, v12
	v_lshl_add_u64 v[8:9], v[8:9], 0, v[12:13]
	v_xor_b32_e32 v18, v8, v12
	v_mul_f32_e32 v10, 0x5f7ffffc, v10
	v_mul_f32_e32 v11, 0x2f800000, v10
	v_trunc_f32_e32 v11, v11
	v_fmamk_f32 v10, v11, 0xcf800000, v10
	v_cvt_u32_f32_e32 v11, v11
	v_cvt_u32_f32_e32 v10, v10
	v_xor_b32_e32 v13, v9, v12
	v_readfirstlane_b32 s10, v11
	v_readfirstlane_b32 s0, v10
	s_mul_i32 s1, s8, s10
	s_mul_hi_u32 s13, s8, s0
	s_mul_i32 s11, s9, s0
	s_add_i32 s1, s13, s1
	s_mul_i32 s14, s8, s0
	s_add_i32 s1, s1, s11
	s_mul_i32 s13, s0, s1
	s_mul_hi_u32 s15, s0, s14
	s_mul_hi_u32 s11, s0, s1
	s_add_u32 s13, s15, s13
	s_addc_u32 s11, 0, s11
	s_mul_hi_u32 s16, s10, s14
	s_mul_i32 s14, s10, s14
	s_add_u32 s13, s13, s14
	s_mul_hi_u32 s15, s10, s1
	s_addc_u32 s11, s11, s16
	s_addc_u32 s13, s15, 0
	s_mul_i32 s1, s10, s1
	s_add_u32 s1, s11, s1
	s_addc_u32 s11, 0, s13
	s_add_u32 s13, s0, s1
	s_cselect_b64 s[0:1], -1, 0
	s_cmp_lg_u64 s[0:1], 0
	s_addc_u32 s10, s10, s11
	s_mul_i32 s0, s8, s10
	s_mul_hi_u32 s1, s8, s13
	s_add_i32 s0, s1, s0
	s_mul_i32 s9, s9, s13
	s_add_i32 s0, s0, s9
	s_mul_i32 s8, s8, s13
	s_mul_hi_u32 s9, s10, s8
	s_mul_i32 s11, s10, s8
	s_mul_i32 s15, s13, s0
	s_mul_hi_u32 s8, s13, s8
	s_mul_hi_u32 s14, s13, s0
	s_add_u32 s8, s8, s15
	s_addc_u32 s14, 0, s14
	s_add_u32 s8, s8, s11
	s_mul_hi_u32 s1, s10, s0
	s_addc_u32 s8, s14, s9
	s_addc_u32 s1, s1, 0
	s_mul_i32 s0, s10, s0
	s_add_u32 s0, s8, s0
	s_addc_u32 s8, 0, s1
	s_add_u32 s9, s13, s0
	s_cselect_b64 s[0:1], -1, 0
	s_cmp_lg_u64 s[0:1], 0
	s_addc_u32 s8, s10, s8
	v_mad_u64_u32 v[8:9], s[0:1], v18, s8, 0
	v_mul_hi_u32 v10, v18, s9
	v_mov_b32_e32 v11, v5
	v_lshl_add_u64 v[8:9], v[10:11], 0, v[8:9]
	v_mad_u64_u32 v[16:17], s[0:1], v13, s9, 0
	v_add_co_u32_e32 v8, vcc, v8, v16
	v_mad_u64_u32 v[10:11], s[0:1], v13, s8, 0
	s_nop 0
	v_addc_co_u32_e32 v8, vcc, v9, v17, vcc
	v_mov_b32_e32 v9, v5
	s_nop 0
	v_addc_co_u32_e32 v11, vcc, 0, v11, vcc
	v_lshl_add_u64 v[8:9], v[8:9], 0, v[10:11]
	v_mul_lo_u32 v16, s7, v8
	v_mul_lo_u32 v17, s6, v9
	v_mad_u64_u32 v[10:11], s[0:1], s6, v8, 0
	v_add3_u32 v19, v11, v17, v16
	v_sub_u32_e32 v11, v13, v19
	v_mov_b32_e32 v16, s7
	v_sub_co_u32_e32 v18, vcc, v18, v10
	s_nop 1
	v_subb_co_u32_e64 v10, s[0:1], v11, v16, vcc
	v_subrev_co_u32_e64 v11, s[0:1], s6, v18
	v_subb_co_u32_e32 v13, vcc, v13, v19, vcc
	s_nop 0
	v_subbrev_co_u32_e64 v10, s[0:1], 0, v10, s[0:1]
	v_cmp_le_u32_e64 s[0:1], s7, v10
	v_cmp_le_u32_e32 vcc, s7, v13
	s_nop 0
	v_cndmask_b32_e64 v16, 0, -1, s[0:1]
	v_cmp_le_u32_e64 s[0:1], s6, v11
	s_nop 1
	v_cndmask_b32_e64 v11, 0, -1, s[0:1]
	v_cmp_eq_u32_e64 s[0:1], s7, v10
	s_nop 1
	v_cndmask_b32_e64 v20, v16, v11, s[0:1]
	v_lshl_add_u64 v[10:11], v[8:9], 0, 2
	v_lshl_add_u64 v[16:17], v[8:9], 0, 1
	v_cmp_ne_u32_e64 s[0:1], 0, v20
	s_nop 1
	v_cndmask_b32_e64 v11, v17, v11, s[0:1]
	v_cndmask_b32_e64 v17, 0, -1, vcc
	v_cmp_le_u32_e32 vcc, s6, v18
	v_cndmask_b32_e64 v10, v16, v10, s[0:1]
	s_nop 0
	v_cndmask_b32_e64 v18, 0, -1, vcc
	v_cmp_eq_u32_e32 vcc, s7, v13
	s_nop 1
	v_cndmask_b32_e32 v13, v17, v18, vcc
	v_cmp_ne_u32_e32 vcc, 0, v13
	s_nop 1
	v_cndmask_b32_e32 v8, v8, v10, vcc
	v_cndmask_b32_e32 v9, v9, v11, vcc
	v_xor_b32_e32 v8, v8, v12
	v_xor_b32_e32 v9, v9, v12
	v_sub_co_u32_e32 v10, vcc, v8, v12
                                        ; implicit-def: $vgpr8
	s_nop 1
	v_subb_co_u32_e32 v11, vcc, v9, v12, vcc
.LBB31_139:
	s_andn2_saveexec_b64 s[0:1], s[4:5]
	s_cbranch_execz .LBB31_141
; %bb.140:
	v_cvt_f32_u32_e32 v9, s3
	v_rcp_iflag_f32_e32 v9, v9
	s_nop 0
	v_mul_f32_e32 v9, 0x4f7ffffe, v9
	v_cvt_u32_f32_e32 v9, v9
	v_mul_lo_u32 v10, s12, v9
	v_mul_hi_u32 v10, v9, v10
	v_add_u32_e32 v9, v9, v10
	v_mul_hi_u32 v9, v8, v9
	v_mul_lo_u32 v10, v9, s3
	v_sub_u32_e32 v8, v8, v10
	v_add_u32_e32 v11, 1, v9
	v_subrev_u32_e32 v10, s3, v8
	v_cmp_le_u32_e32 vcc, s3, v8
	s_nop 1
	v_cndmask_b32_e32 v8, v8, v10, vcc
	v_cndmask_b32_e32 v9, v9, v11, vcc
	v_add_u32_e32 v10, 1, v9
	v_cmp_le_u32_e32 vcc, s3, v8
	v_mov_b32_e32 v11, 0
	s_nop 0
	v_cndmask_b32_e32 v10, v9, v10, vcc
.LBB31_141:
	s_or_b64 exec, exec, s[0:1]
	v_cmp_gt_i64_e32 vcc, s[30:31], v[4:5]
	v_mov_b32_e32 v5, 0
	v_mov_b32_e32 v4, 0
	s_and_saveexec_b64 s[0:1], vcc
	s_cbranch_execz .LBB31_149
; %bb.142:
	s_add_i32 s4, s3, -1
	v_and_b32_e32 v8, s4, v0
	v_mov_b32_e32 v5, 0
	s_mov_b64 s[4:5], 0
	v_cmp_lt_i64_e32 vcc, 0, v[10:11]
	v_lshlrev_b32_e32 v16, 3, v8
	v_mov_b32_e32 v4, v5
	s_and_saveexec_b64 s[6:7], vcc
	s_cbranch_execz .LBB31_146
; %bb.143:
	v_mov_b32_e32 v4, 0
	v_lshl_add_u32 v9, v2, 3, v16
	s_lshl_b32 s8, s3, 3
	v_mov_b64_e32 v[12:13], v[10:11]
	v_mov_b32_e32 v5, v4
.LBB31_144:                             ; =>This Inner Loop Header: Depth=1
	ds_read_b64 v[18:19], v9
	v_lshl_add_u64 v[12:13], v[12:13], 0, -1
	v_cmp_eq_u64_e32 vcc, 0, v[12:13]
	v_add_u32_e32 v9, s8, v9
	s_or_b64 s[4:5], vcc, s[4:5]
	s_waitcnt lgkmcnt(0)
	v_pk_add_f32 v[4:5], v[4:5], v[18:19]
	s_andn2_b64 exec, exec, s[4:5]
	s_cbranch_execnz .LBB31_144
; %bb.145:
	s_or_b64 exec, exec, s[4:5]
.LBB31_146:
	s_or_b64 exec, exec, s[6:7]
	v_mad_u64_u32 v[2:3], s[4:5], v10, s3, v[2:3]
	v_mov_b32_e32 v10, v3
	v_mad_u64_u32 v[10:11], s[4:5], v11, s3, v[10:11]
	v_sub_co_u32_e32 v12, vcc, v14, v2
	v_mov_b32_e32 v9, 0
	s_nop 0
	v_subb_co_u32_e32 v13, vcc, v15, v10, vcc
	v_cmp_gt_i64_e32 vcc, v[12:13], v[8:9]
	s_and_saveexec_b64 s[4:5], vcc
	s_cbranch_execz .LBB31_148
; %bb.147:
	v_lshl_add_u32 v2, v2, 3, v16
	ds_read_b64 v[2:3], v2
	s_waitcnt lgkmcnt(0)
	v_pk_add_f32 v[4:5], v[4:5], v[2:3]
.LBB31_148:
	s_or_b64 exec, exec, s[4:5]
.LBB31_149:
	s_or_b64 exec, exec, s[0:1]
	v_cmp_gt_i64_e32 vcc, s[30:31], v[0:1]
	s_barrier
	ds_write_b64 v22, v[4:5]
	s_waitcnt lgkmcnt(0)
	s_barrier
	s_and_b64 exec, exec, vcc
	s_cbranch_execz .LBB31_153
; %bb.150:
	v_mul_lo_u32 v1, s3, v0
	v_mov_b32_e32 v2, 0
	v_lshlrev_b32_e32 v1, 3, v1
	v_mov_b32_e32 v3, v2
.LBB31_151:                             ; =>This Inner Loop Header: Depth=1
	ds_read_b64 v[4:5], v1
	s_add_i32 s3, s3, -1
	v_add_u32_e32 v1, 8, v1
	s_cmp_eq_u32 s3, 0
	s_waitcnt lgkmcnt(0)
	v_pk_add_f32 v[2:3], v[2:3], v[4:5]
	s_cbranch_scc0 .LBB31_151
; %bb.152:
	s_lshl_b32 s0, s2, 3
	s_addk_i32 s0, 0x2000
	v_lshl_add_u32 v0, v0, 3, s0
	ds_read2_b32 v[0:1], v0 offset1:1
	s_waitcnt lgkmcnt(0)
	v_add_f32_e32 v2, v2, v0
	v_add_f32_e32 v3, v3, v1
	v_lshl_add_u64 v[0:1], v[6:7], 3, s[28:29]
	global_atomic_add_f32 v[0:1], v2, off
	global_atomic_add_f32 v[0:1], v3, off offset:4
.LBB31_153:
	s_endpgm
	.section	.rodata,"a",@progbits
	.p2align	6, 0x0
	.amdhsa_kernel _ZN9rocsparseL27csrmvn_symm_adaptive_kernelIll21rocsparse_complex_numIfES2_S2_S2_EEvbT_S3_PKS3_NS_24const_host_device_scalarIT4_EES5_PKT0_PKT1_PKT2_S8_PT3_21rocsparse_index_base_b
		.amdhsa_group_segment_fixed_size 8192
		.amdhsa_private_segment_fixed_size 0
		.amdhsa_kernarg_size 352
		.amdhsa_user_sgpr_count 2
		.amdhsa_user_sgpr_dispatch_ptr 0
		.amdhsa_user_sgpr_queue_ptr 0
		.amdhsa_user_sgpr_kernarg_segment_ptr 1
		.amdhsa_user_sgpr_dispatch_id 0
		.amdhsa_user_sgpr_kernarg_preload_length 0
		.amdhsa_user_sgpr_kernarg_preload_offset 0
		.amdhsa_user_sgpr_private_segment_size 0
		.amdhsa_uses_dynamic_stack 0
		.amdhsa_enable_private_segment 0
		.amdhsa_system_sgpr_workgroup_id_x 1
		.amdhsa_system_sgpr_workgroup_id_y 0
		.amdhsa_system_sgpr_workgroup_id_z 0
		.amdhsa_system_sgpr_workgroup_info 0
		.amdhsa_system_vgpr_workitem_id 0
		.amdhsa_next_free_vgpr 33
		.amdhsa_next_free_sgpr 54
		.amdhsa_accum_offset 36
		.amdhsa_reserve_vcc 1
		.amdhsa_float_round_mode_32 0
		.amdhsa_float_round_mode_16_64 0
		.amdhsa_float_denorm_mode_32 3
		.amdhsa_float_denorm_mode_16_64 3
		.amdhsa_dx10_clamp 1
		.amdhsa_ieee_mode 1
		.amdhsa_fp16_overflow 0
		.amdhsa_tg_split 0
		.amdhsa_exception_fp_ieee_invalid_op 0
		.amdhsa_exception_fp_denorm_src 0
		.amdhsa_exception_fp_ieee_div_zero 0
		.amdhsa_exception_fp_ieee_overflow 0
		.amdhsa_exception_fp_ieee_underflow 0
		.amdhsa_exception_fp_ieee_inexact 0
		.amdhsa_exception_int_div_zero 0
	.end_amdhsa_kernel
	.section	.text._ZN9rocsparseL27csrmvn_symm_adaptive_kernelIll21rocsparse_complex_numIfES2_S2_S2_EEvbT_S3_PKS3_NS_24const_host_device_scalarIT4_EES5_PKT0_PKT1_PKT2_S8_PT3_21rocsparse_index_base_b,"axG",@progbits,_ZN9rocsparseL27csrmvn_symm_adaptive_kernelIll21rocsparse_complex_numIfES2_S2_S2_EEvbT_S3_PKS3_NS_24const_host_device_scalarIT4_EES5_PKT0_PKT1_PKT2_S8_PT3_21rocsparse_index_base_b,comdat
.Lfunc_end31:
	.size	_ZN9rocsparseL27csrmvn_symm_adaptive_kernelIll21rocsparse_complex_numIfES2_S2_S2_EEvbT_S3_PKS3_NS_24const_host_device_scalarIT4_EES5_PKT0_PKT1_PKT2_S8_PT3_21rocsparse_index_base_b, .Lfunc_end31-_ZN9rocsparseL27csrmvn_symm_adaptive_kernelIll21rocsparse_complex_numIfES2_S2_S2_EEvbT_S3_PKS3_NS_24const_host_device_scalarIT4_EES5_PKT0_PKT1_PKT2_S8_PT3_21rocsparse_index_base_b
                                        ; -- End function
	.set _ZN9rocsparseL27csrmvn_symm_adaptive_kernelIll21rocsparse_complex_numIfES2_S2_S2_EEvbT_S3_PKS3_NS_24const_host_device_scalarIT4_EES5_PKT0_PKT1_PKT2_S8_PT3_21rocsparse_index_base_b.num_vgpr, 33
	.set _ZN9rocsparseL27csrmvn_symm_adaptive_kernelIll21rocsparse_complex_numIfES2_S2_S2_EEvbT_S3_PKS3_NS_24const_host_device_scalarIT4_EES5_PKT0_PKT1_PKT2_S8_PT3_21rocsparse_index_base_b.num_agpr, 0
	.set _ZN9rocsparseL27csrmvn_symm_adaptive_kernelIll21rocsparse_complex_numIfES2_S2_S2_EEvbT_S3_PKS3_NS_24const_host_device_scalarIT4_EES5_PKT0_PKT1_PKT2_S8_PT3_21rocsparse_index_base_b.numbered_sgpr, 54
	.set _ZN9rocsparseL27csrmvn_symm_adaptive_kernelIll21rocsparse_complex_numIfES2_S2_S2_EEvbT_S3_PKS3_NS_24const_host_device_scalarIT4_EES5_PKT0_PKT1_PKT2_S8_PT3_21rocsparse_index_base_b.num_named_barrier, 0
	.set _ZN9rocsparseL27csrmvn_symm_adaptive_kernelIll21rocsparse_complex_numIfES2_S2_S2_EEvbT_S3_PKS3_NS_24const_host_device_scalarIT4_EES5_PKT0_PKT1_PKT2_S8_PT3_21rocsparse_index_base_b.private_seg_size, 0
	.set _ZN9rocsparseL27csrmvn_symm_adaptive_kernelIll21rocsparse_complex_numIfES2_S2_S2_EEvbT_S3_PKS3_NS_24const_host_device_scalarIT4_EES5_PKT0_PKT1_PKT2_S8_PT3_21rocsparse_index_base_b.uses_vcc, 1
	.set _ZN9rocsparseL27csrmvn_symm_adaptive_kernelIll21rocsparse_complex_numIfES2_S2_S2_EEvbT_S3_PKS3_NS_24const_host_device_scalarIT4_EES5_PKT0_PKT1_PKT2_S8_PT3_21rocsparse_index_base_b.uses_flat_scratch, 0
	.set _ZN9rocsparseL27csrmvn_symm_adaptive_kernelIll21rocsparse_complex_numIfES2_S2_S2_EEvbT_S3_PKS3_NS_24const_host_device_scalarIT4_EES5_PKT0_PKT1_PKT2_S8_PT3_21rocsparse_index_base_b.has_dyn_sized_stack, 0
	.set _ZN9rocsparseL27csrmvn_symm_adaptive_kernelIll21rocsparse_complex_numIfES2_S2_S2_EEvbT_S3_PKS3_NS_24const_host_device_scalarIT4_EES5_PKT0_PKT1_PKT2_S8_PT3_21rocsparse_index_base_b.has_recursion, 0
	.set _ZN9rocsparseL27csrmvn_symm_adaptive_kernelIll21rocsparse_complex_numIfES2_S2_S2_EEvbT_S3_PKS3_NS_24const_host_device_scalarIT4_EES5_PKT0_PKT1_PKT2_S8_PT3_21rocsparse_index_base_b.has_indirect_call, 0
	.section	.AMDGPU.csdata,"",@progbits
; Kernel info:
; codeLenInByte = 8436
; TotalNumSgprs: 60
; NumVgprs: 33
; NumAgprs: 0
; TotalNumVgprs: 33
; ScratchSize: 0
; MemoryBound: 0
; FloatMode: 240
; IeeeMode: 1
; LDSByteSize: 8192 bytes/workgroup (compile time only)
; SGPRBlocks: 7
; VGPRBlocks: 4
; NumSGPRsForWavesPerEU: 60
; NumVGPRsForWavesPerEU: 33
; AccumOffset: 36
; Occupancy: 8
; WaveLimiterHint : 1
; COMPUTE_PGM_RSRC2:SCRATCH_EN: 0
; COMPUTE_PGM_RSRC2:USER_SGPR: 2
; COMPUTE_PGM_RSRC2:TRAP_HANDLER: 0
; COMPUTE_PGM_RSRC2:TGID_X_EN: 1
; COMPUTE_PGM_RSRC2:TGID_Y_EN: 0
; COMPUTE_PGM_RSRC2:TGID_Z_EN: 0
; COMPUTE_PGM_RSRC2:TIDIG_COMP_CNT: 0
; COMPUTE_PGM_RSRC3_GFX90A:ACCUM_OFFSET: 8
; COMPUTE_PGM_RSRC3_GFX90A:TG_SPLIT: 0
	.section	.text._ZL33csrmvn_symm_large_adaptive_kernelIll21rocsparse_complex_numIfES1_S1_S1_EvbT_PKS2_N9rocsparse24const_host_device_scalarIT4_EES4_PKT0_PKT1_PKT2_S8_PT3_21rocsparse_index_base_b,"axG",@progbits,_ZL33csrmvn_symm_large_adaptive_kernelIll21rocsparse_complex_numIfES1_S1_S1_EvbT_PKS2_N9rocsparse24const_host_device_scalarIT4_EES4_PKT0_PKT1_PKT2_S8_PT3_21rocsparse_index_base_b,comdat
	.globl	_ZL33csrmvn_symm_large_adaptive_kernelIll21rocsparse_complex_numIfES1_S1_S1_EvbT_PKS2_N9rocsparse24const_host_device_scalarIT4_EES4_PKT0_PKT1_PKT2_S8_PT3_21rocsparse_index_base_b ; -- Begin function _ZL33csrmvn_symm_large_adaptive_kernelIll21rocsparse_complex_numIfES1_S1_S1_EvbT_PKS2_N9rocsparse24const_host_device_scalarIT4_EES4_PKT0_PKT1_PKT2_S8_PT3_21rocsparse_index_base_b
	.p2align	8
	.type	_ZL33csrmvn_symm_large_adaptive_kernelIll21rocsparse_complex_numIfES1_S1_S1_EvbT_PKS2_N9rocsparse24const_host_device_scalarIT4_EES4_PKT0_PKT1_PKT2_S8_PT3_21rocsparse_index_base_b,@function
_ZL33csrmvn_symm_large_adaptive_kernelIll21rocsparse_complex_numIfES1_S1_S1_EvbT_PKS2_N9rocsparse24const_host_device_scalarIT4_EES4_PKT0_PKT1_PKT2_S8_PT3_21rocsparse_index_base_b: ; @_ZL33csrmvn_symm_large_adaptive_kernelIll21rocsparse_complex_numIfES1_S1_S1_EvbT_PKS2_N9rocsparse24const_host_device_scalarIT4_EES4_PKT0_PKT1_PKT2_S8_PT3_21rocsparse_index_base_b
; %bb.0:
	s_load_dwordx2 s[10:11], s[0:1], 0x50
	s_load_dwordx2 s[4:5], s[0:1], 0x18
	s_add_u32 s3, s0, 24
	s_addc_u32 s12, s1, 0
	s_waitcnt lgkmcnt(0)
	s_bitcmp1_b32 s11, 0
	s_cselect_b64 s[8:9], -1, 0
	s_and_b64 s[6:7], s[8:9], exec
	s_cselect_b32 s5, s12, s5
	s_cselect_b32 s3, s3, s4
	v_mov_b32_e32 v2, s3
	v_mov_b32_e32 v3, s5
	flat_load_dwordx2 v[2:3], v[2:3]
	s_waitcnt vmcnt(0) lgkmcnt(0)
	v_cmp_eq_f32_e32 vcc, 0, v2
	v_cmp_eq_f32_e64 s[4:5], 0, v3
	s_and_b64 s[12:13], vcc, s[4:5]
	s_mov_b64 s[4:5], -1
	s_and_saveexec_b64 s[6:7], s[12:13]
	s_cbranch_execz .LBB32_2
; %bb.1:
	s_load_dwordx2 s[4:5], s[0:1], 0x40
	s_add_u32 s3, s0, 64
	s_addc_u32 s11, s1, 0
	s_and_b64 s[8:9], s[8:9], exec
	s_waitcnt lgkmcnt(0)
	s_cselect_b32 s5, s11, s5
	s_cselect_b32 s3, s3, s4
	v_mov_b32_e32 v4, s3
	v_mov_b32_e32 v5, s5
	flat_load_dwordx2 v[4:5], v[4:5]
	s_waitcnt vmcnt(0) lgkmcnt(0)
	v_cmp_neq_f32_e32 vcc, 1.0, v4
	v_cmp_neq_f32_e64 s[4:5], 0, v5
	s_or_b64 s[4:5], vcc, s[4:5]
	s_orn2_b64 s[4:5], s[4:5], exec
.LBB32_2:
	s_or_b64 exec, exec, s[6:7]
	s_and_saveexec_b64 s[6:7], s[4:5]
	s_cbranch_execz .LBB32_38
; %bb.3:
	s_load_dword s3, s[0:1], 0x0
	s_load_dwordx2 s[4:5], s[0:1], 0x10
	s_mov_b32 s6, 0
	s_mov_b32 s7, s6
	v_lshlrev_b32_e32 v14, 3, v0
	s_waitcnt lgkmcnt(0)
	s_bitcmp1_b32 s3, 0
	s_cselect_b64 s[24:25], -1, 0
	s_ashr_i32 s3, s2, 31
	s_lshl_b64 s[2:3], s[2:3], 3
	s_add_u32 s2, s4, s2
	v_mov_b64_e32 v[4:5], s[6:7]
	s_addc_u32 s3, s5, s3
	ds_write2st64_b64 v14, v[4:5], v[4:5] offset1:4
	ds_write2st64_b64 v14, v[4:5], v[4:5] offset0:8 offset1:12
	s_waitcnt lgkmcnt(0)
	s_barrier
	s_load_dwordx4 s[20:23], s[2:3], 0x0
	s_load_dwordx8 s[12:19], s[0:1], 0x20
	s_load_dwordx2 s[26:27], s[0:1], 0x48
	v_mov_b32_e32 v15, 0
	s_waitcnt lgkmcnt(0)
	v_mov_b64_e32 v[4:5], s[22:23]
	v_cmp_ge_i64_e32 vcc, s[20:21], v[4:5]
	v_subrev_co_u32_e64 v4, s[0:1], s10, v0
	s_nop 1
	v_subb_co_u32_e64 v5, s[0:1], 0, 0, s[0:1]
	s_cbranch_vccnz .LBB32_29
; %bb.4:
	s_movk_i32 s0, 0x100
	s_add_u32 s28, s16, 4
	v_cmp_gt_u32_e64 s[0:1], s0, v0
	v_cmp_gt_u32_e64 s[2:3], 64, v0
	;; [unrolled: 1-line block ×4, first 2 shown]
	v_cmp_eq_u32_e64 s[8:9], 0, v0
	s_addc_u32 s29, s17, 0
	s_mov_b64 s[30:31], 0x100
	s_mov_b64 s[34:35], 0x800
	v_mov_b64_e32 v[0:1], s[22:23]
	s_mov_b64 s[36:37], s[20:21]
	s_branch .LBB32_6
.LBB32_5:                               ;   in Loop: Header=BB32_6 Depth=1
	s_or_b64 exec, exec, s[40:41]
	s_add_u32 s36, s36, 1
	s_addc_u32 s37, s37, 0
	v_cmp_ge_i64_e32 vcc, s[36:37], v[0:1]
	s_cbranch_vccnz .LBB32_29
.LBB32_6:                               ; =>This Loop Header: Depth=1
                                        ;     Child Loop BB32_8 Depth 2
                                        ;     Child Loop BB32_22 Depth 2
	;; [unrolled: 1-line block ×3, first 2 shown]
	s_lshl_b64 s[38:39], s[36:37], 3
	s_add_u32 s44, s12, s38
	s_addc_u32 s45, s13, s39
	s_load_dwordx4 s[40:43], s[44:45], 0x0
	v_mov_b32_e32 v7, 0
	v_mov_b32_e32 v6, v7
	s_waitcnt lgkmcnt(0)
	s_sub_u32 s42, s42, s10
	v_lshl_add_u64 v[8:9], s[40:41], 0, v[4:5]
	s_subb_u32 s43, s43, 0
	v_cmp_gt_i64_e32 vcc, s[42:43], v[8:9]
	s_and_saveexec_b64 s[40:41], vcc
	s_cbranch_execz .LBB32_10
; %bb.7:                                ;   in Loop: Header=BB32_6 Depth=1
	v_lshlrev_b64 v[6:7], 3, v[8:9]
	v_lshl_add_u64 v[10:11], s[14:15], 0, v[6:7]
	v_lshl_add_u64 v[12:13], s[28:29], 0, v[6:7]
	v_mov_b32_e32 v6, 0
	s_mov_b64 s[44:45], 0
	v_mov_b32_e32 v7, v6
.LBB32_8:                               ;   Parent Loop BB32_6 Depth=1
                                        ; =>  This Inner Loop Header: Depth=2
	global_load_dwordx2 v[16:17], v[10:11], off
	global_load_dwordx2 v[18:19], v[12:13], off offset:-4
	v_lshl_add_u64 v[8:9], v[8:9], 0, s[30:31]
	v_lshl_add_u64 v[10:11], v[10:11], 0, s[34:35]
	v_lshl_add_u64 v[12:13], v[12:13], 0, s[34:35]
	s_waitcnt vmcnt(1)
	v_subrev_co_u32_e32 v16, vcc, s10, v16
	s_nop 1
	v_subbrev_co_u32_e32 v17, vcc, 0, v17, vcc
	v_lshl_add_u64 v[16:17], v[16:17], 3, s[18:19]
	global_load_dwordx2 v[16:17], v[16:17], off
	s_waitcnt vmcnt(1)
	v_cndmask_b32_e64 v19, v19, -v19, s[24:25]
	v_cmp_le_i64_e32 vcc, s[42:43], v[8:9]
	v_mov_b32_e32 v21, v18
	v_xor_b32_e32 v20, 0x80000000, v19
	s_or_b64 s[44:45], vcc, s[44:45]
	s_waitcnt vmcnt(0)
	v_pk_fma_f32 v[6:7], v[18:19], v[16:17], v[6:7] op_sel_hi:[1,0,1]
	s_nop 0
	v_pk_fma_f32 v[6:7], v[20:21], v[16:17], v[6:7] op_sel:[0,1,0]
	s_andn2_b64 exec, exec, s[44:45]
	s_cbranch_execnz .LBB32_8
; %bb.9:                                ;   in Loop: Header=BB32_6 Depth=1
	s_or_b64 exec, exec, s[44:45]
.LBB32_10:                              ;   in Loop: Header=BB32_6 Depth=1
	s_or_b64 exec, exec, s[40:41]
	ds_write_b64 v14, v[6:7]
	s_waitcnt lgkmcnt(0)
	s_barrier
	s_and_saveexec_b64 s[40:41], s[0:1]
	s_cbranch_execz .LBB32_12
; %bb.11:                               ;   in Loop: Header=BB32_6 Depth=1
	ds_read2st64_b64 v[6:9], v14 offset1:4
	ds_read2st64_b64 v[10:13], v14 offset0:8 offset1:12
	s_waitcnt lgkmcnt(0)
	v_pk_add_f32 v[8:9], v[10:11], v[8:9]
	s_nop 0
	v_pk_add_f32 v[8:9], v[12:13], v[8:9]
	s_nop 0
	v_pk_add_f32 v[6:7], v[8:9], v[6:7]
	ds_write_b64 v14, v[6:7]
.LBB32_12:                              ;   in Loop: Header=BB32_6 Depth=1
	s_or_b64 exec, exec, s[40:41]
	s_waitcnt lgkmcnt(0)
	s_barrier
	s_and_saveexec_b64 s[40:41], s[2:3]
	s_cbranch_execz .LBB32_14
; %bb.13:                               ;   in Loop: Header=BB32_6 Depth=1
	ds_read2st64_b64 v[6:9], v14 offset1:1
	ds_read2st64_b64 v[10:13], v14 offset0:2 offset1:3
	s_waitcnt lgkmcnt(0)
	v_pk_add_f32 v[8:9], v[10:11], v[8:9]
	s_nop 0
	v_pk_add_f32 v[8:9], v[12:13], v[8:9]
	s_nop 0
	v_pk_add_f32 v[6:7], v[8:9], v[6:7]
	ds_write_b64 v14, v[6:7]
.LBB32_14:                              ;   in Loop: Header=BB32_6 Depth=1
	s_or_b64 exec, exec, s[40:41]
	s_waitcnt lgkmcnt(0)
	s_barrier
	s_and_saveexec_b64 s[40:41], s[4:5]
	s_cbranch_execz .LBB32_16
; %bb.15:                               ;   in Loop: Header=BB32_6 Depth=1
	ds_read2_b64 v[6:9], v14 offset1:16
	ds_read2_b64 v[10:13], v14 offset0:32 offset1:48
	s_waitcnt lgkmcnt(0)
	v_pk_add_f32 v[8:9], v[10:11], v[8:9]
	s_nop 0
	v_pk_add_f32 v[8:9], v[12:13], v[8:9]
	s_nop 0
	v_pk_add_f32 v[6:7], v[8:9], v[6:7]
	ds_write_b64 v14, v[6:7]
.LBB32_16:                              ;   in Loop: Header=BB32_6 Depth=1
	s_or_b64 exec, exec, s[40:41]
	s_waitcnt lgkmcnt(0)
	s_barrier
	s_and_saveexec_b64 s[40:41], s[6:7]
	s_cbranch_execz .LBB32_18
; %bb.17:                               ;   in Loop: Header=BB32_6 Depth=1
	ds_read2_b64 v[6:9], v14 offset1:4
	ds_read2_b64 v[10:13], v14 offset0:8 offset1:12
	s_waitcnt lgkmcnt(0)
	v_pk_add_f32 v[8:9], v[10:11], v[8:9]
	s_nop 0
	v_pk_add_f32 v[8:9], v[12:13], v[8:9]
	s_nop 0
	v_pk_add_f32 v[6:7], v[8:9], v[6:7]
	ds_write_b64 v14, v[6:7]
.LBB32_18:                              ;   in Loop: Header=BB32_6 Depth=1
	s_or_b64 exec, exec, s[40:41]
	s_waitcnt lgkmcnt(0)
	s_barrier
	s_and_saveexec_b64 s[40:41], s[8:9]
	s_cbranch_execz .LBB32_20
; %bb.19:                               ;   in Loop: Header=BB32_6 Depth=1
	ds_read_b128 v[6:9], v15 offset:16
	ds_read_b64 v[10:11], v15 offset:8
	ds_read_b64 v[12:13], v14
	s_waitcnt lgkmcnt(1)
	v_pk_add_f32 v[6:7], v[6:7], v[10:11]
	s_nop 0
	v_pk_add_f32 v[6:7], v[8:9], v[6:7]
	s_waitcnt lgkmcnt(0)
	v_pk_add_f32 v[6:7], v[6:7], v[12:13]
	ds_write_b64 v14, v[6:7]
.LBB32_20:                              ;   in Loop: Header=BB32_6 Depth=1
	s_or_b64 exec, exec, s[40:41]
	s_waitcnt lgkmcnt(0)
	s_barrier
	s_and_saveexec_b64 s[40:41], s[8:9]
	s_cbranch_execz .LBB32_5
; %bb.21:                               ;   in Loop: Header=BB32_6 Depth=1
	ds_read_b64 v[6:7], v15
	s_mov_b64 s[42:43], exec
	v_bfrev_b32_e32 v8, 1
	s_waitcnt lgkmcnt(0)
	v_mul_f32_e64 v9, v7, -v3
	v_fmac_f32_e32 v9, v2, v6
.LBB32_22:                              ;   Parent Loop BB32_6 Depth=1
                                        ; =>  This Inner Loop Header: Depth=2
	s_ff1_i32_b64 s11, s[42:43]
	s_lshl_b64 s[44:45], 1, s11
	v_readlane_b32 s33, v9, s11
	s_andn2_b64 s[42:43], s[42:43], s[44:45]
	s_cmp_lg_u64 s[42:43], 0
	v_add_f32_e32 v8, s33, v8
	s_cbranch_scc1 .LBB32_22
; %bb.23:                               ;   in Loop: Header=BB32_6 Depth=1
	v_mbcnt_lo_u32_b32 v9, exec_lo, 0
	s_add_u32 s38, s26, s38
	v_mbcnt_hi_u32_b32 v9, exec_hi, v9
	s_addc_u32 s39, s27, s39
	v_cmp_eq_u32_e32 vcc, 0, v9
	s_and_saveexec_b64 s[42:43], vcc
	s_xor_b64 s[42:43], exec, s[42:43]
	s_cbranch_execz .LBB32_25
; %bb.24:                               ;   in Loop: Header=BB32_6 Depth=1
	global_atomic_add_f32 v15, v8, s[38:39]
.LBB32_25:                              ;   in Loop: Header=BB32_6 Depth=1
	s_or_b64 exec, exec, s[42:43]
	v_mul_f32_e32 v7, v2, v7
	s_mov_b64 s[42:43], exec
	v_fmac_f32_e32 v7, v3, v6
	v_bfrev_b32_e32 v6, 1
.LBB32_26:                              ;   Parent Loop BB32_6 Depth=1
                                        ; =>  This Inner Loop Header: Depth=2
	s_ff1_i32_b64 s11, s[42:43]
	s_lshl_b64 s[44:45], 1, s11
	v_readlane_b32 s33, v7, s11
	s_andn2_b64 s[42:43], s[42:43], s[44:45]
	s_cmp_lg_u64 s[42:43], 0
	v_add_f32_e32 v6, s33, v6
	s_cbranch_scc1 .LBB32_26
; %bb.27:                               ;   in Loop: Header=BB32_6 Depth=1
	v_mbcnt_lo_u32_b32 v7, exec_lo, 0
	v_mbcnt_hi_u32_b32 v7, exec_hi, v7
	v_cmp_eq_u32_e32 vcc, 0, v7
	s_and_saveexec_b64 s[42:43], vcc
	s_xor_b64 s[42:43], exec, s[42:43]
	s_cbranch_execz .LBB32_5
; %bb.28:                               ;   in Loop: Header=BB32_6 Depth=1
	global_atomic_add_f32 v15, v6, s[38:39] offset:4
	s_branch .LBB32_5
.LBB32_29:
	s_lshl_b64 s[0:1], s[20:21], 3
	s_add_u32 s0, s12, s0
	s_addc_u32 s1, s13, s1
	s_lshl_b64 s[2:3], s[22:23], 3
	s_add_u32 s2, s12, s2
	s_addc_u32 s3, s13, s3
	s_load_dwordx2 s[4:5], s[2:3], 0x0
	s_load_dwordx2 s[6:7], s[0:1], 0x0
	s_waitcnt lgkmcnt(0)
	s_sub_u32 s4, s4, s10
	s_subb_u32 s5, s5, 0
	v_lshl_add_u64 v[0:1], s[6:7], 0, v[4:5]
	v_cmp_gt_i64_e32 vcc, s[4:5], v[0:1]
	s_and_b64 exec, exec, vcc
	s_cbranch_execz .LBB32_38
; %bb.30:
	s_add_u32 s6, s22, -1
	s_addc_u32 s7, s23, -1
	s_add_u32 s0, s22, -2
	s_addc_u32 s1, s23, -1
	v_mov_b64_e32 v[4:5], s[6:7]
	s_cmp_lg_u64 s[20:21], s[0:1]
	v_cmp_lt_i64_e32 vcc, s[20:21], v[4:5]
	s_cselect_b64 s[0:1], -1, 0
	s_and_b64 s[0:1], vcc, s[0:1]
	v_cndmask_b32_e64 v4, 0, 1, s[0:1]
	s_mov_b64 s[8:9], 0
	v_cmp_ne_u32_e64 s[0:1], 1, v4
	v_mov_b32_e32 v5, 0
	s_mov_b64 s[22:23], 0x100
	s_branch .LBB32_32
.LBB32_31:                              ;   in Loop: Header=BB32_32 Depth=1
	s_or_b64 exec, exec, s[2:3]
	v_lshl_add_u64 v[0:1], v[0:1], 0, s[22:23]
	v_cmp_le_i64_e32 vcc, s[4:5], v[0:1]
	s_or_b64 s[8:9], vcc, s[8:9]
	s_andn2_b64 exec, exec, s[8:9]
	s_cbranch_execz .LBB32_38
.LBB32_32:                              ; =>This Loop Header: Depth=1
                                        ;     Child Loop BB32_34 Depth 2
	s_and_b64 vcc, exec, s[0:1]
	v_mov_b64_e32 v[6:7], s[20:21]
	v_mov_b64_e32 v[8:9], s[6:7]
	s_cbranch_vccnz .LBB32_36
; %bb.33:                               ;   in Loop: Header=BB32_32 Depth=1
	s_mov_b64 s[28:29], 0
	v_mov_b64_e32 v[6:7], s[20:21]
	v_mov_b64_e32 v[8:9], s[6:7]
.LBB32_34:                              ;   Parent Loop BB32_32 Depth=1
                                        ; =>  This Inner Loop Header: Depth=2
	v_lshl_add_u64 v[10:11], v[8:9], 0, v[6:7]
	v_lshrrev_b32_e32 v4, 31, v11
	v_lshl_add_u64 v[10:11], v[10:11], 0, v[4:5]
	v_ashrrev_i64 v[10:11], 1, v[10:11]
	v_lshl_add_u64 v[12:13], v[10:11], 3, s[12:13]
	global_load_dwordx2 v[12:13], v[12:13], off
	s_waitcnt vmcnt(0)
	v_subrev_co_u32_e32 v12, vcc, s10, v12
	s_nop 1
	v_subbrev_co_u32_e32 v13, vcc, 0, v13, vcc
	v_cmp_lt_i64_e32 vcc, v[0:1], v[12:13]
	s_nop 1
	v_cndmask_b32_e32 v9, v9, v11, vcc
	v_cndmask_b32_e32 v8, v8, v10, vcc
	;; [unrolled: 1-line block ×4, first 2 shown]
	v_lshl_add_u64 v[10:11], v[8:9], 0, -1
	v_cmp_ge_i64_e32 vcc, v[6:7], v[8:9]
	v_cmp_eq_u64_e64 s[2:3], v[6:7], v[10:11]
	s_or_b64 s[2:3], vcc, s[2:3]
	s_and_b64 s[2:3], exec, s[2:3]
	s_or_b64 s[28:29], s[2:3], s[28:29]
	s_andn2_b64 exec, exec, s[28:29]
	s_cbranch_execnz .LBB32_34
; %bb.35:                               ;   in Loop: Header=BB32_32 Depth=1
	s_or_b64 exec, exec, s[28:29]
.LBB32_36:                              ;   in Loop: Header=BB32_32 Depth=1
	v_lshl_add_u64 v[10:11], v[8:9], 3, s[12:13]
	global_load_dwordx2 v[10:11], v[10:11], off
	v_lshl_add_u64 v[12:13], v[0:1], 3, s[14:15]
	global_load_dwordx2 v[12:13], v[12:13], off
	s_waitcnt vmcnt(1)
	v_subrev_co_u32_e32 v10, vcc, s10, v10
	s_nop 1
	v_subbrev_co_u32_e32 v11, vcc, 0, v11, vcc
	v_cmp_lt_i64_e32 vcc, v[0:1], v[10:11]
	s_nop 1
	v_cndmask_b32_e32 v9, v9, v7, vcc
	v_cndmask_b32_e32 v8, v8, v6, vcc
	s_waitcnt vmcnt(0)
	v_subrev_co_u32_e32 v6, vcc, s10, v12
	s_nop 1
	v_subbrev_co_u32_e32 v7, vcc, 0, v13, vcc
	v_cmp_ne_u64_e32 vcc, v[6:7], v[8:9]
	s_and_saveexec_b64 s[2:3], vcc
	s_cbranch_execz .LBB32_31
; %bb.37:                               ;   in Loop: Header=BB32_32 Depth=1
	v_lshl_add_u64 v[10:11], v[0:1], 3, s[16:17]
	global_load_dwordx2 v[10:11], v[10:11], off
	v_lshl_add_u64 v[8:9], v[8:9], 3, s[18:19]
	global_load_dwordx2 v[8:9], v[8:9], off
	v_lshl_add_u64 v[6:7], v[6:7], 3, s[26:27]
	s_waitcnt vmcnt(1)
	v_cndmask_b32_e64 v4, v11, -v11, s[24:25]
	v_mul_f32_e64 v11, v4, -v3
	v_mul_f32_e32 v4, v2, v4
	v_fmac_f32_e32 v4, v3, v10
	v_fmac_f32_e32 v11, v2, v10
	s_waitcnt vmcnt(0)
	v_mul_f32_e64 v10, v9, -v4
	v_mul_f32_e32 v9, v9, v11
	v_fmac_f32_e32 v10, v11, v8
	v_fmac_f32_e32 v9, v4, v8
	global_atomic_add_f32 v[6:7], v10, off
	global_atomic_add_f32 v[6:7], v9, off offset:4
	s_branch .LBB32_31
.LBB32_38:
	s_endpgm
	.section	.rodata,"a",@progbits
	.p2align	6, 0x0
	.amdhsa_kernel _ZL33csrmvn_symm_large_adaptive_kernelIll21rocsparse_complex_numIfES1_S1_S1_EvbT_PKS2_N9rocsparse24const_host_device_scalarIT4_EES4_PKT0_PKT1_PKT2_S8_PT3_21rocsparse_index_base_b
		.amdhsa_group_segment_fixed_size 8192
		.amdhsa_private_segment_fixed_size 0
		.amdhsa_kernarg_size 88
		.amdhsa_user_sgpr_count 2
		.amdhsa_user_sgpr_dispatch_ptr 0
		.amdhsa_user_sgpr_queue_ptr 0
		.amdhsa_user_sgpr_kernarg_segment_ptr 1
		.amdhsa_user_sgpr_dispatch_id 0
		.amdhsa_user_sgpr_kernarg_preload_length 0
		.amdhsa_user_sgpr_kernarg_preload_offset 0
		.amdhsa_user_sgpr_private_segment_size 0
		.amdhsa_uses_dynamic_stack 0
		.amdhsa_enable_private_segment 0
		.amdhsa_system_sgpr_workgroup_id_x 1
		.amdhsa_system_sgpr_workgroup_id_y 0
		.amdhsa_system_sgpr_workgroup_id_z 0
		.amdhsa_system_sgpr_workgroup_info 0
		.amdhsa_system_vgpr_workitem_id 0
		.amdhsa_next_free_vgpr 22
		.amdhsa_next_free_sgpr 46
		.amdhsa_accum_offset 24
		.amdhsa_reserve_vcc 1
		.amdhsa_float_round_mode_32 0
		.amdhsa_float_round_mode_16_64 0
		.amdhsa_float_denorm_mode_32 3
		.amdhsa_float_denorm_mode_16_64 3
		.amdhsa_dx10_clamp 1
		.amdhsa_ieee_mode 1
		.amdhsa_fp16_overflow 0
		.amdhsa_tg_split 0
		.amdhsa_exception_fp_ieee_invalid_op 0
		.amdhsa_exception_fp_denorm_src 0
		.amdhsa_exception_fp_ieee_div_zero 0
		.amdhsa_exception_fp_ieee_overflow 0
		.amdhsa_exception_fp_ieee_underflow 0
		.amdhsa_exception_fp_ieee_inexact 0
		.amdhsa_exception_int_div_zero 0
	.end_amdhsa_kernel
	.section	.text._ZL33csrmvn_symm_large_adaptive_kernelIll21rocsparse_complex_numIfES1_S1_S1_EvbT_PKS2_N9rocsparse24const_host_device_scalarIT4_EES4_PKT0_PKT1_PKT2_S8_PT3_21rocsparse_index_base_b,"axG",@progbits,_ZL33csrmvn_symm_large_adaptive_kernelIll21rocsparse_complex_numIfES1_S1_S1_EvbT_PKS2_N9rocsparse24const_host_device_scalarIT4_EES4_PKT0_PKT1_PKT2_S8_PT3_21rocsparse_index_base_b,comdat
.Lfunc_end32:
	.size	_ZL33csrmvn_symm_large_adaptive_kernelIll21rocsparse_complex_numIfES1_S1_S1_EvbT_PKS2_N9rocsparse24const_host_device_scalarIT4_EES4_PKT0_PKT1_PKT2_S8_PT3_21rocsparse_index_base_b, .Lfunc_end32-_ZL33csrmvn_symm_large_adaptive_kernelIll21rocsparse_complex_numIfES1_S1_S1_EvbT_PKS2_N9rocsparse24const_host_device_scalarIT4_EES4_PKT0_PKT1_PKT2_S8_PT3_21rocsparse_index_base_b
                                        ; -- End function
	.set _ZL33csrmvn_symm_large_adaptive_kernelIll21rocsparse_complex_numIfES1_S1_S1_EvbT_PKS2_N9rocsparse24const_host_device_scalarIT4_EES4_PKT0_PKT1_PKT2_S8_PT3_21rocsparse_index_base_b.num_vgpr, 22
	.set _ZL33csrmvn_symm_large_adaptive_kernelIll21rocsparse_complex_numIfES1_S1_S1_EvbT_PKS2_N9rocsparse24const_host_device_scalarIT4_EES4_PKT0_PKT1_PKT2_S8_PT3_21rocsparse_index_base_b.num_agpr, 0
	.set _ZL33csrmvn_symm_large_adaptive_kernelIll21rocsparse_complex_numIfES1_S1_S1_EvbT_PKS2_N9rocsparse24const_host_device_scalarIT4_EES4_PKT0_PKT1_PKT2_S8_PT3_21rocsparse_index_base_b.numbered_sgpr, 46
	.set _ZL33csrmvn_symm_large_adaptive_kernelIll21rocsparse_complex_numIfES1_S1_S1_EvbT_PKS2_N9rocsparse24const_host_device_scalarIT4_EES4_PKT0_PKT1_PKT2_S8_PT3_21rocsparse_index_base_b.num_named_barrier, 0
	.set _ZL33csrmvn_symm_large_adaptive_kernelIll21rocsparse_complex_numIfES1_S1_S1_EvbT_PKS2_N9rocsparse24const_host_device_scalarIT4_EES4_PKT0_PKT1_PKT2_S8_PT3_21rocsparse_index_base_b.private_seg_size, 0
	.set _ZL33csrmvn_symm_large_adaptive_kernelIll21rocsparse_complex_numIfES1_S1_S1_EvbT_PKS2_N9rocsparse24const_host_device_scalarIT4_EES4_PKT0_PKT1_PKT2_S8_PT3_21rocsparse_index_base_b.uses_vcc, 1
	.set _ZL33csrmvn_symm_large_adaptive_kernelIll21rocsparse_complex_numIfES1_S1_S1_EvbT_PKS2_N9rocsparse24const_host_device_scalarIT4_EES4_PKT0_PKT1_PKT2_S8_PT3_21rocsparse_index_base_b.uses_flat_scratch, 0
	.set _ZL33csrmvn_symm_large_adaptive_kernelIll21rocsparse_complex_numIfES1_S1_S1_EvbT_PKS2_N9rocsparse24const_host_device_scalarIT4_EES4_PKT0_PKT1_PKT2_S8_PT3_21rocsparse_index_base_b.has_dyn_sized_stack, 0
	.set _ZL33csrmvn_symm_large_adaptive_kernelIll21rocsparse_complex_numIfES1_S1_S1_EvbT_PKS2_N9rocsparse24const_host_device_scalarIT4_EES4_PKT0_PKT1_PKT2_S8_PT3_21rocsparse_index_base_b.has_recursion, 0
	.set _ZL33csrmvn_symm_large_adaptive_kernelIll21rocsparse_complex_numIfES1_S1_S1_EvbT_PKS2_N9rocsparse24const_host_device_scalarIT4_EES4_PKT0_PKT1_PKT2_S8_PT3_21rocsparse_index_base_b.has_indirect_call, 0
	.section	.AMDGPU.csdata,"",@progbits
; Kernel info:
; codeLenInByte = 1848
; TotalNumSgprs: 52
; NumVgprs: 22
; NumAgprs: 0
; TotalNumVgprs: 22
; ScratchSize: 0
; MemoryBound: 0
; FloatMode: 240
; IeeeMode: 1
; LDSByteSize: 8192 bytes/workgroup (compile time only)
; SGPRBlocks: 6
; VGPRBlocks: 2
; NumSGPRsForWavesPerEU: 52
; NumVGPRsForWavesPerEU: 22
; AccumOffset: 24
; Occupancy: 8
; WaveLimiterHint : 1
; COMPUTE_PGM_RSRC2:SCRATCH_EN: 0
; COMPUTE_PGM_RSRC2:USER_SGPR: 2
; COMPUTE_PGM_RSRC2:TRAP_HANDLER: 0
; COMPUTE_PGM_RSRC2:TGID_X_EN: 1
; COMPUTE_PGM_RSRC2:TGID_Y_EN: 0
; COMPUTE_PGM_RSRC2:TGID_Z_EN: 0
; COMPUTE_PGM_RSRC2:TIDIG_COMP_CNT: 0
; COMPUTE_PGM_RSRC3_GFX90A:ACCUM_OFFSET: 5
; COMPUTE_PGM_RSRC3_GFX90A:TG_SPLIT: 0
	.section	.text._ZN9rocsparseL22csrmvn_adaptive_kernelIii21rocsparse_complex_numIdES2_S2_S2_EEvbT_PKS3_PjPKT0_NS_24const_host_device_scalarIT4_EES5_S9_PKT1_PKT2_SC_PT3_21rocsparse_index_base_b,"axG",@progbits,_ZN9rocsparseL22csrmvn_adaptive_kernelIii21rocsparse_complex_numIdES2_S2_S2_EEvbT_PKS3_PjPKT0_NS_24const_host_device_scalarIT4_EES5_S9_PKT1_PKT2_SC_PT3_21rocsparse_index_base_b,comdat
	.globl	_ZN9rocsparseL22csrmvn_adaptive_kernelIii21rocsparse_complex_numIdES2_S2_S2_EEvbT_PKS3_PjPKT0_NS_24const_host_device_scalarIT4_EES5_S9_PKT1_PKT2_SC_PT3_21rocsparse_index_base_b ; -- Begin function _ZN9rocsparseL22csrmvn_adaptive_kernelIii21rocsparse_complex_numIdES2_S2_S2_EEvbT_PKS3_PjPKT0_NS_24const_host_device_scalarIT4_EES5_S9_PKT1_PKT2_SC_PT3_21rocsparse_index_base_b
	.p2align	8
	.type	_ZN9rocsparseL22csrmvn_adaptive_kernelIii21rocsparse_complex_numIdES2_S2_S2_EEvbT_PKS3_PjPKT0_NS_24const_host_device_scalarIT4_EES5_S9_PKT1_PKT2_SC_PT3_21rocsparse_index_base_b,@function
_ZN9rocsparseL22csrmvn_adaptive_kernelIii21rocsparse_complex_numIdES2_S2_S2_EEvbT_PKS3_PjPKT0_NS_24const_host_device_scalarIT4_EES5_S9_PKT1_PKT2_SC_PT3_21rocsparse_index_base_b: ; @_ZN9rocsparseL22csrmvn_adaptive_kernelIii21rocsparse_complex_numIdES2_S2_S2_EEvbT_PKS3_PjPKT0_NS_24const_host_device_scalarIT4_EES5_S9_PKT1_PKT2_SC_PT3_21rocsparse_index_base_b
; %bb.0:
	s_load_dwordx2 s[4:5], s[0:1], 0x20
	s_load_dwordx2 s[42:43], s[0:1], 0x68
	s_add_u32 s3, s0, 32
	s_addc_u32 s8, s1, 0
	s_add_u32 s9, s0, 0x50
	s_load_dwordx2 s[6:7], s[0:1], 0x50
	s_addc_u32 s10, s1, 0
	s_waitcnt lgkmcnt(0)
	s_bitcmp1_b32 s43, 0
	s_cselect_b32 s5, s8, s5
	s_cselect_b32 s3, s3, s4
	v_mov_b32_e32 v2, s3
	v_mov_b32_e32 v3, s5
	flat_load_dwordx4 v[6:9], v[2:3]
	s_cselect_b32 s3, s10, s7
	s_cselect_b32 s4, s9, s6
	v_mov_b32_e32 v2, s4
	v_mov_b32_e32 v3, s3
	flat_load_dwordx4 v[2:5], v[2:3]
	s_waitcnt vmcnt(0) lgkmcnt(0)
	v_cmp_eq_f64_e32 vcc, 0, v[6:7]
	v_cmp_eq_f64_e64 s[4:5], 0, v[8:9]
	s_and_b64 s[8:9], vcc, s[4:5]
	s_mov_b64 s[4:5], -1
	s_and_saveexec_b64 s[6:7], s[8:9]
; %bb.1:
	v_cmp_neq_f64_e32 vcc, 1.0, v[2:3]
	v_cmp_neq_f64_e64 s[4:5], 0, v[4:5]
	s_or_b64 s[4:5], vcc, s[4:5]
	s_orn2_b64 s[4:5], s[4:5], exec
; %bb.2:
	s_or_b64 exec, exec, s[6:7]
	s_and_saveexec_b64 s[6:7], s[4:5]
	s_cbranch_execz .LBB33_114
; %bb.3:
	s_load_dwordx4 s[36:39], s[0:1], 0x0
	s_load_dwordx2 s[6:7], s[0:1], 0x18
	s_waitcnt lgkmcnt(0)
	s_bitcmp1_b32 s36, 0
	s_cselect_b64 s[4:5], -1, 0
	s_ashr_i32 s3, s2, 31
	s_lshl_b64 s[46:47], s[2:3], 2
	s_add_u32 s8, s38, s46
	s_addc_u32 s9, s39, s47
	s_load_dwordx2 s[38:39], s[8:9], 0x0
	s_load_dwordx2 s[34:35], s[0:1], 0x60
	s_load_dwordx8 s[24:31], s[0:1], 0x30
	s_waitcnt lgkmcnt(0)
	s_sub_i32 s3, s39, s38
	s_add_u32 s6, s6, s46
	s_mov_b32 s44, s38
	s_addc_u32 s7, s7, s47
	s_ashr_i32 s45, s38, 31
	s_load_dword s33, s[6:7], 0x0
	s_lshl_b64 s[6:7], s[44:45], 2
	s_add_u32 s40, s24, s6
	s_addc_u32 s41, s25, s7
	s_load_dword s36, s[40:41], 0x0
	s_cmp_lt_i32 s3, 2
	s_mov_b64 s[6:7], -1
	s_cbranch_scc0 .LBB33_70
; %bb.4:
	s_cmp_lg_u32 s3, 1
	s_cselect_b64 s[6:7], -1, 0
	s_waitcnt lgkmcnt(0)
	s_cmp_lg_u32 s33, 0
	s_cselect_b64 s[8:9], -1, 0
	s_or_b64 s[6:7], s[6:7], s[8:9]
	s_mov_b64 s[20:21], -1
	s_and_b64 vcc, exec, s[6:7]
	v_cmp_gt_u32_e64 s[6:7], 64, v0
	v_cmp_gt_u32_e64 s[8:9], 32, v0
	;; [unrolled: 1-line block ×6, first 2 shown]
	v_cmp_eq_u32_e64 s[18:19], 0, v0
	s_cbranch_vccnz .LBB33_32
; %bb.5:
	v_cmp_neq_f64_e64 s[20:21], 0, v[2:3]
	v_cmp_neq_f64_e64 s[22:23], 0, v[4:5]
	s_or_b64 s[22:23], s[20:21], s[22:23]
	s_movk_i32 s3, 0x80
	s_add_u32 s48, s28, 8
	v_subrev_u32_e32 v1, s42, v0
	v_lshlrev_b32_e32 v20, 4, v0
	v_cmp_gt_u32_e32 vcc, s3, v0
	s_addc_u32 s49, s29, 0
	s_mov_b64 s[50:51], 0x1000
	s_mov_b64 s[52:53], 0x400
	v_mov_b32_e32 v21, 0
	s_mov_b32 s54, s38
	s_branch .LBB33_8
.LBB33_6:                               ;   in Loop: Header=BB33_8 Depth=1
	s_or_b64 exec, exec, s[56:57]
	s_lshl_b64 s[56:57], s[54:55], 4
	s_add_u32 s56, s34, s56
	s_addc_u32 s57, s35, s57
	s_waitcnt lgkmcnt(0)
	global_store_dwordx4 v21, v[10:13], s[56:57]
.LBB33_7:                               ;   in Loop: Header=BB33_8 Depth=1
	s_or_b64 exec, exec, s[20:21]
	s_add_i32 s54, s54, 1
	s_cmp_ge_i32 s54, s39
	s_cbranch_scc1 .LBB33_31
.LBB33_8:                               ; =>This Loop Header: Depth=1
                                        ;     Child Loop BB33_10 Depth 2
	s_ashr_i32 s55, s54, 31
	s_lshl_b64 s[20:21], s[54:55], 2
	s_add_u32 s20, s24, s20
	s_addc_u32 s21, s25, s21
	s_load_dwordx2 s[56:57], s[20:21], 0x0
	v_mov_b64_e32 v[12:13], 0
	v_mov_b64_e32 v[10:11], 0
	s_waitcnt lgkmcnt(0)
	s_sub_i32 s3, s57, s42
	v_add_u32_e32 v14, s56, v1
	v_cmp_gt_i32_e64 s[20:21], s3, v14
	s_and_saveexec_b64 s[56:57], s[20:21]
	s_cbranch_execz .LBB33_12
; %bb.9:                                ;   in Loop: Header=BB33_8 Depth=1
	v_ashrrev_i32_e32 v15, 31, v14
	v_mov_b64_e32 v[12:13], 0
	v_lshl_add_u64 v[16:17], v[14:15], 4, s[48:49]
	v_lshl_add_u64 v[18:19], v[14:15], 2, s[26:27]
	s_mov_b64 s[58:59], 0
	v_mov_b64_e32 v[10:11], v[12:13]
.LBB33_10:                              ;   Parent Loop BB33_8 Depth=1
                                        ; =>  This Inner Loop Header: Depth=2
	global_load_dword v15, v[18:19], off
	global_load_dwordx4 v[22:25], v[16:17], off offset:-8
	v_add_u32_e32 v14, 0x100, v14
	v_cmp_le_i32_e64 s[20:21], s3, v14
	v_lshl_add_u64 v[16:17], v[16:17], 0, s[50:51]
	v_lshl_add_u64 v[18:19], v[18:19], 0, s[52:53]
	s_or_b64 s[58:59], s[20:21], s[58:59]
	s_waitcnt vmcnt(1)
	v_subrev_u32_e32 v26, s42, v15
	v_ashrrev_i32_e32 v27, 31, v26
	v_lshl_add_u64 v[26:27], v[26:27], 4, s[30:31]
	global_load_dwordx4 v[26:29], v[26:27], off
	s_waitcnt vmcnt(1)
	v_xor_b32_e32 v15, 0x80000000, v25
	v_cndmask_b32_e64 v25, v25, v15, s[4:5]
	v_mul_f64 v[30:31], v[24:25], -v[8:9]
	v_mul_f64 v[24:25], v[6:7], v[24:25]
	v_fmac_f64_e32 v[30:31], v[6:7], v[22:23]
	v_fmac_f64_e32 v[24:25], v[8:9], v[22:23]
	s_waitcnt vmcnt(0)
	v_fmac_f64_e32 v[10:11], v[30:31], v[26:27]
	v_fmac_f64_e32 v[12:13], v[24:25], v[26:27]
	v_fma_f64 v[10:11], -v[24:25], v[28:29], v[10:11]
	v_fmac_f64_e32 v[12:13], v[30:31], v[28:29]
	s_andn2_b64 exec, exec, s[58:59]
	s_cbranch_execnz .LBB33_10
; %bb.11:                               ;   in Loop: Header=BB33_8 Depth=1
	s_or_b64 exec, exec, s[58:59]
.LBB33_12:                              ;   in Loop: Header=BB33_8 Depth=1
	s_or_b64 exec, exec, s[56:57]
	ds_write_b128 v20, v[10:13]
	s_waitcnt lgkmcnt(0)
	s_barrier
	s_and_saveexec_b64 s[20:21], vcc
	s_cbranch_execz .LBB33_14
; %bb.13:                               ;   in Loop: Header=BB33_8 Depth=1
	ds_read_b128 v[10:13], v20 offset:2048
	ds_read_b128 v[14:17], v20
	s_waitcnt lgkmcnt(0)
	v_add_f64 v[10:11], v[10:11], v[14:15]
	v_add_f64 v[12:13], v[12:13], v[16:17]
	ds_write_b128 v20, v[10:13]
.LBB33_14:                              ;   in Loop: Header=BB33_8 Depth=1
	s_or_b64 exec, exec, s[20:21]
	s_waitcnt lgkmcnt(0)
	s_barrier
	s_and_saveexec_b64 s[20:21], s[6:7]
	s_cbranch_execz .LBB33_16
; %bb.15:                               ;   in Loop: Header=BB33_8 Depth=1
	ds_read_b128 v[10:13], v20 offset:1024
	ds_read_b128 v[14:17], v20
	s_waitcnt lgkmcnt(0)
	v_add_f64 v[10:11], v[10:11], v[14:15]
	v_add_f64 v[12:13], v[12:13], v[16:17]
	ds_write_b128 v20, v[10:13]
.LBB33_16:                              ;   in Loop: Header=BB33_8 Depth=1
	s_or_b64 exec, exec, s[20:21]
	s_waitcnt lgkmcnt(0)
	s_barrier
	s_and_saveexec_b64 s[20:21], s[8:9]
	;; [unrolled: 13-line block ×6, first 2 shown]
	s_cbranch_execz .LBB33_26
; %bb.25:                               ;   in Loop: Header=BB33_8 Depth=1
	ds_read_b128 v[10:13], v20
	ds_read_b128 v[14:17], v20 offset:32
	s_waitcnt lgkmcnt(0)
	v_add_f64 v[10:11], v[14:15], v[10:11]
	v_add_f64 v[12:13], v[16:17], v[12:13]
	ds_write_b128 v20, v[10:13]
.LBB33_26:                              ;   in Loop: Header=BB33_8 Depth=1
	s_or_b64 exec, exec, s[20:21]
	s_waitcnt lgkmcnt(0)
	s_barrier
	s_and_saveexec_b64 s[20:21], s[18:19]
	s_cbranch_execz .LBB33_28
; %bb.27:                               ;   in Loop: Header=BB33_8 Depth=1
	ds_read_b128 v[10:13], v21
	ds_read_b128 v[14:17], v21 offset:16
	s_waitcnt lgkmcnt(0)
	v_add_f64 v[10:11], v[14:15], v[10:11]
	v_add_f64 v[12:13], v[16:17], v[12:13]
	ds_write_b128 v21, v[10:13]
.LBB33_28:                              ;   in Loop: Header=BB33_8 Depth=1
	s_or_b64 exec, exec, s[20:21]
	s_waitcnt lgkmcnt(0)
	s_barrier
	s_and_saveexec_b64 s[20:21], s[18:19]
	s_cbranch_execz .LBB33_7
; %bb.29:                               ;   in Loop: Header=BB33_8 Depth=1
	ds_read_b128 v[10:13], v21
	s_and_saveexec_b64 s[56:57], s[22:23]
	s_cbranch_execz .LBB33_6
; %bb.30:                               ;   in Loop: Header=BB33_8 Depth=1
	s_lshl_b64 s[58:59], s[54:55], 4
	s_add_u32 s58, s34, s58
	s_addc_u32 s59, s35, s59
	global_load_dwordx4 v[14:17], v21, s[58:59]
	s_waitcnt vmcnt(0) lgkmcnt(0)
	v_fmac_f64_e32 v[10:11], v[2:3], v[14:15]
	v_fmac_f64_e32 v[12:13], v[4:5], v[14:15]
	v_fma_f64 v[10:11], -v[4:5], v[16:17], v[10:11]
	v_fmac_f64_e32 v[12:13], v[2:3], v[16:17]
	s_branch .LBB33_6
.LBB33_31:
	s_mov_b64 s[20:21], 0
.LBB33_32:
	s_and_b64 vcc, exec, s[20:21]
	s_cbranch_vccz .LBB33_69
; %bb.33:
	s_load_dwordx2 s[6:7], s[0:1], 0x10
	s_sub_i32 s2, s2, s33
	v_mov_b32_e32 v14, 0
	v_or_b32_e32 v10, s33, v0
	v_cmp_eq_u32_e32 vcc, 0, v10
	s_waitcnt lgkmcnt(0)
	s_add_u32 s0, s6, s46
	s_addc_u32 s1, s7, s47
	global_load_dword v1, v14, s[0:1]
	v_mov_b64_e32 v[10:11], 0
	v_mov_b64_e32 v[12:13], 0
	s_and_saveexec_b64 s[8:9], vcc
	s_cbranch_execz .LBB33_37
; %bb.34:
	s_lshl_b64 s[12:13], s[44:45], 4
	s_add_u32 s12, s34, s12
	s_addc_u32 s13, s35, s13
	global_load_dwordx4 v[14:17], v14, s[12:13]
	s_mov_b64 s[10:11], exec
	v_mbcnt_lo_u32_b32 v10, s10, 0
	v_add_f64 v[18:19], v[2:3], -1.0
	v_mbcnt_hi_u32_b32 v20, s11, v10
	v_cmp_eq_u32_e32 vcc, 0, v20
	s_waitcnt vmcnt(0) expcnt(0) lgkmcnt(0)
	v_mul_f64 v[10:11], v[16:17], -v[4:5]
	v_mul_f64 v[12:13], v[18:19], v[16:17]
	s_and_saveexec_b64 s[12:13], vcc
	s_cbranch_execz .LBB33_36
; %bb.35:
	s_ashr_i32 s3, s2, 31
	s_lshl_b64 s[14:15], s[2:3], 2
	s_add_u32 s14, s6, s14
	s_addc_u32 s15, s7, s15
	s_bcnt1_i32_b64 s3, s[10:11]
	s_and_b32 s3, s3, 1
	v_mov_b32_e32 v16, 0
	v_mov_b32_e32 v17, s3
	global_atomic_xor v16, v17, s[14:15]
.LBB33_36:
	s_or_b64 exec, exec, s[12:13]
	v_fmac_f64_e32 v[10:11], v[18:19], v[14:15]
	v_fmac_f64_e32 v[12:13], v[4:5], v[14:15]
.LBB33_37:
	s_or_b64 exec, exec, s[8:9]
	s_load_dword s8, s[40:41], 0x4
	s_mul_i32 s3, s33, 0xc00
	s_sub_i32 s9, s36, s42
	s_add_i32 s3, s9, s3
	v_add_u32_e32 v14, s3, v0
	s_waitcnt lgkmcnt(0)
	s_sub_i32 s10, s8, s42
	v_cmp_gt_i32_e32 vcc, s10, v14
	s_and_saveexec_b64 s[8:9], vcc
	s_cbranch_execz .LBB33_41
; %bb.38:
	v_ashrrev_i32_e32 v15, 31, v14
	s_addk_i32 s3, 0xc00
	v_lshl_add_u64 v[16:17], v[14:15], 4, s[28:29]
	s_min_i32 s3, s3, s10
	v_lshl_add_u64 v[16:17], v[16:17], 0, 8
	v_lshl_add_u64 v[18:19], v[14:15], 2, s[26:27]
	s_mov_b64 s[10:11], 0
	s_mov_b64 s[12:13], 0x1000
	;; [unrolled: 1-line block ×3, first 2 shown]
.LBB33_39:                              ; =>This Inner Loop Header: Depth=1
	global_load_dword v15, v[18:19], off
	global_load_dwordx4 v[20:23], v[16:17], off offset:-8
	v_add_u32_e32 v14, 0x100, v14
	v_cmp_le_i32_e32 vcc, s3, v14
	v_lshl_add_u64 v[16:17], v[16:17], 0, s[12:13]
	v_lshl_add_u64 v[18:19], v[18:19], 0, s[14:15]
	s_or_b64 s[10:11], vcc, s[10:11]
	s_waitcnt vmcnt(1)
	v_subrev_u32_e32 v24, s42, v15
	v_ashrrev_i32_e32 v25, 31, v24
	v_lshl_add_u64 v[24:25], v[24:25], 4, s[30:31]
	global_load_dwordx4 v[24:27], v[24:25], off
	s_waitcnt vmcnt(1)
	v_xor_b32_e32 v15, 0x80000000, v23
	v_cndmask_b32_e64 v23, v23, v15, s[4:5]
	v_mul_f64 v[28:29], v[22:23], -v[8:9]
	v_mul_f64 v[22:23], v[6:7], v[22:23]
	v_fmac_f64_e32 v[28:29], v[6:7], v[20:21]
	v_fmac_f64_e32 v[22:23], v[8:9], v[20:21]
	s_waitcnt vmcnt(0)
	v_fmac_f64_e32 v[10:11], v[28:29], v[24:25]
	v_fmac_f64_e32 v[12:13], v[22:23], v[24:25]
	v_fma_f64 v[10:11], -v[22:23], v[26:27], v[10:11]
	v_fmac_f64_e32 v[12:13], v[28:29], v[26:27]
	s_andn2_b64 exec, exec, s[10:11]
	s_cbranch_execnz .LBB33_39
; %bb.40:
	s_or_b64 exec, exec, s[10:11]
.LBB33_41:
	s_or_b64 exec, exec, s[8:9]
	s_movk_i32 s3, 0x80
	v_lshlrev_b32_e32 v14, 4, v0
	v_cmp_gt_u32_e32 vcc, s3, v0
	ds_write_b128 v14, v[10:13]
	s_waitcnt lgkmcnt(0)
	s_barrier
	s_and_saveexec_b64 s[8:9], vcc
	s_cbranch_execz .LBB33_43
; %bb.42:
	ds_read_b128 v[10:13], v14 offset:2048
	ds_read_b128 v[16:19], v14
	s_waitcnt lgkmcnt(0)
	v_add_f64 v[10:11], v[10:11], v[16:17]
	v_add_f64 v[12:13], v[12:13], v[18:19]
	ds_write_b128 v14, v[10:13]
.LBB33_43:
	s_or_b64 exec, exec, s[8:9]
	v_cmp_gt_u32_e32 vcc, 64, v0
	s_waitcnt lgkmcnt(0)
	s_barrier
	s_and_saveexec_b64 s[8:9], vcc
	s_cbranch_execz .LBB33_45
; %bb.44:
	ds_read_b128 v[10:13], v14 offset:1024
	ds_read_b128 v[16:19], v14
	s_waitcnt lgkmcnt(0)
	v_add_f64 v[10:11], v[10:11], v[16:17]
	v_add_f64 v[12:13], v[12:13], v[18:19]
	ds_write_b128 v14, v[10:13]
.LBB33_45:
	s_or_b64 exec, exec, s[8:9]
	v_cmp_gt_u32_e32 vcc, 32, v0
	;; [unrolled: 14-line block ×6, first 2 shown]
	s_waitcnt lgkmcnt(0)
	s_barrier
	s_and_saveexec_b64 s[8:9], vcc
	s_cbranch_execz .LBB33_55
; %bb.54:
	ds_read_b128 v[10:13], v14
	ds_read_b128 v[16:19], v14 offset:32
	s_waitcnt lgkmcnt(0)
	v_add_f64 v[10:11], v[16:17], v[10:11]
	v_add_f64 v[12:13], v[18:19], v[12:13]
	ds_write_b128 v14, v[10:13]
.LBB33_55:
	s_or_b64 exec, exec, s[8:9]
	v_cmp_eq_u32_e32 vcc, 0, v0
	s_waitcnt lgkmcnt(0)
	s_barrier
	s_and_saveexec_b64 s[8:9], vcc
	s_cbranch_execz .LBB33_57
; %bb.56:
	v_mov_b32_e32 v18, 0
	ds_read_b128 v[10:13], v18
	ds_read_b128 v[14:17], v18 offset:16
	s_waitcnt lgkmcnt(0)
	v_add_f64 v[10:11], v[14:15], v[10:11]
	v_add_f64 v[12:13], v[16:17], v[12:13]
	ds_write_b128 v18, v[10:13]
.LBB33_57:
	s_or_b64 exec, exec, s[8:9]
	s_waitcnt lgkmcnt(0)
	s_barrier
	s_and_saveexec_b64 s[8:9], vcc
	s_cbranch_execz .LBB33_68
; %bb.58:
	s_cmp_eq_u32 s33, 0
	s_cbranch_scc1 .LBB33_64
; %bb.59:
	s_ashr_i32 s3, s2, 31
	s_lshl_b64 s[2:3], s[2:3], 2
	s_add_u32 s2, s6, s2
	s_addc_u32 s3, s7, s3
	v_mov_b32_e32 v10, 0
	s_branch .LBB33_61
.LBB33_60:                              ;   in Loop: Header=BB33_61 Depth=1
	s_or_b64 exec, exec, s[6:7]
	s_waitcnt vmcnt(0)
	v_readfirstlane_b32 s6, v11
	s_nop 1
	v_cmp_eq_u32_e32 vcc, s6, v1
	s_cbranch_vccz .LBB33_63
.LBB33_61:                              ; =>This Inner Loop Header: Depth=1
	v_mbcnt_lo_u32_b32 v11, exec_lo, 0
	v_mbcnt_hi_u32_b32 v11, exec_hi, v11
	v_cmp_eq_u32_e32 vcc, 0, v11
                                        ; implicit-def: $vgpr11
	s_and_saveexec_b64 s[6:7], vcc
	s_cbranch_execz .LBB33_60
; %bb.62:                               ;   in Loop: Header=BB33_61 Depth=1
	global_load_dword v11, v10, s[2:3] sc1
	s_branch .LBB33_60
.LBB33_63:
	v_mov_b32_e32 v1, 0
	global_load_ushort v10, v1, s[0:1]
	s_waitcnt vmcnt(0)
	v_xor_b32_e32 v10, 1, v10
	global_store_short v1, v10, s[0:1]
.LBB33_64:
	s_waitcnt vmcnt(0)
	v_mov_b32_e32 v1, 0
	ds_read_b128 v[10:13], v1
	s_mov_b64 s[2:3], exec
	s_lshl_b64 s[0:1], s[44:45], 4
	v_mbcnt_lo_u32_b32 v14, s2, 0
	s_add_u32 s0, s34, s0
	v_mbcnt_hi_u32_b32 v14, s3, v14
	s_addc_u32 s1, s35, s1
	v_cmp_eq_u32_e32 vcc, 0, v14
	s_and_saveexec_b64 s[6:7], vcc
	s_cbranch_execz .LBB33_66
; %bb.65:
	s_bcnt1_i32_b64 s2, s[2:3]
	v_cvt_f64_u32_e32 v[14:15], s2
	s_waitcnt lgkmcnt(0)
	v_mul_f64 v[10:11], v[10:11], v[14:15]
	global_atomic_add_f64 v1, v[10:11], s[0:1]
.LBB33_66:
	s_or_b64 exec, exec, s[6:7]
	s_mov_b64 s[2:3], exec
	v_mbcnt_lo_u32_b32 v1, s2, 0
	v_mbcnt_hi_u32_b32 v1, s3, v1
	v_cmp_eq_u32_e32 vcc, 0, v1
	s_and_b64 s[6:7], exec, vcc
	s_mov_b64 exec, s[6:7]
	s_cbranch_execz .LBB33_68
; %bb.67:
	s_bcnt1_i32_b64 s2, s[2:3]
	s_waitcnt lgkmcnt(0)
	v_cvt_f64_u32_e32 v[10:11], s2
	v_mul_f64 v[10:11], v[12:13], v[10:11]
	v_mov_b32_e32 v1, 0
	global_atomic_add_f64 v1, v[10:11], s[0:1] offset:8
.LBB33_68:
	s_or_b64 exec, exec, s[8:9]
.LBB33_69:
	s_mov_b64 s[6:7], 0
.LBB33_70:
	s_andn2_b64 vcc, exec, s[6:7]
	s_cbranch_vccnz .LBB33_114
; %bb.71:
	s_waitcnt vmcnt(0)
	v_subrev_u32_e32 v1, s42, v0
	s_waitcnt lgkmcnt(0)
	v_add_u32_e32 v10, s36, v1
	v_add_u32_e32 v1, 0x300, v10
	v_cmp_le_i32_e32 vcc, s37, v1
	s_and_saveexec_b64 s[0:1], vcc
	s_xor_b64 s[0:1], exec, s[0:1]
	s_cbranch_execz .LBB33_76
; %bb.72:
	s_ashr_i32 s3, s39, 31
	s_mov_b32 s2, s39
	s_lshl_b64 s[2:3], s[2:3], 2
	s_add_u32 s2, s24, s2
	s_addc_u32 s3, s25, s3
	s_load_dword s2, s[2:3], 0x0
	s_waitcnt lgkmcnt(0)
	s_sub_i32 s8, s2, s42
	v_cmp_gt_i32_e32 vcc, s8, v10
	s_and_saveexec_b64 s[2:3], vcc
	s_cbranch_execz .LBB33_75
; %bb.73:
	v_lshlrev_b32_e32 v1, 4, v0
	s_mov_b64 s[6:7], 0
.LBB33_74:                              ; =>This Inner Loop Header: Depth=1
	v_ashrrev_i32_e32 v11, 31, v10
	v_lshl_add_u64 v[12:13], v[10:11], 2, s[26:27]
	global_load_dword v16, v[12:13], off
	v_lshl_add_u64 v[12:13], v[10:11], 4, s[28:29]
	global_load_dwordx4 v[12:15], v[12:13], off
	v_add_u32_e32 v10, 0x100, v10
	v_cmp_le_i32_e32 vcc, s8, v10
	s_or_b64 s[6:7], vcc, s[6:7]
	s_waitcnt vmcnt(1)
	v_subrev_u32_e32 v16, s42, v16
	v_ashrrev_i32_e32 v17, 31, v16
	v_lshl_add_u64 v[16:17], v[16:17], 4, s[30:31]
	global_load_dwordx4 v[16:19], v[16:17], off
	s_waitcnt vmcnt(1)
	v_xor_b32_e32 v11, 0x80000000, v15
	v_cndmask_b32_e64 v15, v15, v11, s[4:5]
	v_mul_f64 v[20:21], v[14:15], -v[8:9]
	v_mul_f64 v[22:23], v[6:7], v[14:15]
	v_fmac_f64_e32 v[20:21], v[6:7], v[12:13]
	v_fmac_f64_e32 v[22:23], v[8:9], v[12:13]
	s_waitcnt vmcnt(0)
	v_mul_f64 v[12:13], v[18:19], -v[22:23]
	v_mul_f64 v[14:15], v[18:19], v[20:21]
	v_fmac_f64_e32 v[12:13], v[20:21], v[16:17]
	v_fmac_f64_e32 v[14:15], v[22:23], v[16:17]
	ds_write_b128 v1, v[12:15]
	v_add_u32_e32 v1, 0x1000, v1
	s_andn2_b64 exec, exec, s[6:7]
	s_cbranch_execnz .LBB33_74
.LBB33_75:
	s_or_b64 exec, exec, s[2:3]
                                        ; implicit-def: $vgpr10
                                        ; implicit-def: $vgpr8_vgpr9
.LBB33_76:
	s_or_saveexec_b64 s[0:1], s[0:1]
	v_lshlrev_b32_e32 v1, 4, v0
	s_xor_b64 exec, exec, s[0:1]
	s_cbranch_execz .LBB33_78
; %bb.77:
	v_ashrrev_i32_e32 v11, 31, v10
	v_lshl_add_u64 v[12:13], v[10:11], 2, s[26:27]
	global_load_dword v30, v[12:13], off
	global_load_dword v31, v[12:13], off offset:1024
	global_load_dword v32, v[12:13], off offset:2048
	global_load_dword v33, v[12:13], off offset:3072
	s_movk_i32 s2, 0x2000
	v_lshl_add_u64 v[14:15], v[10:11], 4, s[28:29]
	v_add_co_u32_e32 v26, vcc, s2, v14
	s_movk_i32 s3, 0x3000
	s_nop 0
	v_addc_co_u32_e32 v27, vcc, 0, v15, vcc
	global_load_dwordx4 v[10:13], v[14:15], off
	v_add_co_u32_e32 v28, vcc, s3, v14
	s_waitcnt vmcnt(2)
	v_subrev_u32_e32 v34, s42, v32
	v_addc_co_u32_e32 v29, vcc, 0, v15, vcc
	global_load_dwordx4 v[14:17], v[26:27], off offset:-4096
	global_load_dwordx4 v[18:21], v[26:27], off
	global_load_dwordx4 v[22:25], v[28:29], off
	v_subrev_u32_e32 v26, s42, v30
	v_subrev_u32_e32 v30, s42, v31
	s_waitcnt vmcnt(4)
	v_subrev_u32_e32 v38, s42, v33
	v_ashrrev_i32_e32 v27, 31, v26
	v_ashrrev_i32_e32 v31, 31, v30
	;; [unrolled: 1-line block ×4, first 2 shown]
	v_lshl_add_u64 v[26:27], v[26:27], 4, s[30:31]
	global_load_dwordx4 v[26:29], v[26:27], off
	v_lshl_add_u64 v[30:31], v[30:31], 4, s[30:31]
	v_lshl_add_u64 v[34:35], v[34:35], 4, s[30:31]
	;; [unrolled: 1-line block ×3, first 2 shown]
	global_load_dwordx4 v[30:33], v[30:31], off
	s_waitcnt vmcnt(5)
	v_xor_b32_e32 v42, 0x80000000, v13
	global_load_dwordx4 v[34:37], v[34:35], off
	v_cndmask_b32_e64 v13, v13, v42, s[4:5]
	global_load_dwordx4 v[38:41], v[38:39], off
	v_mul_f64 v[42:43], v[12:13], -v[8:9]
	v_mul_f64 v[44:45], v[6:7], v[12:13]
	v_fmac_f64_e32 v[42:43], v[6:7], v[10:11]
	v_fmac_f64_e32 v[44:45], v[8:9], v[10:11]
	s_waitcnt vmcnt(6)
	v_xor_b32_e32 v46, 0x80000000, v17
	s_waitcnt vmcnt(5)
	v_xor_b32_e32 v47, 0x80000000, v21
	;; [unrolled: 2-line block ×3, first 2 shown]
	v_cndmask_b32_e64 v17, v17, v46, s[4:5]
	v_cndmask_b32_e64 v21, v21, v47, s[4:5]
	;; [unrolled: 1-line block ×3, first 2 shown]
	v_mul_f64 v[46:47], v[16:17], -v[8:9]
	v_mul_f64 v[48:49], v[6:7], v[16:17]
	v_mul_f64 v[50:51], v[20:21], -v[8:9]
	v_mul_f64 v[52:53], v[6:7], v[20:21]
	;; [unrolled: 2-line block ×3, first 2 shown]
	v_fmac_f64_e32 v[46:47], v[6:7], v[14:15]
	v_fmac_f64_e32 v[48:49], v[8:9], v[14:15]
	;; [unrolled: 1-line block ×6, first 2 shown]
	s_waitcnt vmcnt(3)
	v_mul_f64 v[6:7], v[28:29], -v[44:45]
	v_mul_f64 v[8:9], v[28:29], v[42:43]
	s_waitcnt vmcnt(2)
	v_mul_f64 v[10:11], v[32:33], -v[48:49]
	v_mul_f64 v[12:13], v[32:33], v[46:47]
	;; [unrolled: 3-line block ×4, first 2 shown]
	v_fmac_f64_e32 v[6:7], v[42:43], v[26:27]
	v_fmac_f64_e32 v[8:9], v[44:45], v[26:27]
	;; [unrolled: 1-line block ×8, first 2 shown]
	ds_write_b128 v1, v[6:9]
	ds_write_b128 v1, v[10:13] offset:4096
	ds_write_b128 v1, v[14:17] offset:8192
	;; [unrolled: 1-line block ×3, first 2 shown]
.LBB33_78:
	s_or_b64 exec, exec, s[0:1]
	s_cmp_lt_i32 s33, 2
	s_mov_b64 s[0:1], -1
	s_waitcnt lgkmcnt(0)
	s_barrier
	s_cbranch_scc0 .LBB33_89
; %bb.79:
	v_add_u32_e32 v10, s38, v0
	v_cmp_gt_i32_e32 vcc, s39, v10
	s_and_saveexec_b64 s[2:3], vcc
	s_cbranch_execz .LBB33_88
; %bb.80:
	v_cmp_neq_f64_e32 vcc, 0, v[2:3]
	v_cmp_neq_f64_e64 s[0:1], 0, v[4:5]
	s_lshl_b32 s6, s36, 4
	s_mov_b64 s[4:5], 0
	s_or_b64 s[0:1], vcc, s[0:1]
	s_sub_i32 s10, 0, s6
	s_branch .LBB33_82
.LBB33_81:                              ;   in Loop: Header=BB33_82 Depth=1
	s_or_b64 exec, exec, s[6:7]
	v_add_u32_e32 v10, 0x100, v10
	v_cmp_le_i32_e32 vcc, s39, v10
	s_or_b64 s[4:5], vcc, s[4:5]
	global_store_dwordx4 v[12:13], v[6:9], off
	s_andn2_b64 exec, exec, s[4:5]
	s_cbranch_execz .LBB33_88
.LBB33_82:                              ; =>This Loop Header: Depth=1
                                        ;     Child Loop BB33_84 Depth 2
	v_ashrrev_i32_e32 v11, 31, v10
	v_lshl_add_u64 v[6:7], v[10:11], 2, s[24:25]
	global_load_dwordx2 v[12:13], v[6:7], off
	v_mov_b64_e32 v[8:9], 0
	v_mov_b64_e32 v[6:7], 0
	s_waitcnt vmcnt(0)
	v_cmp_lt_i32_e32 vcc, v12, v13
	s_and_saveexec_b64 s[6:7], vcc
	s_cbranch_execz .LBB33_86
; %bb.83:                               ;   in Loop: Header=BB33_82 Depth=1
	v_mov_b64_e32 v[8:9], 0
	v_subrev_u32_e32 v13, s36, v13
	v_subrev_u32_e32 v14, s36, v12
	v_lshl_add_u32 v12, v12, 4, s10
	s_mov_b64 s[8:9], 0
	v_mov_b64_e32 v[6:7], v[8:9]
.LBB33_84:                              ;   Parent Loop BB33_82 Depth=1
                                        ; =>  This Inner Loop Header: Depth=2
	ds_read_b128 v[16:19], v12
	v_add_u32_e32 v14, 1, v14
	v_cmp_ge_i32_e32 vcc, v14, v13
	v_add_u32_e32 v12, 16, v12
	s_or_b64 s[8:9], vcc, s[8:9]
	s_waitcnt lgkmcnt(0)
	v_add_f64 v[6:7], v[6:7], v[16:17]
	v_add_f64 v[8:9], v[8:9], v[18:19]
	s_andn2_b64 exec, exec, s[8:9]
	s_cbranch_execnz .LBB33_84
; %bb.85:                               ;   in Loop: Header=BB33_82 Depth=1
	s_or_b64 exec, exec, s[8:9]
.LBB33_86:                              ;   in Loop: Header=BB33_82 Depth=1
	s_or_b64 exec, exec, s[6:7]
	v_lshl_add_u64 v[12:13], v[10:11], 4, s[34:35]
	s_and_saveexec_b64 s[6:7], s[0:1]
	s_cbranch_execz .LBB33_81
; %bb.87:                               ;   in Loop: Header=BB33_82 Depth=1
	global_load_dwordx4 v[14:17], v[12:13], off
	s_waitcnt vmcnt(0)
	v_fmac_f64_e32 v[6:7], v[2:3], v[14:15]
	v_fmac_f64_e32 v[8:9], v[4:5], v[14:15]
	v_fma_f64 v[6:7], -v[4:5], v[16:17], v[6:7]
	v_fmac_f64_e32 v[8:9], v[2:3], v[16:17]
	s_branch .LBB33_81
.LBB33_88:
	s_or_b64 exec, exec, s[2:3]
	s_mov_b64 s[0:1], 0
.LBB33_89:
	s_andn2_b64 vcc, exec, s[0:1]
	s_cbranch_vccnz .LBB33_114
; %bb.90:
	s_flbit_i32_b32 s0, s33
	s_xor_b32 s0, s0, 31
	v_lshrrev_b32_e32 v11, s0, v0
	v_add_u32_e32 v10, s38, v11
	s_add_i32 s0, s33, -1
	v_mov_b64_e32 v[6:7], 0
	v_and_b32_e32 v0, s0, v0
	v_cmp_le_i32_e32 vcc, s39, v10
	v_cmp_gt_i32_e64 s[0:1], s39, v10
	v_mov_b64_e32 v[8:9], v[6:7]
	s_and_saveexec_b64 s[2:3], s[0:1]
	s_cbranch_execz .LBB33_96
; %bb.91:
	v_lshlrev_b32_e32 v6, 2, v11
	global_load_dwordx2 v[6:7], v6, s[40:41]
	v_subrev_u32_e32 v12, s36, v0
	v_mov_b64_e32 v[8:9], 0
	s_waitcnt vmcnt(0)
	v_subrev_u32_e32 v11, s36, v7
	v_add_u32_e32 v12, v6, v12
	v_cmp_lt_i32_e64 s[0:1], v12, v11
	v_mov_b64_e32 v[6:7], 0
	s_and_saveexec_b64 s[4:5], s[0:1]
	s_cbranch_execz .LBB33_95
; %bb.92:
	v_mov_b64_e32 v[8:9], 0
	v_lshlrev_b32_e32 v13, 4, v12
	s_lshl_b32 s8, s33, 4
	s_mov_b64 s[6:7], 0
	v_mov_b64_e32 v[6:7], v[8:9]
.LBB33_93:                              ; =>This Inner Loop Header: Depth=1
	ds_read_b128 v[14:17], v13
	v_add_u32_e32 v12, s33, v12
	v_cmp_ge_i32_e64 s[0:1], v12, v11
	v_add_u32_e32 v13, s8, v13
	s_or_b64 s[6:7], s[0:1], s[6:7]
	s_waitcnt lgkmcnt(0)
	v_add_f64 v[6:7], v[6:7], v[14:15]
	v_add_f64 v[8:9], v[8:9], v[16:17]
	s_andn2_b64 exec, exec, s[6:7]
	s_cbranch_execnz .LBB33_93
; %bb.94:
	s_or_b64 exec, exec, s[6:7]
.LBB33_95:
	s_or_b64 exec, exec, s[4:5]
.LBB33_96:
	s_or_b64 exec, exec, s[2:3]
	s_cmpk_lt_u32 s33, 0x81
	s_barrier
	ds_write_b128 v1, v[6:9]
	s_waitcnt lgkmcnt(0)
	s_barrier
	s_cbranch_scc1 .LBB33_98
; %bb.97:
	ds_read_b128 v[12:15], v1 offset:2048
	s_waitcnt lgkmcnt(0)
	s_barrier
	v_add_f64 v[6:7], v[6:7], v[12:13]
	v_add_f64 v[8:9], v[8:9], v[14:15]
	ds_write_b128 v1, v[6:9]
.LBB33_98:
	s_cmpk_lt_u32 s33, 0x41
	s_waitcnt lgkmcnt(0)
	s_barrier
	s_cbranch_scc1 .LBB33_100
; %bb.99:
	ds_read_b128 v[12:15], v1 offset:1024
	s_waitcnt lgkmcnt(0)
	s_barrier
	v_add_f64 v[6:7], v[6:7], v[12:13]
	v_add_f64 v[8:9], v[8:9], v[14:15]
	ds_write_b128 v1, v[6:9]
.LBB33_100:
	s_cmp_lt_u32 s33, 33
	s_waitcnt lgkmcnt(0)
	s_barrier
	s_cbranch_scc1 .LBB33_102
; %bb.101:
	ds_read_b128 v[12:15], v1 offset:512
	s_waitcnt lgkmcnt(0)
	s_barrier
	v_add_f64 v[6:7], v[6:7], v[12:13]
	v_add_f64 v[8:9], v[8:9], v[14:15]
	ds_write_b128 v1, v[6:9]
.LBB33_102:
	s_cmp_lt_u32 s33, 17
	;; [unrolled: 12-line block ×4, first 2 shown]
	s_waitcnt lgkmcnt(0)
	s_barrier
	s_cbranch_scc1 .LBB33_108
; %bb.107:
	ds_read_b128 v[12:15], v1 offset:64
	s_waitcnt lgkmcnt(0)
	s_barrier
	v_add_f64 v[6:7], v[6:7], v[12:13]
	v_add_f64 v[8:9], v[8:9], v[14:15]
	ds_write_b128 v1, v[6:9]
.LBB33_108:
	s_cmp_eq_u32 s33, 2
	s_waitcnt lgkmcnt(0)
	s_barrier
	s_cbranch_scc1 .LBB33_110
; %bb.109:
	ds_read_b128 v[12:15], v1 offset:32
	s_waitcnt lgkmcnt(0)
	s_barrier
	v_add_f64 v[6:7], v[6:7], v[12:13]
	v_add_f64 v[8:9], v[8:9], v[14:15]
	ds_write_b128 v1, v[6:9]
.LBB33_110:
	s_waitcnt lgkmcnt(0)
	s_barrier
	ds_read_b128 v[12:15], v1 offset:16
	v_cmp_eq_u32_e64 s[0:1], 0, v0
	s_xor_b64 s[2:3], vcc, -1
	s_and_b64 s[0:1], s[0:1], s[2:3]
	s_waitcnt lgkmcnt(0)
	v_add_f64 v[6:7], v[6:7], v[12:13]
	v_add_f64 v[8:9], v[8:9], v[14:15]
	s_barrier
	ds_write_b128 v1, v[6:9]
	s_and_b64 exec, exec, s[0:1]
	s_cbranch_execz .LBB33_114
; %bb.111:
	v_ashrrev_i32_e32 v11, 31, v10
	v_cmp_neq_f64_e32 vcc, 0, v[2:3]
	v_cmp_neq_f64_e64 s[0:1], 0, v[4:5]
	s_or_b64 s[2:3], vcc, s[0:1]
	v_lshl_add_u64 v[0:1], v[10:11], 4, s[34:35]
	s_and_saveexec_b64 s[0:1], s[2:3]
	s_cbranch_execz .LBB33_113
; %bb.112:
	global_load_dwordx4 v[10:13], v[0:1], off
	s_waitcnt vmcnt(0)
	v_fmac_f64_e32 v[6:7], v[2:3], v[10:11]
	v_fmac_f64_e32 v[8:9], v[4:5], v[10:11]
	v_fma_f64 v[6:7], -v[4:5], v[12:13], v[6:7]
	v_fmac_f64_e32 v[8:9], v[2:3], v[12:13]
.LBB33_113:
	s_or_b64 exec, exec, s[0:1]
	global_store_dwordx4 v[0:1], v[6:9], off
.LBB33_114:
	s_endpgm
	.section	.rodata,"a",@progbits
	.p2align	6, 0x0
	.amdhsa_kernel _ZN9rocsparseL22csrmvn_adaptive_kernelIii21rocsparse_complex_numIdES2_S2_S2_EEvbT_PKS3_PjPKT0_NS_24const_host_device_scalarIT4_EES5_S9_PKT1_PKT2_SC_PT3_21rocsparse_index_base_b
		.amdhsa_group_segment_fixed_size 16384
		.amdhsa_private_segment_fixed_size 0
		.amdhsa_kernarg_size 112
		.amdhsa_user_sgpr_count 2
		.amdhsa_user_sgpr_dispatch_ptr 0
		.amdhsa_user_sgpr_queue_ptr 0
		.amdhsa_user_sgpr_kernarg_segment_ptr 1
		.amdhsa_user_sgpr_dispatch_id 0
		.amdhsa_user_sgpr_kernarg_preload_length 0
		.amdhsa_user_sgpr_kernarg_preload_offset 0
		.amdhsa_user_sgpr_private_segment_size 0
		.amdhsa_uses_dynamic_stack 0
		.amdhsa_enable_private_segment 0
		.amdhsa_system_sgpr_workgroup_id_x 1
		.amdhsa_system_sgpr_workgroup_id_y 0
		.amdhsa_system_sgpr_workgroup_id_z 0
		.amdhsa_system_sgpr_workgroup_info 0
		.amdhsa_system_vgpr_workitem_id 0
		.amdhsa_next_free_vgpr 56
		.amdhsa_next_free_sgpr 60
		.amdhsa_accum_offset 56
		.amdhsa_reserve_vcc 1
		.amdhsa_float_round_mode_32 0
		.amdhsa_float_round_mode_16_64 0
		.amdhsa_float_denorm_mode_32 3
		.amdhsa_float_denorm_mode_16_64 3
		.amdhsa_dx10_clamp 1
		.amdhsa_ieee_mode 1
		.amdhsa_fp16_overflow 0
		.amdhsa_tg_split 0
		.amdhsa_exception_fp_ieee_invalid_op 0
		.amdhsa_exception_fp_denorm_src 0
		.amdhsa_exception_fp_ieee_div_zero 0
		.amdhsa_exception_fp_ieee_overflow 0
		.amdhsa_exception_fp_ieee_underflow 0
		.amdhsa_exception_fp_ieee_inexact 0
		.amdhsa_exception_int_div_zero 0
	.end_amdhsa_kernel
	.section	.text._ZN9rocsparseL22csrmvn_adaptive_kernelIii21rocsparse_complex_numIdES2_S2_S2_EEvbT_PKS3_PjPKT0_NS_24const_host_device_scalarIT4_EES5_S9_PKT1_PKT2_SC_PT3_21rocsparse_index_base_b,"axG",@progbits,_ZN9rocsparseL22csrmvn_adaptive_kernelIii21rocsparse_complex_numIdES2_S2_S2_EEvbT_PKS3_PjPKT0_NS_24const_host_device_scalarIT4_EES5_S9_PKT1_PKT2_SC_PT3_21rocsparse_index_base_b,comdat
.Lfunc_end33:
	.size	_ZN9rocsparseL22csrmvn_adaptive_kernelIii21rocsparse_complex_numIdES2_S2_S2_EEvbT_PKS3_PjPKT0_NS_24const_host_device_scalarIT4_EES5_S9_PKT1_PKT2_SC_PT3_21rocsparse_index_base_b, .Lfunc_end33-_ZN9rocsparseL22csrmvn_adaptive_kernelIii21rocsparse_complex_numIdES2_S2_S2_EEvbT_PKS3_PjPKT0_NS_24const_host_device_scalarIT4_EES5_S9_PKT1_PKT2_SC_PT3_21rocsparse_index_base_b
                                        ; -- End function
	.set _ZN9rocsparseL22csrmvn_adaptive_kernelIii21rocsparse_complex_numIdES2_S2_S2_EEvbT_PKS3_PjPKT0_NS_24const_host_device_scalarIT4_EES5_S9_PKT1_PKT2_SC_PT3_21rocsparse_index_base_b.num_vgpr, 56
	.set _ZN9rocsparseL22csrmvn_adaptive_kernelIii21rocsparse_complex_numIdES2_S2_S2_EEvbT_PKS3_PjPKT0_NS_24const_host_device_scalarIT4_EES5_S9_PKT1_PKT2_SC_PT3_21rocsparse_index_base_b.num_agpr, 0
	.set _ZN9rocsparseL22csrmvn_adaptive_kernelIii21rocsparse_complex_numIdES2_S2_S2_EEvbT_PKS3_PjPKT0_NS_24const_host_device_scalarIT4_EES5_S9_PKT1_PKT2_SC_PT3_21rocsparse_index_base_b.numbered_sgpr, 60
	.set _ZN9rocsparseL22csrmvn_adaptive_kernelIii21rocsparse_complex_numIdES2_S2_S2_EEvbT_PKS3_PjPKT0_NS_24const_host_device_scalarIT4_EES5_S9_PKT1_PKT2_SC_PT3_21rocsparse_index_base_b.num_named_barrier, 0
	.set _ZN9rocsparseL22csrmvn_adaptive_kernelIii21rocsparse_complex_numIdES2_S2_S2_EEvbT_PKS3_PjPKT0_NS_24const_host_device_scalarIT4_EES5_S9_PKT1_PKT2_SC_PT3_21rocsparse_index_base_b.private_seg_size, 0
	.set _ZN9rocsparseL22csrmvn_adaptive_kernelIii21rocsparse_complex_numIdES2_S2_S2_EEvbT_PKS3_PjPKT0_NS_24const_host_device_scalarIT4_EES5_S9_PKT1_PKT2_SC_PT3_21rocsparse_index_base_b.uses_vcc, 1
	.set _ZN9rocsparseL22csrmvn_adaptive_kernelIii21rocsparse_complex_numIdES2_S2_S2_EEvbT_PKS3_PjPKT0_NS_24const_host_device_scalarIT4_EES5_S9_PKT1_PKT2_SC_PT3_21rocsparse_index_base_b.uses_flat_scratch, 0
	.set _ZN9rocsparseL22csrmvn_adaptive_kernelIii21rocsparse_complex_numIdES2_S2_S2_EEvbT_PKS3_PjPKT0_NS_24const_host_device_scalarIT4_EES5_S9_PKT1_PKT2_SC_PT3_21rocsparse_index_base_b.has_dyn_sized_stack, 0
	.set _ZN9rocsparseL22csrmvn_adaptive_kernelIii21rocsparse_complex_numIdES2_S2_S2_EEvbT_PKS3_PjPKT0_NS_24const_host_device_scalarIT4_EES5_S9_PKT1_PKT2_SC_PT3_21rocsparse_index_base_b.has_recursion, 0
	.set _ZN9rocsparseL22csrmvn_adaptive_kernelIii21rocsparse_complex_numIdES2_S2_S2_EEvbT_PKS3_PjPKT0_NS_24const_host_device_scalarIT4_EES5_S9_PKT1_PKT2_SC_PT3_21rocsparse_index_base_b.has_indirect_call, 0
	.section	.AMDGPU.csdata,"",@progbits
; Kernel info:
; codeLenInByte = 4596
; TotalNumSgprs: 66
; NumVgprs: 56
; NumAgprs: 0
; TotalNumVgprs: 56
; ScratchSize: 0
; MemoryBound: 0
; FloatMode: 240
; IeeeMode: 1
; LDSByteSize: 16384 bytes/workgroup (compile time only)
; SGPRBlocks: 8
; VGPRBlocks: 6
; NumSGPRsForWavesPerEU: 66
; NumVGPRsForWavesPerEU: 56
; AccumOffset: 56
; Occupancy: 8
; WaveLimiterHint : 1
; COMPUTE_PGM_RSRC2:SCRATCH_EN: 0
; COMPUTE_PGM_RSRC2:USER_SGPR: 2
; COMPUTE_PGM_RSRC2:TRAP_HANDLER: 0
; COMPUTE_PGM_RSRC2:TGID_X_EN: 1
; COMPUTE_PGM_RSRC2:TGID_Y_EN: 0
; COMPUTE_PGM_RSRC2:TGID_Z_EN: 0
; COMPUTE_PGM_RSRC2:TIDIG_COMP_CNT: 0
; COMPUTE_PGM_RSRC3_GFX90A:ACCUM_OFFSET: 13
; COMPUTE_PGM_RSRC3_GFX90A:TG_SPLIT: 0
	.section	.text._ZN9rocsparseL22partial_scale_y_kernelIi21rocsparse_complex_numIdES2_EEvT_S3_S3_NS_24const_host_device_scalarIT1_EEPT0_b,"axG",@progbits,_ZN9rocsparseL22partial_scale_y_kernelIi21rocsparse_complex_numIdES2_EEvT_S3_S3_NS_24const_host_device_scalarIT1_EEPT0_b,comdat
	.globl	_ZN9rocsparseL22partial_scale_y_kernelIi21rocsparse_complex_numIdES2_EEvT_S3_S3_NS_24const_host_device_scalarIT1_EEPT0_b ; -- Begin function _ZN9rocsparseL22partial_scale_y_kernelIi21rocsparse_complex_numIdES2_EEvT_S3_S3_NS_24const_host_device_scalarIT1_EEPT0_b
	.p2align	8
	.type	_ZN9rocsparseL22partial_scale_y_kernelIi21rocsparse_complex_numIdES2_EEvT_S3_S3_NS_24const_host_device_scalarIT1_EEPT0_b,@function
_ZN9rocsparseL22partial_scale_y_kernelIi21rocsparse_complex_numIdES2_EEvT_S3_S3_NS_24const_host_device_scalarIT1_EEPT0_b: ; @_ZN9rocsparseL22partial_scale_y_kernelIi21rocsparse_complex_numIdES2_EEvT_S3_S3_NS_24const_host_device_scalarIT1_EEPT0_b
; %bb.0:
	s_load_dword s3, s[0:1], 0x28
	s_load_dwordx2 s[4:5], s[0:1], 0x10
	s_add_u32 s6, s0, 16
	s_addc_u32 s7, s1, 0
	s_waitcnt lgkmcnt(0)
	s_bitcmp1_b32 s3, 0
	s_cselect_b32 s3, s7, s5
	s_cselect_b32 s4, s6, s4
	v_mov_b32_e32 v2, s4
	v_mov_b32_e32 v3, s3
	flat_load_dwordx4 v[2:5], v[2:3]
	s_waitcnt vmcnt(0) lgkmcnt(0)
	v_cmp_neq_f64_e32 vcc, 1.0, v[2:3]
	v_cmp_neq_f64_e64 s[4:5], 0, v[4:5]
	s_or_b64 s[4:5], vcc, s[4:5]
	s_and_saveexec_b64 s[6:7], s[4:5]
	s_cbranch_execz .LBB34_13
; %bb.1:
	s_load_dwordx4 s[4:7], s[0:1], 0x0
	v_lshl_or_b32 v0, s2, 8, v0
	s_waitcnt lgkmcnt(0)
	s_add_i32 s2, s5, s4
	s_sub_i32 s2, s2, s6
	v_cmp_gt_i32_e32 vcc, s2, v0
	s_and_b64 exec, exec, vcc
	s_cbranch_execz .LBB34_13
; %bb.2:
	s_load_dwordx2 s[8:9], s[0:1], 0x20
	v_cmp_neq_f64_e64 s[0:1], 0, v[2:3]
	v_cmp_neq_f64_e64 s[2:3], 0, v[4:5]
	v_cmp_le_i32_e32 vcc, s5, v0
	s_or_b64 s[0:1], s[0:1], s[2:3]
	s_and_saveexec_b64 s[2:3], vcc
	s_xor_b64 s[2:3], exec, s[2:3]
	s_cbranch_execz .LBB34_8
; %bb.3:
	v_subrev_u32_e32 v0, s5, v0
	v_add_u32_e32 v0, s6, v0
	v_ashrrev_i32_e32 v1, 31, v0
	s_waitcnt lgkmcnt(0)
	v_lshl_add_u64 v[0:1], v[0:1], 4, s[8:9]
	s_and_saveexec_b64 s[4:5], s[0:1]
	s_xor_b64 s[4:5], exec, s[4:5]
	s_cbranch_execz .LBB34_5
; %bb.4:
	global_load_dwordx4 v[6:9], v[0:1], off
	s_waitcnt vmcnt(0)
	v_mul_f64 v[10:11], v[4:5], -v[8:9]
	v_mul_f64 v[12:13], v[4:5], v[6:7]
	v_fmac_f64_e32 v[10:11], v[6:7], v[2:3]
	v_fmac_f64_e32 v[12:13], v[8:9], v[2:3]
	global_store_dwordx4 v[0:1], v[10:13], off
                                        ; implicit-def: $vgpr0_vgpr1
.LBB34_5:
	s_andn2_saveexec_b64 s[4:5], s[4:5]
	s_cbranch_execz .LBB34_7
; %bb.6:
	v_mov_b32_e32 v2, 0
	v_mov_b32_e32 v3, v2
	;; [unrolled: 1-line block ×4, first 2 shown]
	global_store_dwordx4 v[0:1], v[2:5], off
.LBB34_7:
	s_or_b64 exec, exec, s[4:5]
                                        ; implicit-def: $vgpr0
                                        ; implicit-def: $vgpr4_vgpr5
.LBB34_8:
	s_andn2_saveexec_b64 s[2:3], s[2:3]
	s_cbranch_execz .LBB34_13
; %bb.9:
	v_ashrrev_i32_e32 v1, 31, v0
	s_waitcnt lgkmcnt(0)
	v_lshl_add_u64 v[0:1], v[0:1], 4, s[8:9]
	s_and_saveexec_b64 s[2:3], s[0:1]
	s_xor_b64 s[0:1], exec, s[2:3]
	s_cbranch_execz .LBB34_11
; %bb.10:
	global_load_dwordx4 v[6:9], v[0:1], off
	s_waitcnt vmcnt(0)
	v_mul_f64 v[10:11], v[4:5], -v[8:9]
	v_mul_f64 v[12:13], v[4:5], v[6:7]
	v_fmac_f64_e32 v[10:11], v[6:7], v[2:3]
	v_fmac_f64_e32 v[12:13], v[8:9], v[2:3]
	global_store_dwordx4 v[0:1], v[10:13], off
                                        ; implicit-def: $vgpr0_vgpr1
.LBB34_11:
	s_andn2_saveexec_b64 s[0:1], s[0:1]
	s_cbranch_execz .LBB34_13
; %bb.12:
	v_mov_b32_e32 v2, 0
	v_mov_b32_e32 v3, v2
	v_mov_b32_e32 v4, v2
	v_mov_b32_e32 v5, v2
	global_store_dwordx4 v[0:1], v[2:5], off
.LBB34_13:
	s_endpgm
	.section	.rodata,"a",@progbits
	.p2align	6, 0x0
	.amdhsa_kernel _ZN9rocsparseL22partial_scale_y_kernelIi21rocsparse_complex_numIdES2_EEvT_S3_S3_NS_24const_host_device_scalarIT1_EEPT0_b
		.amdhsa_group_segment_fixed_size 0
		.amdhsa_private_segment_fixed_size 0
		.amdhsa_kernarg_size 44
		.amdhsa_user_sgpr_count 2
		.amdhsa_user_sgpr_dispatch_ptr 0
		.amdhsa_user_sgpr_queue_ptr 0
		.amdhsa_user_sgpr_kernarg_segment_ptr 1
		.amdhsa_user_sgpr_dispatch_id 0
		.amdhsa_user_sgpr_kernarg_preload_length 0
		.amdhsa_user_sgpr_kernarg_preload_offset 0
		.amdhsa_user_sgpr_private_segment_size 0
		.amdhsa_uses_dynamic_stack 0
		.amdhsa_enable_private_segment 0
		.amdhsa_system_sgpr_workgroup_id_x 1
		.amdhsa_system_sgpr_workgroup_id_y 0
		.amdhsa_system_sgpr_workgroup_id_z 0
		.amdhsa_system_sgpr_workgroup_info 0
		.amdhsa_system_vgpr_workitem_id 0
		.amdhsa_next_free_vgpr 14
		.amdhsa_next_free_sgpr 10
		.amdhsa_accum_offset 16
		.amdhsa_reserve_vcc 1
		.amdhsa_float_round_mode_32 0
		.amdhsa_float_round_mode_16_64 0
		.amdhsa_float_denorm_mode_32 3
		.amdhsa_float_denorm_mode_16_64 3
		.amdhsa_dx10_clamp 1
		.amdhsa_ieee_mode 1
		.amdhsa_fp16_overflow 0
		.amdhsa_tg_split 0
		.amdhsa_exception_fp_ieee_invalid_op 0
		.amdhsa_exception_fp_denorm_src 0
		.amdhsa_exception_fp_ieee_div_zero 0
		.amdhsa_exception_fp_ieee_overflow 0
		.amdhsa_exception_fp_ieee_underflow 0
		.amdhsa_exception_fp_ieee_inexact 0
		.amdhsa_exception_int_div_zero 0
	.end_amdhsa_kernel
	.section	.text._ZN9rocsparseL22partial_scale_y_kernelIi21rocsparse_complex_numIdES2_EEvT_S3_S3_NS_24const_host_device_scalarIT1_EEPT0_b,"axG",@progbits,_ZN9rocsparseL22partial_scale_y_kernelIi21rocsparse_complex_numIdES2_EEvT_S3_S3_NS_24const_host_device_scalarIT1_EEPT0_b,comdat
.Lfunc_end34:
	.size	_ZN9rocsparseL22partial_scale_y_kernelIi21rocsparse_complex_numIdES2_EEvT_S3_S3_NS_24const_host_device_scalarIT1_EEPT0_b, .Lfunc_end34-_ZN9rocsparseL22partial_scale_y_kernelIi21rocsparse_complex_numIdES2_EEvT_S3_S3_NS_24const_host_device_scalarIT1_EEPT0_b
                                        ; -- End function
	.set _ZN9rocsparseL22partial_scale_y_kernelIi21rocsparse_complex_numIdES2_EEvT_S3_S3_NS_24const_host_device_scalarIT1_EEPT0_b.num_vgpr, 14
	.set _ZN9rocsparseL22partial_scale_y_kernelIi21rocsparse_complex_numIdES2_EEvT_S3_S3_NS_24const_host_device_scalarIT1_EEPT0_b.num_agpr, 0
	.set _ZN9rocsparseL22partial_scale_y_kernelIi21rocsparse_complex_numIdES2_EEvT_S3_S3_NS_24const_host_device_scalarIT1_EEPT0_b.numbered_sgpr, 10
	.set _ZN9rocsparseL22partial_scale_y_kernelIi21rocsparse_complex_numIdES2_EEvT_S3_S3_NS_24const_host_device_scalarIT1_EEPT0_b.num_named_barrier, 0
	.set _ZN9rocsparseL22partial_scale_y_kernelIi21rocsparse_complex_numIdES2_EEvT_S3_S3_NS_24const_host_device_scalarIT1_EEPT0_b.private_seg_size, 0
	.set _ZN9rocsparseL22partial_scale_y_kernelIi21rocsparse_complex_numIdES2_EEvT_S3_S3_NS_24const_host_device_scalarIT1_EEPT0_b.uses_vcc, 1
	.set _ZN9rocsparseL22partial_scale_y_kernelIi21rocsparse_complex_numIdES2_EEvT_S3_S3_NS_24const_host_device_scalarIT1_EEPT0_b.uses_flat_scratch, 0
	.set _ZN9rocsparseL22partial_scale_y_kernelIi21rocsparse_complex_numIdES2_EEvT_S3_S3_NS_24const_host_device_scalarIT1_EEPT0_b.has_dyn_sized_stack, 0
	.set _ZN9rocsparseL22partial_scale_y_kernelIi21rocsparse_complex_numIdES2_EEvT_S3_S3_NS_24const_host_device_scalarIT1_EEPT0_b.has_recursion, 0
	.set _ZN9rocsparseL22partial_scale_y_kernelIi21rocsparse_complex_numIdES2_EEvT_S3_S3_NS_24const_host_device_scalarIT1_EEPT0_b.has_indirect_call, 0
	.section	.AMDGPU.csdata,"",@progbits
; Kernel info:
; codeLenInByte = 400
; TotalNumSgprs: 16
; NumVgprs: 14
; NumAgprs: 0
; TotalNumVgprs: 14
; ScratchSize: 0
; MemoryBound: 0
; FloatMode: 240
; IeeeMode: 1
; LDSByteSize: 0 bytes/workgroup (compile time only)
; SGPRBlocks: 1
; VGPRBlocks: 1
; NumSGPRsForWavesPerEU: 16
; NumVGPRsForWavesPerEU: 14
; AccumOffset: 16
; Occupancy: 8
; WaveLimiterHint : 0
; COMPUTE_PGM_RSRC2:SCRATCH_EN: 0
; COMPUTE_PGM_RSRC2:USER_SGPR: 2
; COMPUTE_PGM_RSRC2:TRAP_HANDLER: 0
; COMPUTE_PGM_RSRC2:TGID_X_EN: 1
; COMPUTE_PGM_RSRC2:TGID_Y_EN: 0
; COMPUTE_PGM_RSRC2:TGID_Z_EN: 0
; COMPUTE_PGM_RSRC2:TIDIG_COMP_CNT: 0
; COMPUTE_PGM_RSRC3_GFX90A:ACCUM_OFFSET: 3
; COMPUTE_PGM_RSRC3_GFX90A:TG_SPLIT: 0
	.section	.text._ZN9rocsparseL27csrmvn_symm_adaptive_kernelIii21rocsparse_complex_numIdES2_S2_S2_EEvbT_S3_PKS3_NS_24const_host_device_scalarIT4_EES5_PKT0_PKT1_PKT2_S8_PT3_21rocsparse_index_base_b,"axG",@progbits,_ZN9rocsparseL27csrmvn_symm_adaptive_kernelIii21rocsparse_complex_numIdES2_S2_S2_EEvbT_S3_PKS3_NS_24const_host_device_scalarIT4_EES5_PKT0_PKT1_PKT2_S8_PT3_21rocsparse_index_base_b,comdat
	.globl	_ZN9rocsparseL27csrmvn_symm_adaptive_kernelIii21rocsparse_complex_numIdES2_S2_S2_EEvbT_S3_PKS3_NS_24const_host_device_scalarIT4_EES5_PKT0_PKT1_PKT2_S8_PT3_21rocsparse_index_base_b ; -- Begin function _ZN9rocsparseL27csrmvn_symm_adaptive_kernelIii21rocsparse_complex_numIdES2_S2_S2_EEvbT_S3_PKS3_NS_24const_host_device_scalarIT4_EES5_PKT0_PKT1_PKT2_S8_PT3_21rocsparse_index_base_b
	.p2align	8
	.type	_ZN9rocsparseL27csrmvn_symm_adaptive_kernelIii21rocsparse_complex_numIdES2_S2_S2_EEvbT_S3_PKS3_NS_24const_host_device_scalarIT4_EES5_PKT0_PKT1_PKT2_S8_PT3_21rocsparse_index_base_b,@function
_ZN9rocsparseL27csrmvn_symm_adaptive_kernelIii21rocsparse_complex_numIdES2_S2_S2_EEvbT_S3_PKS3_NS_24const_host_device_scalarIT4_EES5_PKT0_PKT1_PKT2_S8_PT3_21rocsparse_index_base_b: ; @_ZN9rocsparseL27csrmvn_symm_adaptive_kernelIii21rocsparse_complex_numIdES2_S2_S2_EEvbT_S3_PKS3_NS_24const_host_device_scalarIT4_EES5_PKT0_PKT1_PKT2_S8_PT3_21rocsparse_index_base_b
; %bb.0:
	s_load_dwordx2 s[28:29], s[0:1], 0x60
	s_load_dwordx2 s[4:5], s[0:1], 0x18
	s_add_u32 s3, s0, 24
	s_addc_u32 s10, s1, 0
	s_waitcnt lgkmcnt(0)
	s_bitcmp1_b32 s29, 0
	s_cselect_b64 s[8:9], -1, 0
	s_and_b64 s[6:7], s[8:9], exec
	s_cselect_b32 s5, s10, s5
	s_cselect_b32 s3, s3, s4
	v_mov_b32_e32 v2, s3
	v_mov_b32_e32 v3, s5
	flat_load_dwordx4 v[2:5], v[2:3]
	s_waitcnt vmcnt(0) lgkmcnt(0)
	v_cmp_eq_f64_e32 vcc, 0, v[2:3]
	v_cmp_eq_f64_e64 s[4:5], 0, v[4:5]
	s_and_b64 s[10:11], vcc, s[4:5]
	s_mov_b64 s[4:5], -1
	s_and_saveexec_b64 s[6:7], s[10:11]
	s_cbranch_execz .LBB35_2
; %bb.1:
	s_load_dwordx2 s[4:5], s[0:1], 0x48
	s_add_u32 s3, s0, 0x48
	s_addc_u32 s10, s1, 0
	s_and_b64 s[8:9], s[8:9], exec
	s_waitcnt lgkmcnt(0)
	s_cselect_b32 s5, s10, s5
	s_cselect_b32 s3, s3, s4
	v_mov_b32_e32 v6, s3
	v_mov_b32_e32 v7, s5
	flat_load_dwordx4 v[6:9], v[6:7]
	s_waitcnt vmcnt(0) lgkmcnt(0)
	v_cmp_neq_f64_e32 vcc, 1.0, v[6:7]
	v_cmp_neq_f64_e64 s[4:5], 0, v[8:9]
	s_or_b64 s[4:5], vcc, s[4:5]
	s_orn2_b64 s[4:5], s[4:5], exec
.LBB35_2:
	s_or_b64 exec, exec, s[6:7]
	s_and_saveexec_b64 s[6:7], s[4:5]
	s_cbranch_execz .LBB35_145
; %bb.3:
	s_load_dwordx4 s[20:23], s[0:1], 0x0
	s_load_dwordx2 s[8:9], s[0:1], 0x10
	s_mov_b32 s4, 0
	s_mov_b32 s6, s4
	s_mov_b32 s7, s4
	s_waitcnt lgkmcnt(0)
	s_bitcmp1_b32 s20, 0
	s_cselect_b64 s[10:11], -1, 0
	s_ashr_i32 s3, s2, 31
	s_lshl_b64 s[2:3], s[2:3], 2
	s_mov_b32 s5, s4
	v_mov_b64_e32 v[8:9], s[6:7]
	s_add_u32 s2, s8, s2
	v_lshlrev_b32_e32 v1, 4, v0
	v_mov_b64_e32 v[6:7], s[4:5]
	s_addc_u32 s3, s9, s3
	ds_write_b128 v1, v[6:9]
	ds_write_b128 v1, v[6:9] offset:4096
	ds_write_b128 v1, v[6:9] offset:8192
	;; [unrolled: 1-line block ×3, first 2 shown]
	s_waitcnt lgkmcnt(0)
	s_barrier
	s_load_dwordx2 s[26:27], s[2:3], 0x0
	s_load_dwordx2 s[24:25], s[0:1], 0x58
	s_load_dwordx8 s[12:19], s[0:1], 0x28
	s_mov_b64 s[2:3], -1
	v_subrev_u32_e32 v16, s28, v0
	s_waitcnt lgkmcnt(0)
	s_sub_i32 s20, s27, s26
	s_cmp_gt_i32 s20, 2
	s_cbranch_scc1 .LBB35_38
; %bb.4:
	s_cmp_le_i32 s27, s26
	s_cbranch_scc1 .LBB35_28
; %bb.5:
	s_add_u32 s30, s16, 8
	v_cmp_gt_u32_e32 vcc, 64, v0
	v_cmp_gt_u32_e64 s[4:5], 16, v0
	v_cmp_gt_u32_e64 s[6:7], 4, v0
	v_cmp_eq_u32_e64 s[8:9], 0, v0
	s_addc_u32 s31, s17, 0
	s_mov_b64 s[34:35], 0x400
	s_mov_b64 s[36:37], 0x1000
	v_mov_b32_e32 v17, 0
	s_mov_b32 s38, s26
	s_branch .LBB35_7
.LBB35_6:                               ;   in Loop: Header=BB35_7 Depth=1
	s_or_b64 exec, exec, s[40:41]
	s_add_i32 s38, s38, 1
	s_cmp_ge_i32 s38, s27
	s_cbranch_scc1 .LBB35_28
.LBB35_7:                               ; =>This Loop Header: Depth=1
                                        ;     Child Loop BB35_9 Depth 2
                                        ;     Child Loop BB35_21 Depth 2
	;; [unrolled: 1-line block ×3, first 2 shown]
	s_ashr_i32 s39, s38, 31
	s_lshl_b64 s[2:3], s[38:39], 2
	s_add_u32 s2, s12, s2
	s_addc_u32 s3, s13, s3
	s_load_dwordx2 s[40:41], s[2:3], 0x0
	v_mov_b64_e32 v[8:9], 0
	v_mov_b64_e32 v[6:7], 0
	s_waitcnt lgkmcnt(0)
	v_add_u32_e32 v10, s40, v16
	s_sub_i32 s23, s41, s28
	v_cmp_gt_i32_e64 s[2:3], s23, v10
	s_and_saveexec_b64 s[40:41], s[2:3]
	s_cbranch_execz .LBB35_11
; %bb.8:                                ;   in Loop: Header=BB35_7 Depth=1
	v_ashrrev_i32_e32 v11, 31, v10
	v_mov_b64_e32 v[8:9], 0
	v_lshl_add_u64 v[12:13], v[10:11], 2, s[14:15]
	v_lshl_add_u64 v[14:15], v[10:11], 4, s[30:31]
	s_mov_b64 s[42:43], 0
	v_mov_b64_e32 v[6:7], v[8:9]
.LBB35_9:                               ;   Parent Loop BB35_7 Depth=1
                                        ; =>  This Inner Loop Header: Depth=2
	global_load_dword v11, v[12:13], off
	global_load_dwordx4 v[18:21], v[14:15], off offset:-8
	v_add_u32_e32 v10, 0x100, v10
	v_cmp_le_i32_e64 s[2:3], s23, v10
	v_lshl_add_u64 v[12:13], v[12:13], 0, s[34:35]
	v_lshl_add_u64 v[14:15], v[14:15], 0, s[36:37]
	s_or_b64 s[42:43], s[2:3], s[42:43]
	s_waitcnt vmcnt(1)
	v_subrev_u32_e32 v22, s28, v11
	v_ashrrev_i32_e32 v23, 31, v22
	v_lshl_add_u64 v[22:23], v[22:23], 4, s[18:19]
	global_load_dwordx4 v[22:25], v[22:23], off
	s_waitcnt vmcnt(1)
	v_xor_b32_e32 v11, 0x80000000, v21
	v_cndmask_b32_e64 v21, v21, v11, s[10:11]
	s_waitcnt vmcnt(0)
	v_fmac_f64_e32 v[6:7], v[18:19], v[22:23]
	v_fmac_f64_e32 v[8:9], v[20:21], v[22:23]
	v_fma_f64 v[6:7], -v[20:21], v[24:25], v[6:7]
	v_fmac_f64_e32 v[8:9], v[18:19], v[24:25]
	s_andn2_b64 exec, exec, s[42:43]
	s_cbranch_execnz .LBB35_9
; %bb.10:                               ;   in Loop: Header=BB35_7 Depth=1
	s_or_b64 exec, exec, s[42:43]
.LBB35_11:                              ;   in Loop: Header=BB35_7 Depth=1
	s_or_b64 exec, exec, s[40:41]
	ds_write_b128 v1, v[6:9]
	s_waitcnt lgkmcnt(0)
	s_barrier
	ds_read_b128 v[6:9], v1 offset:4096
	ds_read_b128 v[10:13], v1 offset:8192
	ds_read_b128 v[18:21], v1 offset:12288
	ds_read_b128 v[22:25], v1
	s_waitcnt lgkmcnt(2)
	v_add_f64 v[6:7], v[10:11], v[6:7]
	v_add_f64 v[8:9], v[12:13], v[8:9]
	s_waitcnt lgkmcnt(1)
	v_add_f64 v[6:7], v[6:7], v[18:19]
	v_add_f64 v[8:9], v[8:9], v[20:21]
	;; [unrolled: 3-line block ×3, first 2 shown]
	ds_write_b128 v1, v[6:9]
	s_waitcnt lgkmcnt(0)
	s_barrier
	s_and_saveexec_b64 s[2:3], vcc
	s_cbranch_execz .LBB35_13
; %bb.12:                               ;   in Loop: Header=BB35_7 Depth=1
	ds_read_b128 v[6:9], v1 offset:1024
	ds_read_b128 v[10:13], v1 offset:2048
	ds_read_b128 v[18:21], v1 offset:3072
	ds_read_b128 v[22:25], v1
	s_waitcnt lgkmcnt(2)
	v_add_f64 v[6:7], v[10:11], v[6:7]
	v_add_f64 v[8:9], v[12:13], v[8:9]
	s_waitcnt lgkmcnt(1)
	v_add_f64 v[6:7], v[6:7], v[18:19]
	v_add_f64 v[8:9], v[8:9], v[20:21]
	s_waitcnt lgkmcnt(0)
	v_add_f64 v[6:7], v[6:7], v[22:23]
	v_add_f64 v[8:9], v[8:9], v[24:25]
	ds_write_b128 v1, v[6:9]
.LBB35_13:                              ;   in Loop: Header=BB35_7 Depth=1
	s_or_b64 exec, exec, s[2:3]
	s_waitcnt lgkmcnt(0)
	s_barrier
	s_and_saveexec_b64 s[2:3], s[4:5]
	s_cbranch_execz .LBB35_15
; %bb.14:                               ;   in Loop: Header=BB35_7 Depth=1
	ds_read_b128 v[6:9], v1 offset:256
	ds_read_b128 v[10:13], v1 offset:512
	ds_read_b128 v[18:21], v1 offset:768
	ds_read_b128 v[22:25], v1
	s_waitcnt lgkmcnt(2)
	v_add_f64 v[6:7], v[10:11], v[6:7]
	v_add_f64 v[8:9], v[12:13], v[8:9]
	s_waitcnt lgkmcnt(1)
	v_add_f64 v[6:7], v[6:7], v[18:19]
	v_add_f64 v[8:9], v[8:9], v[20:21]
	s_waitcnt lgkmcnt(0)
	v_add_f64 v[6:7], v[6:7], v[22:23]
	v_add_f64 v[8:9], v[8:9], v[24:25]
	ds_write_b128 v1, v[6:9]
.LBB35_15:                              ;   in Loop: Header=BB35_7 Depth=1
	s_or_b64 exec, exec, s[2:3]
	s_waitcnt lgkmcnt(0)
	s_barrier
	s_and_saveexec_b64 s[2:3], s[6:7]
	;; [unrolled: 21-line block ×4, first 2 shown]
	s_cbranch_execz .LBB35_6
; %bb.20:                               ;   in Loop: Header=BB35_7 Depth=1
	ds_read_b128 v[6:9], v17
	v_mov_b32_e32 v10, 0
	s_mov_b64 s[2:3], exec
	v_bfrev_b32_e32 v11, 1
	s_waitcnt lgkmcnt(0)
	v_mul_f64 v[12:13], v[8:9], -v[4:5]
	v_fmac_f64_e32 v[12:13], v[2:3], v[6:7]
.LBB35_21:                              ;   Parent Loop BB35_7 Depth=1
                                        ; =>  This Inner Loop Header: Depth=2
	s_ff1_i32_b64 s23, s[2:3]
	s_lshl_b64 s[44:45], 1, s23
	v_readlane_b32 s43, v13, s23
	v_readlane_b32 s42, v12, s23
	s_andn2_b64 s[2:3], s[2:3], s[44:45]
	s_cmp_lg_u64 s[2:3], 0
	v_add_f64 v[10:11], v[10:11], s[42:43]
	s_cbranch_scc1 .LBB35_21
; %bb.22:                               ;   in Loop: Header=BB35_7 Depth=1
	s_lshl_b64 s[2:3], s[38:39], 4
	v_mbcnt_lo_u32_b32 v12, exec_lo, 0
	s_add_u32 s42, s24, s2
	v_mbcnt_hi_u32_b32 v12, exec_hi, v12
	s_addc_u32 s43, s25, s3
	v_cmp_eq_u32_e64 s[2:3], 0, v12
	s_and_saveexec_b64 s[44:45], s[2:3]
	s_xor_b64 s[2:3], exec, s[44:45]
	s_cbranch_execz .LBB35_24
; %bb.23:                               ;   in Loop: Header=BB35_7 Depth=1
	global_atomic_add_f64 v17, v[10:11], s[42:43]
.LBB35_24:                              ;   in Loop: Header=BB35_7 Depth=1
	s_or_b64 exec, exec, s[2:3]
	v_mul_f64 v[8:9], v[2:3], v[8:9]
	v_fmac_f64_e32 v[8:9], v[4:5], v[6:7]
	v_mov_b32_e32 v6, 0
	s_mov_b64 s[2:3], exec
	v_bfrev_b32_e32 v7, 1
.LBB35_25:                              ;   Parent Loop BB35_7 Depth=1
                                        ; =>  This Inner Loop Header: Depth=2
	s_ff1_i32_b64 s23, s[2:3]
	s_lshl_b64 s[46:47], 1, s23
	v_readlane_b32 s45, v9, s23
	v_readlane_b32 s44, v8, s23
	s_andn2_b64 s[2:3], s[2:3], s[46:47]
	s_cmp_lg_u64 s[2:3], 0
	v_add_f64 v[6:7], v[6:7], s[44:45]
	s_cbranch_scc1 .LBB35_25
; %bb.26:                               ;   in Loop: Header=BB35_7 Depth=1
	v_mbcnt_lo_u32_b32 v8, exec_lo, 0
	v_mbcnt_hi_u32_b32 v8, exec_hi, v8
	v_cmp_eq_u32_e64 s[2:3], 0, v8
	s_and_saveexec_b64 s[44:45], s[2:3]
	s_xor_b64 s[44:45], exec, s[44:45]
	s_cbranch_execz .LBB35_6
; %bb.27:                               ;   in Loop: Header=BB35_7 Depth=1
	global_atomic_add_f64 v17, v[6:7], s[42:43] offset:8
	s_branch .LBB35_6
.LBB35_28:
	s_ashr_i32 s3, s26, 31
	s_mov_b32 s2, s26
	s_lshl_b64 s[2:3], s[2:3], 2
	s_add_u32 s2, s12, s2
	s_addc_u32 s3, s13, s3
	s_ashr_i32 s5, s27, 31
	s_mov_b32 s4, s27
	s_lshl_b64 s[4:5], s[4:5], 2
	s_add_u32 s4, s12, s4
	s_addc_u32 s5, s13, s5
	s_load_dword s6, s[4:5], 0x0
	s_load_dword s7, s[2:3], 0x0
	s_waitcnt lgkmcnt(0)
	s_sub_i32 s23, s6, s28
	v_add_u32_e32 v6, s7, v16
	v_cmp_gt_i32_e32 vcc, s23, v6
	s_and_saveexec_b64 s[6:7], vcc
	s_cbranch_execz .LBB35_37
; %bb.29:
	s_add_i32 s29, s27, -1
	s_cmp_lt_i32 s26, s29
	s_cselect_b64 s[2:3], -1, 0
	s_add_i32 s4, s27, -2
	s_cmp_lg_u32 s26, s4
	s_cselect_b64 s[4:5], -1, 0
	s_and_b64 s[2:3], s[2:3], s[4:5]
	v_cndmask_b32_e64 v7, 0, 1, s[2:3]
	s_mov_b64 s[8:9], 0
	v_cmp_ne_u32_e64 s[4:5], 1, v7
	s_branch .LBB35_31
.LBB35_30:                              ;   in Loop: Header=BB35_31 Depth=1
	s_or_b64 exec, exec, s[2:3]
	v_add_u32_e32 v6, 0x100, v6
	v_cmp_le_i32_e32 vcc, s23, v6
	s_or_b64 s[8:9], vcc, s[8:9]
	s_andn2_b64 exec, exec, s[8:9]
	s_cbranch_execz .LBB35_37
.LBB35_31:                              ; =>This Loop Header: Depth=1
                                        ;     Child Loop BB35_33 Depth 2
	s_and_b64 vcc, exec, s[4:5]
	v_mov_b32_e32 v10, s26
	v_mov_b32_e32 v8, s29
	s_cbranch_vccnz .LBB35_35
; %bb.32:                               ;   in Loop: Header=BB35_31 Depth=1
	s_mov_b64 s[30:31], 0
	v_mov_b32_e32 v10, s26
	v_mov_b32_e32 v8, s29
.LBB35_33:                              ;   Parent Loop BB35_31 Depth=1
                                        ; =>  This Inner Loop Header: Depth=2
	v_add_u32_e32 v7, v8, v10
	v_lshrrev_b32_e32 v9, 31, v7
	v_add_u32_e32 v7, v7, v9
	v_ashrrev_i32_e32 v12, 1, v7
	v_ashrrev_i32_e32 v13, 31, v12
	v_lshl_add_u64 v[14:15], v[12:13], 2, s[12:13]
	global_load_dword v7, v[14:15], off
	s_waitcnt vmcnt(0)
	v_subrev_u32_e32 v7, s28, v7
	v_cmp_lt_i32_e32 vcc, v6, v7
	s_nop 1
	v_cndmask_b32_e32 v8, v8, v12, vcc
	v_cndmask_b32_e32 v10, v12, v10, vcc
	v_add_u32_e32 v7, -1, v8
	v_cmp_ge_i32_e32 vcc, v10, v8
	v_cmp_eq_u32_e64 s[2:3], v10, v7
	s_or_b64 s[2:3], vcc, s[2:3]
	s_and_b64 s[2:3], exec, s[2:3]
	s_or_b64 s[30:31], s[2:3], s[30:31]
	s_andn2_b64 exec, exec, s[30:31]
	s_cbranch_execnz .LBB35_33
; %bb.34:                               ;   in Loop: Header=BB35_31 Depth=1
	s_or_b64 exec, exec, s[30:31]
.LBB35_35:                              ;   in Loop: Header=BB35_31 Depth=1
	v_ashrrev_i32_e32 v9, 31, v8
	v_lshl_add_u64 v[12:13], v[8:9], 2, s[12:13]
	global_load_dword v9, v[12:13], off
	v_ashrrev_i32_e32 v7, 31, v6
	v_lshl_add_u64 v[12:13], v[6:7], 2, s[14:15]
	global_load_dword v11, v[12:13], off
	s_waitcnt vmcnt(1)
	v_subrev_u32_e32 v9, s28, v9
	v_cmp_lt_i32_e32 vcc, v6, v9
	s_nop 1
	v_cndmask_b32_e32 v10, v8, v10, vcc
	s_waitcnt vmcnt(0)
	v_subrev_u32_e32 v8, s28, v11
	v_cmp_ne_u32_e32 vcc, v8, v10
	s_and_saveexec_b64 s[2:3], vcc
	s_cbranch_execz .LBB35_30
; %bb.36:                               ;   in Loop: Header=BB35_31 Depth=1
	v_lshl_add_u64 v[12:13], v[6:7], 4, s[16:17]
	global_load_dwordx4 v[12:15], v[12:13], off
	v_ashrrev_i32_e32 v11, 31, v10
	v_lshl_add_u64 v[10:11], v[10:11], 4, s[18:19]
	global_load_dwordx4 v[18:21], v[10:11], off
	v_ashrrev_i32_e32 v9, 31, v8
	v_lshl_add_u64 v[8:9], v[8:9], 4, s[24:25]
	s_waitcnt vmcnt(1)
	v_xor_b32_e32 v7, 0x80000000, v15
	v_cndmask_b32_e64 v15, v15, v7, s[10:11]
	v_mul_f64 v[10:11], v[14:15], -v[4:5]
	v_mul_f64 v[14:15], v[2:3], v[14:15]
	v_fmac_f64_e32 v[14:15], v[4:5], v[12:13]
	v_fmac_f64_e32 v[10:11], v[2:3], v[12:13]
	s_waitcnt vmcnt(0)
	v_mul_f64 v[12:13], v[20:21], -v[14:15]
	v_mul_f64 v[20:21], v[20:21], v[10:11]
	v_fmac_f64_e32 v[12:13], v[10:11], v[18:19]
	v_fmac_f64_e32 v[20:21], v[14:15], v[18:19]
	global_atomic_add_f64 v[8:9], v[12:13], off
	global_atomic_add_f64 v[8:9], v[20:21], off offset:8
	s_branch .LBB35_30
.LBB35_37:
	s_or_b64 exec, exec, s[6:7]
	s_mov_b64 s[2:3], 0
.LBB35_38:
	s_and_b64 vcc, exec, s[2:3]
	s_cbranch_vccz .LBB35_145
; %bb.39:
	v_cvt_f32_u32_e32 v6, s20
	s_ashr_i32 s3, s26, 31
	s_mov_b32 s2, s26
	s_sub_i32 s6, 0, s20
	v_rcp_iflag_f32_e32 v6, v6
	s_lshl_b64 s[2:3], s[2:3], 2
	s_add_u32 s4, s12, s2
	s_addc_u32 s5, s13, s3
	s_load_dword s23, s[4:5], 0x0
	v_mul_f32_e32 v6, 0x4f7ffffe, v6
	v_cvt_u32_f32_e32 v7, v6
	s_load_dword s29, s[0:1], 0x74
	s_waitcnt lgkmcnt(0)
	v_add_u32_e32 v6, s23, v16
	v_readfirstlane_b32 s30, v7
	s_mul_i32 s6, s6, s30
	v_add_u32_e32 v16, 0x300, v6
	s_mul_hi_u32 s31, s30, s6
	v_cmp_le_i32_e64 s[0:1], s21, v16
	s_and_saveexec_b64 s[2:3], s[0:1]
	s_xor_b64 s[2:3], exec, s[2:3]
	s_cbranch_execz .LBB35_44
; %bb.40:
	s_ashr_i32 s7, s27, 31
	s_mov_b32 s6, s27
	s_lshl_b64 s[6:7], s[6:7], 2
	s_add_u32 s6, s12, s6
	s_addc_u32 s7, s13, s7
	s_load_dword s6, s[6:7], 0x0
	s_waitcnt lgkmcnt(0)
	s_sub_i32 s21, s6, s23
	v_cmp_gt_i32_e32 vcc, s21, v0
	s_and_saveexec_b64 s[6:7], vcc
	s_cbranch_execz .LBB35_43
; %bb.41:
	s_sub_i32 s33, s23, s28
	s_mov_b64 s[8:9], 0
	v_mov_b32_e32 v7, v1
	v_mov_b32_e32 v8, v0
.LBB35_42:                              ; =>This Inner Loop Header: Depth=1
	v_add_u32_e32 v10, s33, v8
	v_ashrrev_i32_e32 v11, 31, v10
	v_lshl_add_u64 v[10:11], v[10:11], 4, s[16:17]
	global_load_dwordx4 v[10:13], v[10:11], off
	v_add_u32_e32 v8, 0x100, v8
	v_cmp_le_i32_e32 vcc, s21, v8
	s_or_b64 s[8:9], vcc, s[8:9]
	s_waitcnt vmcnt(0)
	v_xor_b32_e32 v9, 0x80000000, v13
	v_cndmask_b32_e64 v13, v13, v9, s[10:11]
	v_mul_f64 v[18:19], v[12:13], -v[4:5]
	v_mul_f64 v[20:21], v[2:3], v[12:13]
	v_fmac_f64_e32 v[18:19], v[2:3], v[10:11]
	v_fmac_f64_e32 v[20:21], v[4:5], v[10:11]
	ds_write_b128 v7, v[18:21]
	v_add_u32_e32 v7, 0x1000, v7
	s_andn2_b64 exec, exec, s[8:9]
	s_cbranch_execnz .LBB35_42
.LBB35_43:
	s_or_b64 exec, exec, s[6:7]
                                        ; implicit-def: $vgpr4_vgpr5
.LBB35_44:
	s_or_saveexec_b64 s[6:7], s[2:3]
	s_and_b32 s21, s29, 0xffff
	s_add_i32 s8, s30, s31
	v_ashrrev_i32_e32 v7, 31, v6
	s_xor_b64 exec, exec, s[6:7]
	s_cbranch_execz .LBB35_46
; %bb.45:
	v_lshl_add_u64 v[22:23], v[6:7], 4, s[16:17]
	s_movk_i32 s2, 0x3000
	global_load_dwordx4 v[8:11], v[22:23], off
	v_add_co_u32_e32 v24, vcc, 0x1000, v22
	v_add_co_u32_e64 v26, s[2:3], s2, v22
	s_nop 0
	v_addc_co_u32_e32 v25, vcc, 0, v23, vcc
	v_addc_co_u32_e64 v27, s[2:3], 0, v23, s[2:3]
	global_load_dwordx4 v[12:15], v[26:27], off offset:-4096
	global_load_dwordx4 v[18:21], v[26:27], off
	s_waitcnt vmcnt(2)
	v_xor_b32_e32 v17, 0x80000000, v11
	global_load_dwordx4 v[22:25], v[24:25], off
	v_cndmask_b32_e64 v11, v11, v17, s[10:11]
	v_mul_f64 v[26:27], v[10:11], -v[4:5]
	v_mul_f64 v[28:29], v[2:3], v[10:11]
	v_fmac_f64_e32 v[26:27], v[2:3], v[8:9]
	v_fmac_f64_e32 v[28:29], v[4:5], v[8:9]
	ds_write_b128 v1, v[26:29]
	s_waitcnt vmcnt(2)
	v_xor_b32_e32 v17, 0x80000000, v15
	s_waitcnt vmcnt(1)
	v_xor_b32_e32 v30, 0x80000000, v21
	v_cndmask_b32_e64 v15, v15, v17, s[10:11]
	v_cndmask_b32_e64 v21, v21, v30, s[10:11]
	v_mul_f64 v[8:9], v[14:15], -v[4:5]
	v_mul_f64 v[30:31], v[20:21], -v[4:5]
	v_mul_f64 v[32:33], v[2:3], v[20:21]
	v_fmac_f64_e32 v[8:9], v[2:3], v[12:13]
	v_fmac_f64_e32 v[30:31], v[2:3], v[18:19]
	;; [unrolled: 1-line block ×3, first 2 shown]
	s_waitcnt vmcnt(0)
	v_xor_b32_e32 v10, 0x80000000, v25
	v_cndmask_b32_e64 v25, v25, v10, s[10:11]
	v_mul_f64 v[10:11], v[2:3], v[14:15]
	v_mul_f64 v[26:27], v[24:25], -v[4:5]
	v_mul_f64 v[28:29], v[2:3], v[24:25]
	v_fmac_f64_e32 v[10:11], v[4:5], v[12:13]
	v_fmac_f64_e32 v[26:27], v[2:3], v[22:23]
	;; [unrolled: 1-line block ×3, first 2 shown]
	ds_write_b128 v1, v[8:11] offset:8192
	ds_write_b128 v1, v[26:29] offset:4096
	;; [unrolled: 1-line block ×3, first 2 shown]
.LBB35_46:
	s_or_b64 exec, exec, s[6:7]
	s_mul_hi_u32 s29, s21, s8
	v_cmp_gt_i32_e32 vcc, s22, v0
	s_and_saveexec_b64 s[2:3], vcc
	s_cbranch_execz .LBB35_49
; %bb.47:
	s_mov_b32 s8, 0
	v_mov_b32_e32 v2, 0x4000
	s_mov_b32 s9, s8
	s_mov_b32 s10, s8
	;; [unrolled: 1-line block ×3, first 2 shown]
	v_lshl_add_u32 v8, v0, 4, v2
	s_mov_b64 s[6:7], 0
	v_mov_b64_e32 v[2:3], s[8:9]
	v_mov_b64_e32 v[4:5], s[10:11]
	v_mov_b32_e32 v9, v0
.LBB35_48:                              ; =>This Inner Loop Header: Depth=1
	v_add_u32_e32 v9, 0x100, v9
	v_cmp_le_i32_e32 vcc, s22, v9
	ds_write2_b64 v8, v[2:3], v[4:5] offset1:1
	s_or_b64 s[6:7], vcc, s[6:7]
	v_add_u32_e32 v8, 0x1000, v8
	s_andn2_b64 exec, exec, s[6:7]
	s_cbranch_execnz .LBB35_48
.LBB35_49:
	s_or_b64 exec, exec, s[2:3]
	s_sub_i32 s2, s27, s22
	s_cmp_ge_i32 s27, s22
	s_cselect_b32 s30, s2, 0
	s_waitcnt lgkmcnt(0)
	s_barrier
	s_and_saveexec_b64 s[2:3], s[0:1]
	s_xor_b64 s[6:7], exec, s[2:3]
	s_cbranch_execz .LBB35_66
; %bb.50:
	s_ashr_i32 s1, s27, 31
	s_mov_b32 s0, s27
	s_lshl_b64 s[0:1], s[0:1], 2
	s_add_u32 s0, s12, s0
	s_addc_u32 s1, s13, s1
	s_load_dword s0, s[0:1], 0x0
	s_waitcnt lgkmcnt(0)
	s_sub_i32 s31, s0, s23
	v_cmp_gt_i32_e32 vcc, s31, v0
	s_and_saveexec_b64 s[8:9], vcc
	s_cbranch_execz .LBB35_65
; %bb.51:
	s_add_i32 s33, s27, -1
	s_add_i32 s1, s27, -2
	s_cmp_lg_u32 s26, s1
	s_cselect_b64 s[2:3], -1, 0
	v_cndmask_b32_e64 v2, 0, 1, s[2:3]
	s_sub_i32 s34, s0, s28
	s_mov_b32 s35, 0
	s_mov_b64 s[10:11], 0
	v_cmp_ne_u32_e64 s[0:1], 1, v2
	v_mov_b32_e32 v7, 0x4000
	s_branch .LBB35_54
.LBB35_52:                              ;   in Loop: Header=BB35_54 Depth=1
	s_or_b64 exec, exec, s[2:3]
	v_xor_b32_e32 v11, 0x80000000, v5
	v_mov_b32_e32 v10, v4
.LBB35_53:                              ;   in Loop: Header=BB35_54 Depth=1
	s_or_b64 exec, exec, s[16:17]
	v_ashrrev_i32_e32 v9, 31, v8
	v_lshl_add_u64 v[8:9], v[8:9], 4, s[18:19]
	global_load_dwordx4 v[16:19], v[8:9], off
	s_addk_i32 s35, 0x100
	v_add_u32_e32 v8, s35, v0
	v_cmp_le_i32_e32 vcc, s31, v8
	s_or_b64 s[10:11], vcc, s[10:11]
	s_waitcnt vmcnt(0)
	v_mul_f64 v[8:9], v[18:19], v[10:11]
	v_mul_f64 v[10:11], v[18:19], v[2:3]
	v_fmac_f64_e32 v[8:9], v[2:3], v[16:17]
	v_fmac_f64_e32 v[10:11], v[4:5], v[16:17]
	ds_write_b128 v14, v[8:11]
	s_andn2_b64 exec, exec, s[10:11]
	s_cbranch_execz .LBB35_65
.LBB35_54:                              ; =>This Loop Header: Depth=1
                                        ;     Child Loop BB35_56 Depth 2
	v_add_u32_e32 v2, s35, v6
	s_and_b64 vcc, exec, s[0:1]
	v_mov_b32_e32 v9, s26
	v_mov_b32_e32 v4, s33
	s_cbranch_vccnz .LBB35_58
; %bb.55:                               ;   in Loop: Header=BB35_54 Depth=1
	s_mov_b64 s[16:17], 0
	v_mov_b32_e32 v9, s26
	v_mov_b32_e32 v4, s33
.LBB35_56:                              ;   Parent Loop BB35_54 Depth=1
                                        ; =>  This Inner Loop Header: Depth=2
	v_add_u32_e32 v3, v4, v9
	v_lshrrev_b32_e32 v5, 31, v3
	v_add_u32_e32 v3, v3, v5
	v_ashrrev_i32_e32 v10, 1, v3
	v_ashrrev_i32_e32 v11, 31, v10
	v_lshl_add_u64 v[12:13], v[10:11], 2, s[12:13]
	global_load_dword v3, v[12:13], off
	s_waitcnt vmcnt(0)
	v_subrev_u32_e32 v3, s28, v3
	v_cmp_lt_i32_e32 vcc, v2, v3
	s_nop 1
	v_cndmask_b32_e32 v4, v4, v10, vcc
	v_cndmask_b32_e32 v9, v10, v9, vcc
	v_add_u32_e32 v3, -1, v4
	v_cmp_ge_i32_e32 vcc, v9, v4
	v_cmp_eq_u32_e64 s[2:3], v9, v3
	s_or_b64 s[2:3], vcc, s[2:3]
	s_and_b64 s[2:3], exec, s[2:3]
	s_or_b64 s[16:17], s[2:3], s[16:17]
	s_andn2_b64 exec, exec, s[16:17]
	s_cbranch_execnz .LBB35_56
; %bb.57:                               ;   in Loop: Header=BB35_54 Depth=1
	s_or_b64 exec, exec, s[16:17]
.LBB35_58:                              ;   in Loop: Header=BB35_54 Depth=1
	v_ashrrev_i32_e32 v5, 31, v4
	v_lshl_add_u64 v[10:11], v[4:5], 2, s[12:13]
	global_load_dword v5, v[10:11], off
	v_ashrrev_i32_e32 v3, 31, v2
	v_lshl_add_u64 v[10:11], v[2:3], 2, s[14:15]
	global_load_dword v3, v[10:11], off
	v_cmp_le_i32_e32 vcc, s34, v2
	v_lshl_add_u32 v14, s35, 4, v1
                                        ; implicit-def: $vgpr10_vgpr11
	s_waitcnt vmcnt(1)
	v_subrev_u32_e32 v5, s28, v5
	v_cmp_lt_i32_e64 s[2:3], v2, v5
	s_waitcnt vmcnt(0)
	v_subrev_u32_e32 v8, s28, v3
	v_cndmask_b32_e64 v12, v4, v9, s[2:3]
	v_cmp_eq_u32_e64 s[2:3], v8, v12
	s_or_b64 s[2:3], s[2:3], vcc
                                        ; implicit-def: $vgpr2_vgpr3
	s_and_saveexec_b64 s[16:17], s[2:3]
	s_xor_b64 s[2:3], exec, s[16:17]
	s_cbranch_execz .LBB35_60
; %bb.59:                               ;   in Loop: Header=BB35_54 Depth=1
	ds_read_b128 v[2:5], v14
                                        ; implicit-def: $vgpr12
	s_waitcnt lgkmcnt(0)
	v_xor_b32_e32 v11, 0x80000000, v5
	v_mov_b32_e32 v10, v4
.LBB35_60:                              ;   in Loop: Header=BB35_54 Depth=1
	s_andn2_saveexec_b64 s[16:17], s[2:3]
	s_cbranch_execz .LBB35_53
; %bb.61:                               ;   in Loop: Header=BB35_54 Depth=1
	v_ashrrev_i32_e32 v13, 31, v12
	v_lshl_add_u64 v[2:3], v[12:13], 4, s[18:19]
	global_load_dwordx4 v[16:19], v[2:3], off
	ds_read_b128 v[2:5], v14
	v_cmp_gt_i32_e32 vcc, s30, v8
	v_cmp_le_i32_e64 s[2:3], s27, v8
	s_or_b64 s[2:3], vcc, s[2:3]
	s_waitcnt vmcnt(0) lgkmcnt(0)
	v_mul_f64 v[10:11], v[18:19], -v[4:5]
	v_mul_f64 v[12:13], v[18:19], v[2:3]
	v_fmac_f64_e32 v[10:11], v[2:3], v[16:17]
	v_fmac_f64_e32 v[12:13], v[4:5], v[16:17]
	s_and_saveexec_b64 s[36:37], s[2:3]
	s_xor_b64 s[2:3], exec, s[36:37]
	s_cbranch_execz .LBB35_63
; %bb.62:                               ;   in Loop: Header=BB35_54 Depth=1
	v_ashrrev_i32_e32 v9, 31, v8
	v_lshl_add_u64 v[16:17], v[8:9], 4, s[24:25]
	global_atomic_add_f64 v[16:17], v[10:11], off
	global_atomic_add_f64 v[16:17], v[12:13], off offset:8
                                        ; implicit-def: $vgpr10_vgpr11
                                        ; implicit-def: $vgpr12_vgpr13
.LBB35_63:                              ;   in Loop: Header=BB35_54 Depth=1
	s_andn2_saveexec_b64 s[2:3], s[2:3]
	s_cbranch_execz .LBB35_52
; %bb.64:                               ;   in Loop: Header=BB35_54 Depth=1
	v_subrev_u32_e32 v9, s30, v8
	v_lshl_add_u32 v9, v9, 4, v7
	ds_add_f64 v9, v[10:11]
	ds_add_f64 v9, v[12:13] offset:8
	s_branch .LBB35_52
.LBB35_65:
	s_or_b64 exec, exec, s[8:9]
                                        ; implicit-def: $vgpr16
                                        ; implicit-def: $vgpr6
.LBB35_66:
	s_andn2_saveexec_b64 s[6:7], s[6:7]
	s_cbranch_execz .LBB35_120
; %bb.67:
	s_add_i32 s16, s27, -1
	s_add_i32 s0, s27, -2
	s_cmp_lg_u32 s26, s0
	s_cselect_b64 s[2:3], -1, 0
	s_cmp_eq_u32 s26, s0
	v_mov_b32_e32 v4, s26
	v_mov_b32_e32 v2, s16
	s_cbranch_scc1 .LBB35_71
; %bb.68:
	s_mov_b64 s[8:9], 0
	v_mov_b32_e32 v4, s26
	v_mov_b32_e32 v2, s16
.LBB35_69:                              ; =>This Inner Loop Header: Depth=1
	v_add_u32_e32 v3, v2, v4
	v_lshrrev_b32_e32 v5, 31, v3
	v_add_u32_e32 v3, v3, v5
	v_ashrrev_i32_e32 v8, 1, v3
	v_ashrrev_i32_e32 v9, 31, v8
	v_lshl_add_u64 v[10:11], v[8:9], 2, s[12:13]
	global_load_dword v3, v[10:11], off
	s_waitcnt vmcnt(0)
	v_subrev_u32_e32 v3, s28, v3
	v_cmp_lt_i32_e32 vcc, v6, v3
	s_nop 1
	v_cndmask_b32_e32 v2, v2, v8, vcc
	v_cndmask_b32_e32 v4, v8, v4, vcc
	v_add_u32_e32 v3, -1, v2
	v_cmp_ge_i32_e32 vcc, v4, v2
	v_cmp_eq_u32_e64 s[0:1], v4, v3
	s_or_b64 s[0:1], vcc, s[0:1]
	s_and_b64 s[0:1], exec, s[0:1]
	s_or_b64 s[8:9], s[0:1], s[8:9]
	s_andn2_b64 exec, exec, s[8:9]
	s_cbranch_execnz .LBB35_69
; %bb.70:
	s_or_b64 exec, exec, s[8:9]
.LBB35_71:
	v_ashrrev_i32_e32 v3, 31, v2
	v_lshl_add_u64 v[8:9], v[2:3], 2, s[12:13]
	global_load_dword v3, v[8:9], off
	v_lshl_add_u64 v[8:9], v[6:7], 2, s[14:15]
	global_load_dword v5, v[8:9], off
	s_ashr_i32 s1, s27, 31
	s_mov_b32 s0, s27
	s_lshl_b64 s[0:1], s[0:1], 2
	s_add_u32 s8, s12, s0
	s_addc_u32 s9, s13, s1
	s_waitcnt vmcnt(1)
	v_subrev_u32_e32 v3, s28, v3
	v_cmp_lt_i32_e32 vcc, v6, v3
	s_waitcnt vmcnt(0)
	v_subrev_u32_e32 v10, s28, v5
	v_cndmask_b32_e32 v12, v2, v4, vcc
	v_cmp_ne_u32_e32 vcc, v10, v12
                                        ; implicit-def: $vgpr2_vgpr3
	s_and_saveexec_b64 s[0:1], vcc
	s_xor_b64 s[10:11], exec, s[0:1]
	s_cbranch_execz .LBB35_78
; %bb.72:
	s_load_dword s0, s[8:9], 0x0
	ds_read_b128 v[2:5], v1
	s_waitcnt lgkmcnt(0)
	s_sub_i32 s0, s0, s28
	v_cmp_gt_i32_e32 vcc, s0, v6
	s_and_saveexec_b64 s[14:15], vcc
	s_cbranch_execz .LBB35_77
; %bb.73:
	v_ashrrev_i32_e32 v13, 31, v12
	v_lshl_add_u64 v[12:13], v[12:13], 4, s[18:19]
	global_load_dwordx4 v[18:21], v[12:13], off
	v_cmp_gt_i32_e32 vcc, s30, v10
	v_cmp_le_i32_e64 s[0:1], s27, v10
	s_or_b64 s[0:1], vcc, s[0:1]
	s_waitcnt vmcnt(0)
	v_mul_f64 v[12:13], v[20:21], -v[4:5]
	v_mul_f64 v[14:15], v[20:21], v[2:3]
	v_fmac_f64_e32 v[12:13], v[2:3], v[18:19]
	v_fmac_f64_e32 v[14:15], v[4:5], v[18:19]
	s_and_saveexec_b64 s[34:35], s[0:1]
	s_xor_b64 s[0:1], exec, s[34:35]
	s_cbranch_execz .LBB35_75
; %bb.74:
	v_ashrrev_i32_e32 v11, 31, v10
	v_lshl_add_u64 v[18:19], v[10:11], 4, s[24:25]
	global_atomic_add_f64 v[18:19], v[12:13], off
	global_atomic_add_f64 v[18:19], v[14:15], off offset:8
                                        ; implicit-def: $vgpr12_vgpr13
                                        ; implicit-def: $vgpr14_vgpr15
.LBB35_75:
	s_andn2_saveexec_b64 s[0:1], s[0:1]
	s_cbranch_execz .LBB35_77
; %bb.76:
	v_subrev_u32_e32 v7, s30, v10
	v_mov_b32_e32 v11, 0x4000
	v_lshl_add_u32 v7, v7, 4, v11
	ds_add_f64 v7, v[12:13]
	ds_add_f64 v7, v[14:15] offset:8
.LBB35_77:
	s_or_b64 exec, exec, s[14:15]
.LBB35_78:
	s_andn2_saveexec_b64 s[0:1], s[10:11]
; %bb.79:
	ds_read_b128 v[2:5], v1
; %bb.80:
	s_or_b64 exec, exec, s[0:1]
	v_ashrrev_i32_e32 v11, 31, v10
	v_lshl_add_u64 v[10:11], v[10:11], 4, s[18:19]
	global_load_dwordx4 v[12:15], v[10:11], off
	v_cndmask_b32_e64 v11, 0, 1, s[2:3]
	v_add_u32_e32 v7, 0x100, v6
	v_mov_b32_e32 v10, s26
	v_cmp_ne_u32_e64 s[0:1], 1, v11
	s_andn2_b64 vcc, exec, s[2:3]
	s_waitcnt vmcnt(0) lgkmcnt(0)
	v_mul_f64 v[18:19], v[14:15], -v[4:5]
	v_mul_f64 v[20:21], v[14:15], v[2:3]
	v_fmac_f64_e32 v[18:19], v[2:3], v[12:13]
	v_fmac_f64_e32 v[20:21], v[4:5], v[12:13]
	v_mov_b32_e32 v2, s16
	ds_write_b128 v1, v[18:21]
	s_cbranch_vccnz .LBB35_84
; %bb.81:
	s_mov_b64 s[10:11], 0
	v_mov_b32_e32 v10, s26
	v_mov_b32_e32 v2, s16
.LBB35_82:                              ; =>This Inner Loop Header: Depth=1
	v_add_u32_e32 v3, v2, v10
	v_lshrrev_b32_e32 v4, 31, v3
	v_add_u32_e32 v3, v3, v4
	v_ashrrev_i32_e32 v4, 1, v3
	v_ashrrev_i32_e32 v5, 31, v4
	v_lshl_add_u64 v[12:13], v[4:5], 2, s[12:13]
	global_load_dword v3, v[12:13], off
	s_waitcnt vmcnt(0)
	v_subrev_u32_e32 v3, s28, v3
	v_cmp_lt_i32_e32 vcc, v7, v3
	s_nop 1
	v_cndmask_b32_e32 v2, v2, v4, vcc
	v_cndmask_b32_e32 v10, v4, v10, vcc
	v_add_u32_e32 v3, -1, v2
	v_cmp_ge_i32_e32 vcc, v10, v2
	v_cmp_eq_u32_e64 s[2:3], v10, v3
	s_or_b64 s[2:3], vcc, s[2:3]
	s_and_b64 s[2:3], exec, s[2:3]
	s_or_b64 s[10:11], s[2:3], s[10:11]
	s_andn2_b64 exec, exec, s[10:11]
	s_cbranch_execnz .LBB35_82
; %bb.83:
	s_or_b64 exec, exec, s[10:11]
.LBB35_84:
	v_ashrrev_i32_e32 v3, 31, v2
	v_lshl_add_u64 v[4:5], v[2:3], 2, s[12:13]
	global_load_dword v3, v[4:5], off
	global_load_dword v11, v[8:9], off offset:1024
	s_waitcnt vmcnt(1)
	v_subrev_u32_e32 v3, s28, v3
	v_cmp_lt_i32_e32 vcc, v7, v3
	s_nop 1
	v_cndmask_b32_e32 v12, v2, v10, vcc
	s_waitcnt vmcnt(0)
	v_subrev_u32_e32 v10, s28, v11
	v_cmp_ne_u32_e32 vcc, v10, v12
                                        ; implicit-def: $vgpr2_vgpr3
	s_and_saveexec_b64 s[2:3], vcc
	s_xor_b64 s[10:11], exec, s[2:3]
	s_cbranch_execz .LBB35_91
; %bb.85:
	s_load_dword s2, s[8:9], 0x0
	ds_read_b128 v[2:5], v1 offset:4096
	s_waitcnt lgkmcnt(0)
	s_sub_i32 s2, s2, s28
	v_cmp_gt_i32_e32 vcc, s2, v7
	s_and_saveexec_b64 s[14:15], vcc
	s_cbranch_execz .LBB35_90
; %bb.86:
	v_ashrrev_i32_e32 v13, 31, v12
	v_lshl_add_u64 v[12:13], v[12:13], 4, s[18:19]
	global_load_dwordx4 v[18:21], v[12:13], off
	v_cmp_gt_i32_e32 vcc, s30, v10
	v_cmp_le_i32_e64 s[2:3], s27, v10
	s_or_b64 s[2:3], vcc, s[2:3]
	s_waitcnt vmcnt(0)
	v_mul_f64 v[12:13], v[20:21], -v[4:5]
	v_mul_f64 v[14:15], v[20:21], v[2:3]
	v_fmac_f64_e32 v[12:13], v[2:3], v[18:19]
	v_fmac_f64_e32 v[14:15], v[4:5], v[18:19]
	s_and_saveexec_b64 s[34:35], s[2:3]
	s_xor_b64 s[2:3], exec, s[34:35]
	s_cbranch_execz .LBB35_88
; %bb.87:
	v_ashrrev_i32_e32 v11, 31, v10
	v_lshl_add_u64 v[18:19], v[10:11], 4, s[24:25]
	global_atomic_add_f64 v[18:19], v[12:13], off
	global_atomic_add_f64 v[18:19], v[14:15], off offset:8
                                        ; implicit-def: $vgpr12_vgpr13
                                        ; implicit-def: $vgpr14_vgpr15
.LBB35_88:
	s_andn2_saveexec_b64 s[2:3], s[2:3]
	s_cbranch_execz .LBB35_90
; %bb.89:
	v_subrev_u32_e32 v7, s30, v10
	v_mov_b32_e32 v11, 0x4000
	v_lshl_add_u32 v7, v7, 4, v11
	ds_add_f64 v7, v[12:13]
	ds_add_f64 v7, v[14:15] offset:8
.LBB35_90:
	s_or_b64 exec, exec, s[14:15]
.LBB35_91:
	s_andn2_saveexec_b64 s[2:3], s[10:11]
; %bb.92:
	ds_read_b128 v[2:5], v1 offset:4096
; %bb.93:
	s_or_b64 exec, exec, s[2:3]
	v_ashrrev_i32_e32 v11, 31, v10
	v_lshl_add_u64 v[10:11], v[10:11], 4, s[18:19]
	global_load_dwordx4 v[10:13], v[10:11], off
	v_add_u32_e32 v7, 0x200, v6
	s_and_b64 vcc, exec, s[0:1]
	v_mov_b32_e32 v6, s26
	s_waitcnt vmcnt(0) lgkmcnt(0)
	v_mul_f64 v[18:19], v[12:13], -v[4:5]
	v_mul_f64 v[20:21], v[12:13], v[2:3]
	v_fmac_f64_e32 v[18:19], v[2:3], v[10:11]
	v_fmac_f64_e32 v[20:21], v[4:5], v[10:11]
	v_mov_b32_e32 v2, s16
	ds_write_b128 v1, v[18:21] offset:4096
	s_cbranch_vccnz .LBB35_97
; %bb.94:
	s_mov_b64 s[10:11], 0
	v_mov_b32_e32 v6, s26
	v_mov_b32_e32 v2, s16
.LBB35_95:                              ; =>This Inner Loop Header: Depth=1
	v_add_u32_e32 v3, v2, v6
	v_lshrrev_b32_e32 v4, 31, v3
	v_add_u32_e32 v3, v3, v4
	v_ashrrev_i32_e32 v4, 1, v3
	v_ashrrev_i32_e32 v5, 31, v4
	v_lshl_add_u64 v[10:11], v[4:5], 2, s[12:13]
	global_load_dword v3, v[10:11], off
	s_waitcnt vmcnt(0)
	v_subrev_u32_e32 v3, s28, v3
	v_cmp_lt_i32_e32 vcc, v7, v3
	s_nop 1
	v_cndmask_b32_e32 v2, v2, v4, vcc
	v_cndmask_b32_e32 v6, v4, v6, vcc
	v_add_u32_e32 v3, -1, v2
	v_cmp_ge_i32_e32 vcc, v6, v2
	v_cmp_eq_u32_e64 s[2:3], v6, v3
	s_or_b64 s[2:3], vcc, s[2:3]
	s_and_b64 s[2:3], exec, s[2:3]
	s_or_b64 s[10:11], s[2:3], s[10:11]
	s_andn2_b64 exec, exec, s[10:11]
	s_cbranch_execnz .LBB35_95
; %bb.96:
	s_or_b64 exec, exec, s[10:11]
.LBB35_97:
	v_ashrrev_i32_e32 v3, 31, v2
	v_lshl_add_u64 v[4:5], v[2:3], 2, s[12:13]
	global_load_dword v3, v[4:5], off
	global_load_dword v11, v[8:9], off offset:2048
	s_waitcnt vmcnt(1)
	v_subrev_u32_e32 v3, s28, v3
	v_cmp_lt_i32_e32 vcc, v7, v3
	s_nop 1
	v_cndmask_b32_e32 v10, v2, v6, vcc
	s_waitcnt vmcnt(0)
	v_subrev_u32_e32 v6, s28, v11
	v_cmp_ne_u32_e32 vcc, v6, v10
                                        ; implicit-def: $vgpr2_vgpr3
	s_and_saveexec_b64 s[2:3], vcc
	s_xor_b64 s[10:11], exec, s[2:3]
	s_cbranch_execz .LBB35_104
; %bb.98:
	s_load_dword s2, s[8:9], 0x0
	ds_read_b128 v[2:5], v1 offset:8192
	s_waitcnt lgkmcnt(0)
	s_sub_i32 s2, s2, s28
	v_cmp_gt_i32_e32 vcc, s2, v7
	s_and_saveexec_b64 s[14:15], vcc
	s_cbranch_execz .LBB35_103
; %bb.99:
	v_ashrrev_i32_e32 v11, 31, v10
	v_lshl_add_u64 v[10:11], v[10:11], 4, s[18:19]
	global_load_dwordx4 v[18:21], v[10:11], off
	v_cmp_gt_i32_e32 vcc, s30, v6
	v_cmp_le_i32_e64 s[2:3], s27, v6
	s_or_b64 s[2:3], vcc, s[2:3]
	s_waitcnt vmcnt(0)
	v_mul_f64 v[10:11], v[20:21], -v[4:5]
	v_mul_f64 v[12:13], v[20:21], v[2:3]
	v_fmac_f64_e32 v[10:11], v[2:3], v[18:19]
	v_fmac_f64_e32 v[12:13], v[4:5], v[18:19]
	s_and_saveexec_b64 s[34:35], s[2:3]
	s_xor_b64 s[2:3], exec, s[34:35]
	s_cbranch_execz .LBB35_101
; %bb.100:
	v_ashrrev_i32_e32 v7, 31, v6
	v_lshl_add_u64 v[14:15], v[6:7], 4, s[24:25]
	global_atomic_add_f64 v[14:15], v[10:11], off
	global_atomic_add_f64 v[14:15], v[12:13], off offset:8
                                        ; implicit-def: $vgpr10_vgpr11
                                        ; implicit-def: $vgpr12_vgpr13
.LBB35_101:
	s_andn2_saveexec_b64 s[2:3], s[2:3]
	s_cbranch_execz .LBB35_103
; %bb.102:
	v_subrev_u32_e32 v7, s30, v6
	v_mov_b32_e32 v14, 0x4000
	v_lshl_add_u32 v7, v7, 4, v14
	ds_add_f64 v7, v[10:11]
	ds_add_f64 v7, v[12:13] offset:8
.LBB35_103:
	s_or_b64 exec, exec, s[14:15]
.LBB35_104:
	s_andn2_saveexec_b64 s[2:3], s[10:11]
; %bb.105:
	ds_read_b128 v[2:5], v1 offset:8192
; %bb.106:
	s_or_b64 exec, exec, s[2:3]
	v_ashrrev_i32_e32 v7, 31, v6
	v_lshl_add_u64 v[6:7], v[6:7], 4, s[18:19]
	global_load_dwordx4 v[10:13], v[6:7], off
	s_and_b64 vcc, exec, s[0:1]
	v_mov_b32_e32 v6, s26
	s_waitcnt vmcnt(0) lgkmcnt(0)
	v_mul_f64 v[18:19], v[12:13], -v[4:5]
	v_mul_f64 v[20:21], v[12:13], v[2:3]
	v_fmac_f64_e32 v[18:19], v[2:3], v[10:11]
	v_fmac_f64_e32 v[20:21], v[4:5], v[10:11]
	v_mov_b32_e32 v2, s16
	ds_write_b128 v1, v[18:21] offset:8192
	s_cbranch_vccnz .LBB35_110
; %bb.107:
	s_mov_b64 s[2:3], 0
	v_mov_b32_e32 v6, s26
	v_mov_b32_e32 v2, s16
.LBB35_108:                             ; =>This Inner Loop Header: Depth=1
	v_add_u32_e32 v3, v2, v6
	v_lshrrev_b32_e32 v4, 31, v3
	v_add_u32_e32 v3, v3, v4
	v_ashrrev_i32_e32 v4, 1, v3
	v_ashrrev_i32_e32 v5, 31, v4
	v_lshl_add_u64 v[10:11], v[4:5], 2, s[12:13]
	global_load_dword v3, v[10:11], off
	s_waitcnt vmcnt(0)
	v_subrev_u32_e32 v3, s28, v3
	v_cmp_lt_i32_e32 vcc, v16, v3
	s_nop 1
	v_cndmask_b32_e32 v2, v2, v4, vcc
	v_cndmask_b32_e32 v6, v4, v6, vcc
	v_add_u32_e32 v3, -1, v2
	v_cmp_ge_i32_e32 vcc, v6, v2
	v_cmp_eq_u32_e64 s[0:1], v6, v3
	s_or_b64 s[0:1], vcc, s[0:1]
	s_and_b64 s[0:1], exec, s[0:1]
	s_or_b64 s[2:3], s[0:1], s[2:3]
	s_andn2_b64 exec, exec, s[2:3]
	s_cbranch_execnz .LBB35_108
; %bb.109:
	s_or_b64 exec, exec, s[2:3]
.LBB35_110:
	v_ashrrev_i32_e32 v3, 31, v2
	v_lshl_add_u64 v[4:5], v[2:3], 2, s[12:13]
	global_load_dword v3, v[4:5], off
	global_load_dword v7, v[8:9], off offset:3072
	s_waitcnt vmcnt(1)
	v_subrev_u32_e32 v3, s28, v3
	v_cmp_lt_i32_e32 vcc, v16, v3
	s_nop 1
	v_cndmask_b32_e32 v8, v2, v6, vcc
	s_waitcnt vmcnt(0)
	v_subrev_u32_e32 v6, s28, v7
	v_cmp_ne_u32_e32 vcc, v6, v8
                                        ; implicit-def: $vgpr2_vgpr3
	s_and_saveexec_b64 s[0:1], vcc
	s_xor_b64 s[2:3], exec, s[0:1]
	s_cbranch_execz .LBB35_117
; %bb.111:
	s_load_dword s0, s[8:9], 0x0
	ds_read_b128 v[2:5], v1 offset:12288
	s_waitcnt lgkmcnt(0)
	s_sub_i32 s0, s0, s28
	v_cmp_gt_i32_e32 vcc, s0, v16
	s_and_saveexec_b64 s[8:9], vcc
	s_cbranch_execz .LBB35_116
; %bb.112:
	v_ashrrev_i32_e32 v9, 31, v8
	v_lshl_add_u64 v[8:9], v[8:9], 4, s[18:19]
	global_load_dwordx4 v[12:15], v[8:9], off
	v_cmp_gt_i32_e32 vcc, s30, v6
	v_cmp_le_i32_e64 s[0:1], s27, v6
	s_or_b64 s[0:1], vcc, s[0:1]
	s_waitcnt vmcnt(0)
	v_mul_f64 v[8:9], v[14:15], -v[4:5]
	v_mul_f64 v[10:11], v[14:15], v[2:3]
	v_fmac_f64_e32 v[8:9], v[2:3], v[12:13]
	v_fmac_f64_e32 v[10:11], v[4:5], v[12:13]
	s_and_saveexec_b64 s[10:11], s[0:1]
	s_xor_b64 s[0:1], exec, s[10:11]
	s_cbranch_execz .LBB35_114
; %bb.113:
	v_ashrrev_i32_e32 v7, 31, v6
	v_lshl_add_u64 v[12:13], v[6:7], 4, s[24:25]
	global_atomic_add_f64 v[12:13], v[8:9], off
	global_atomic_add_f64 v[12:13], v[10:11], off offset:8
                                        ; implicit-def: $vgpr8_vgpr9
                                        ; implicit-def: $vgpr10_vgpr11
.LBB35_114:
	s_andn2_saveexec_b64 s[0:1], s[0:1]
	s_cbranch_execz .LBB35_116
; %bb.115:
	v_subrev_u32_e32 v7, s30, v6
	v_mov_b32_e32 v12, 0x4000
	v_lshl_add_u32 v7, v7, 4, v12
	ds_add_f64 v7, v[8:9]
	ds_add_f64 v7, v[10:11] offset:8
.LBB35_116:
	s_or_b64 exec, exec, s[8:9]
.LBB35_117:
	s_andn2_saveexec_b64 s[0:1], s[2:3]
; %bb.118:
	ds_read_b128 v[2:5], v1 offset:12288
; %bb.119:
	s_or_b64 exec, exec, s[0:1]
	v_ashrrev_i32_e32 v7, 31, v6
	v_lshl_add_u64 v[6:7], v[6:7], 4, s[18:19]
	global_load_dwordx4 v[6:9], v[6:7], off
	s_waitcnt vmcnt(0) lgkmcnt(0)
	v_mul_f64 v[10:11], v[8:9], -v[4:5]
	v_mul_f64 v[12:13], v[8:9], v[2:3]
	v_fmac_f64_e32 v[10:11], v[2:3], v[6:7]
	v_fmac_f64_e32 v[12:13], v[4:5], v[6:7]
	ds_write_b128 v1, v[10:13] offset:12288
.LBB35_120:
	s_or_b64 exec, exec, s[6:7]
	s_min_i32 s6, s27, s22
	s_sub_i32 s10, s6, s20
	v_cmp_gt_i32_e32 vcc, s10, v0
	s_waitcnt lgkmcnt(0)
	s_barrier
	s_and_saveexec_b64 s[0:1], vcc
	s_cbranch_execz .LBB35_123
; %bb.121:
	v_mov_b32_e32 v2, 0x4000
	v_lshl_add_u32 v2, v0, 4, v2
	s_mov_b64 s[2:3], 0
	v_mov_b32_e32 v3, v0
.LBB35_122:                             ; =>This Inner Loop Header: Depth=1
	ds_read2_b64 v[6:9], v2 offset1:1
	v_add_u32_e32 v4, s30, v3
	v_ashrrev_i32_e32 v5, 31, v4
	v_lshl_add_u64 v[4:5], v[4:5], 4, s[24:25]
	v_add_u32_e32 v3, 0x100, v3
	s_waitcnt lgkmcnt(0)
	global_atomic_add_f64 v[4:5], v[6:7], off
	global_atomic_add_f64 v[4:5], v[8:9], off offset:8
	v_cmp_le_i32_e32 vcc, s10, v3
	s_or_b64 s[2:3], vcc, s[2:3]
	v_add_u32_e32 v2, 0x1000, v2
	s_andn2_b64 exec, exec, s[2:3]
	s_cbranch_execnz .LBB35_122
.LBB35_123:
	s_or_b64 exec, exec, s[0:1]
	s_mul_i32 s0, s29, s20
	s_sub_i32 s0, s21, s0
	s_add_i32 s1, s29, 1
	s_sub_i32 s2, s0, s20
	s_cmp_ge_u32 s0, s20
	s_cselect_b32 s1, s1, s29
	s_cselect_b32 s0, s2, s0
	s_add_i32 s2, s1, 1
	s_cmp_ge_u32 s0, s20
	s_cselect_b32 s0, s2, s1
	s_add_i32 s0, s0, -1
	s_ashr_i32 s1, s0, 1
	s_or_b32 s0, s1, s0
	s_ashr_i32 s1, s0, 2
	s_or_b32 s0, s1, s0
	;; [unrolled: 2-line block ×5, first 2 shown]
	s_add_i32 s0, s0, 1
	s_ashr_i32 s11, s0, 1
	v_add_u32_e32 v6, s26, v0
	s_cmp_gt_i32 s11, 1
	s_mov_b64 s[0:1], -1
	s_barrier
	s_cbranch_scc1 .LBB35_132
; %bb.124:
	v_cmp_gt_i32_e32 vcc, s27, v6
	s_and_saveexec_b64 s[0:1], vcc
	s_cbranch_execz .LBB35_131
; %bb.125:
	s_sub_i32 s2, s6, s27
	s_lshl_b32 s2, s2, 4
	s_add_i32 s14, s2, 0x4000
	s_lshl_b32 s2, s23, 4
	s_sub_i32 s15, 0, s2
	s_mov_b64 s[2:3], 0
	v_mov_b32_e32 v2, v6
	s_branch .LBB35_127
.LBB35_126:                             ;   in Loop: Header=BB35_127 Depth=1
	s_or_b64 exec, exec, s[6:7]
	v_lshl_add_u32 v7, v2, 4, s14
	ds_read2_b64 v[10:13], v7 offset1:1
	s_waitcnt lgkmcnt(0)
	v_add_f64 v[8:9], v[8:9], v[10:11]
	v_lshl_add_u64 v[10:11], v[2:3], 4, s[24:25]
	v_add_f64 v[4:5], v[4:5], v[12:13]
	global_atomic_add_f64 v[10:11], v[8:9], off
	global_atomic_add_f64 v[10:11], v[4:5], off offset:8
	v_add_u32_e32 v2, s21, v2
	v_cmp_le_i32_e32 vcc, s27, v2
	s_or_b64 s[2:3], vcc, s[2:3]
	s_andn2_b64 exec, exec, s[2:3]
	s_cbranch_execz .LBB35_131
.LBB35_127:                             ; =>This Loop Header: Depth=1
                                        ;     Child Loop BB35_129 Depth 2
	v_ashrrev_i32_e32 v3, 31, v2
	v_lshl_add_u64 v[4:5], v[2:3], 2, s[12:13]
	global_load_dwordx2 v[10:11], v[4:5], off
	v_mov_b64_e32 v[4:5], 0
	v_mov_b64_e32 v[8:9], 0
	s_waitcnt vmcnt(0)
	v_cmp_lt_i32_e32 vcc, v10, v11
	s_and_saveexec_b64 s[6:7], vcc
	s_cbranch_execz .LBB35_126
; %bb.128:                              ;   in Loop: Header=BB35_127 Depth=1
	v_subrev_u32_e32 v7, s23, v11
	v_subrev_u32_e32 v11, s23, v10
	v_lshl_add_u32 v10, v10, 4, s15
	v_mov_b64_e32 v[4:5], 0
	s_mov_b64 s[8:9], 0
	v_mov_b64_e32 v[8:9], 0
.LBB35_129:                             ;   Parent Loop BB35_127 Depth=1
                                        ; =>  This Inner Loop Header: Depth=2
	ds_read_b128 v[12:15], v10
	v_add_u32_e32 v11, 1, v11
	v_cmp_ge_i32_e32 vcc, v11, v7
	v_add_u32_e32 v10, 16, v10
	s_or_b64 s[8:9], vcc, s[8:9]
	s_waitcnt lgkmcnt(0)
	v_add_f64 v[8:9], v[8:9], v[12:13]
	v_add_f64 v[4:5], v[4:5], v[14:15]
	s_andn2_b64 exec, exec, s[8:9]
	s_cbranch_execnz .LBB35_129
; %bb.130:                              ;   in Loop: Header=BB35_127 Depth=1
	s_or_b64 exec, exec, s[8:9]
	s_branch .LBB35_126
.LBB35_131:
	s_or_b64 exec, exec, s[0:1]
	s_mov_b64 s[0:1], 0
.LBB35_132:
	s_andn2_b64 vcc, exec, s[0:1]
	s_cbranch_vccnz .LBB35_145
; %bb.133:
	v_cvt_f32_u32_e32 v2, s11
	s_sub_i32 s0, 0, s11
	v_rcp_iflag_f32_e32 v2, v2
	s_nop 0
	v_mul_f32_e32 v2, 0x4f7ffffe, v2
	v_cvt_u32_f32_e32 v2, v2
	v_mul_lo_u32 v3, s0, v2
	v_mul_hi_u32 v3, v2, v3
	v_add_u32_e32 v2, v2, v3
	v_mul_hi_u32 v2, v0, v2
	v_mul_lo_u32 v3, v2, s11
	v_sub_u32_e32 v3, v0, v3
	v_add_u32_e32 v4, 1, v2
	v_cmp_le_u32_e32 vcc, s11, v3
	s_nop 1
	v_cndmask_b32_e32 v2, v2, v4, vcc
	v_subrev_u32_e32 v4, s11, v3
	v_cndmask_b32_e32 v3, v3, v4, vcc
	v_add_u32_e32 v4, 1, v2
	v_cmp_le_u32_e32 vcc, s11, v3
	s_nop 1
	v_cndmask_b32_e32 v2, v2, v4, vcc
	v_lshlrev_b32_e32 v3, 2, v2
	global_load_dwordx2 v[8:9], v3, s[4:5]
	v_cmp_gt_i32_e32 vcc, s20, v2
	v_mov_b64_e32 v[4:5], 0
	v_mov_b64_e32 v[2:3], 0
	s_and_saveexec_b64 s[0:1], vcc
	s_cbranch_execz .LBB35_141
; %bb.134:
	s_abs_i32 s4, s11
	v_cvt_f32_u32_e32 v2, s4
	s_waitcnt vmcnt(0)
	v_subrev_u32_e32 v8, s23, v8
	v_subrev_u32_e32 v7, s23, v9
	v_sub_u32_e32 v3, v7, v8
	v_rcp_iflag_f32_e32 v2, v2
	s_sub_i32 s2, 0, s4
	v_sub_u32_e32 v5, 0, v3
	v_ashrrev_i32_e32 v4, 31, v3
	v_mul_f32_e32 v2, 0x4f7ffffe, v2
	v_cvt_u32_f32_e32 v2, v2
	v_max_i32_e32 v5, v3, v5
	s_ashr_i32 s5, s11, 31
	v_mul_lo_u32 v3, s2, v2
	v_mul_hi_u32 v3, v2, v3
	v_add_u32_e32 v2, v2, v3
	v_mad_u64_u32 v[2:3], s[2:3], v5, v2, 0
	v_xor_b32_e32 v2, s5, v4
	v_mul_lo_u32 v4, v3, s4
	v_sub_u32_e32 v4, v5, v4
	v_add_u32_e32 v5, 1, v3
	v_cmp_le_u32_e32 vcc, s4, v4
	s_add_i32 s2, s11, -1
	v_and_b32_e32 v11, s2, v0
	v_cndmask_b32_e32 v3, v3, v5, vcc
	v_subrev_u32_e32 v5, s4, v4
	v_cndmask_b32_e32 v4, v4, v5, vcc
	v_add_u32_e32 v5, 1, v3
	v_cmp_le_u32_e32 vcc, s4, v4
	v_lshlrev_b32_e32 v10, 4, v11
	s_nop 0
	v_cndmask_b32_e32 v3, v3, v5, vcc
	v_xor_b32_e32 v3, v3, v2
	v_sub_u32_e32 v9, v3, v2
	v_cmp_lt_i32_e32 vcc, 0, v9
	v_mov_b64_e32 v[4:5], 0
	v_mov_b64_e32 v[2:3], 0
	s_and_saveexec_b64 s[2:3], vcc
	s_cbranch_execz .LBB35_138
; %bb.135:
	v_mov_b64_e32 v[4:5], 0
	v_lshl_add_u32 v12, v8, 4, v10
	s_lshl_b32 s6, s11, 4
	s_mov_b64 s[4:5], 0
	v_mov_b32_e32 v13, v9
	v_mov_b64_e32 v[2:3], v[4:5]
.LBB35_136:                             ; =>This Inner Loop Header: Depth=1
	ds_read_b128 v[14:17], v12
	v_add_u32_e32 v13, -1, v13
	v_cmp_eq_u32_e32 vcc, 0, v13
	v_add_u32_e32 v12, s6, v12
	s_or_b64 s[4:5], vcc, s[4:5]
	s_waitcnt lgkmcnt(0)
	v_add_f64 v[2:3], v[2:3], v[14:15]
	v_add_f64 v[4:5], v[4:5], v[16:17]
	s_andn2_b64 exec, exec, s[4:5]
	s_cbranch_execnz .LBB35_136
; %bb.137:
	s_or_b64 exec, exec, s[4:5]
.LBB35_138:
	s_or_b64 exec, exec, s[2:3]
	v_mad_u64_u32 v[8:9], s[2:3], v9, s11, v[8:9]
	v_sub_u32_e32 v7, v7, v8
	v_cmp_lt_i32_e32 vcc, v11, v7
	s_and_saveexec_b64 s[2:3], vcc
	s_cbranch_execz .LBB35_140
; %bb.139:
	v_lshl_add_u32 v7, v8, 4, v10
	ds_read_b128 v[8:11], v7
	s_waitcnt lgkmcnt(0)
	v_add_f64 v[2:3], v[2:3], v[8:9]
	v_add_f64 v[4:5], v[4:5], v[10:11]
.LBB35_140:
	s_or_b64 exec, exec, s[2:3]
.LBB35_141:
	s_or_b64 exec, exec, s[0:1]
	v_cmp_gt_i32_e32 vcc, s20, v0
	s_barrier
	ds_write_b128 v1, v[2:5]
	s_waitcnt lgkmcnt(0)
	s_barrier
	s_and_b64 exec, exec, vcc
	s_cbranch_execz .LBB35_145
; %bb.142:
	v_mul_lo_u32 v1, s11, v0
	v_lshlrev_b32_e32 v1, 4, v1
	v_mov_b64_e32 v[2:3], 0
	v_mov_b64_e32 v[4:5], 0
.LBB35_143:                             ; =>This Inner Loop Header: Depth=1
	s_waitcnt vmcnt(0)
	ds_read_b128 v[8:11], v1
	s_add_i32 s11, s11, -1
	v_add_u32_e32 v1, 16, v1
	s_cmp_eq_u32 s11, 0
	s_waitcnt lgkmcnt(0)
	v_add_f64 v[4:5], v[4:5], v[8:9]
	v_add_f64 v[2:3], v[2:3], v[10:11]
	s_cbranch_scc0 .LBB35_143
; %bb.144:
	s_lshl_b32 s0, s10, 4
	s_addk_i32 s0, 0x4000
	v_lshl_add_u32 v0, v0, 4, s0
	ds_read2_b64 v[8:11], v0 offset1:1
	v_ashrrev_i32_e32 v7, 31, v6
	s_waitcnt lgkmcnt(0)
	v_add_f64 v[0:1], v[4:5], v[8:9]
	v_lshl_add_u64 v[4:5], v[6:7], 4, s[24:25]
	v_add_f64 v[2:3], v[2:3], v[10:11]
	global_atomic_add_f64 v[4:5], v[0:1], off
	global_atomic_add_f64 v[4:5], v[2:3], off offset:8
.LBB35_145:
	s_endpgm
	.section	.rodata,"a",@progbits
	.p2align	6, 0x0
	.amdhsa_kernel _ZN9rocsparseL27csrmvn_symm_adaptive_kernelIii21rocsparse_complex_numIdES2_S2_S2_EEvbT_S3_PKS3_NS_24const_host_device_scalarIT4_EES5_PKT0_PKT1_PKT2_S8_PT3_21rocsparse_index_base_b
		.amdhsa_group_segment_fixed_size 16384
		.amdhsa_private_segment_fixed_size 0
		.amdhsa_kernarg_size 360
		.amdhsa_user_sgpr_count 2
		.amdhsa_user_sgpr_dispatch_ptr 0
		.amdhsa_user_sgpr_queue_ptr 0
		.amdhsa_user_sgpr_kernarg_segment_ptr 1
		.amdhsa_user_sgpr_dispatch_id 0
		.amdhsa_user_sgpr_kernarg_preload_length 0
		.amdhsa_user_sgpr_kernarg_preload_offset 0
		.amdhsa_user_sgpr_private_segment_size 0
		.amdhsa_uses_dynamic_stack 0
		.amdhsa_enable_private_segment 0
		.amdhsa_system_sgpr_workgroup_id_x 1
		.amdhsa_system_sgpr_workgroup_id_y 0
		.amdhsa_system_sgpr_workgroup_id_z 0
		.amdhsa_system_sgpr_workgroup_info 0
		.amdhsa_system_vgpr_workitem_id 0
		.amdhsa_next_free_vgpr 34
		.amdhsa_next_free_sgpr 48
		.amdhsa_accum_offset 36
		.amdhsa_reserve_vcc 1
		.amdhsa_float_round_mode_32 0
		.amdhsa_float_round_mode_16_64 0
		.amdhsa_float_denorm_mode_32 3
		.amdhsa_float_denorm_mode_16_64 3
		.amdhsa_dx10_clamp 1
		.amdhsa_ieee_mode 1
		.amdhsa_fp16_overflow 0
		.amdhsa_tg_split 0
		.amdhsa_exception_fp_ieee_invalid_op 0
		.amdhsa_exception_fp_denorm_src 0
		.amdhsa_exception_fp_ieee_div_zero 0
		.amdhsa_exception_fp_ieee_overflow 0
		.amdhsa_exception_fp_ieee_underflow 0
		.amdhsa_exception_fp_ieee_inexact 0
		.amdhsa_exception_int_div_zero 0
	.end_amdhsa_kernel
	.section	.text._ZN9rocsparseL27csrmvn_symm_adaptive_kernelIii21rocsparse_complex_numIdES2_S2_S2_EEvbT_S3_PKS3_NS_24const_host_device_scalarIT4_EES5_PKT0_PKT1_PKT2_S8_PT3_21rocsparse_index_base_b,"axG",@progbits,_ZN9rocsparseL27csrmvn_symm_adaptive_kernelIii21rocsparse_complex_numIdES2_S2_S2_EEvbT_S3_PKS3_NS_24const_host_device_scalarIT4_EES5_PKT0_PKT1_PKT2_S8_PT3_21rocsparse_index_base_b,comdat
.Lfunc_end35:
	.size	_ZN9rocsparseL27csrmvn_symm_adaptive_kernelIii21rocsparse_complex_numIdES2_S2_S2_EEvbT_S3_PKS3_NS_24const_host_device_scalarIT4_EES5_PKT0_PKT1_PKT2_S8_PT3_21rocsparse_index_base_b, .Lfunc_end35-_ZN9rocsparseL27csrmvn_symm_adaptive_kernelIii21rocsparse_complex_numIdES2_S2_S2_EEvbT_S3_PKS3_NS_24const_host_device_scalarIT4_EES5_PKT0_PKT1_PKT2_S8_PT3_21rocsparse_index_base_b
                                        ; -- End function
	.set _ZN9rocsparseL27csrmvn_symm_adaptive_kernelIii21rocsparse_complex_numIdES2_S2_S2_EEvbT_S3_PKS3_NS_24const_host_device_scalarIT4_EES5_PKT0_PKT1_PKT2_S8_PT3_21rocsparse_index_base_b.num_vgpr, 34
	.set _ZN9rocsparseL27csrmvn_symm_adaptive_kernelIii21rocsparse_complex_numIdES2_S2_S2_EEvbT_S3_PKS3_NS_24const_host_device_scalarIT4_EES5_PKT0_PKT1_PKT2_S8_PT3_21rocsparse_index_base_b.num_agpr, 0
	.set _ZN9rocsparseL27csrmvn_symm_adaptive_kernelIii21rocsparse_complex_numIdES2_S2_S2_EEvbT_S3_PKS3_NS_24const_host_device_scalarIT4_EES5_PKT0_PKT1_PKT2_S8_PT3_21rocsparse_index_base_b.numbered_sgpr, 48
	.set _ZN9rocsparseL27csrmvn_symm_adaptive_kernelIii21rocsparse_complex_numIdES2_S2_S2_EEvbT_S3_PKS3_NS_24const_host_device_scalarIT4_EES5_PKT0_PKT1_PKT2_S8_PT3_21rocsparse_index_base_b.num_named_barrier, 0
	.set _ZN9rocsparseL27csrmvn_symm_adaptive_kernelIii21rocsparse_complex_numIdES2_S2_S2_EEvbT_S3_PKS3_NS_24const_host_device_scalarIT4_EES5_PKT0_PKT1_PKT2_S8_PT3_21rocsparse_index_base_b.private_seg_size, 0
	.set _ZN9rocsparseL27csrmvn_symm_adaptive_kernelIii21rocsparse_complex_numIdES2_S2_S2_EEvbT_S3_PKS3_NS_24const_host_device_scalarIT4_EES5_PKT0_PKT1_PKT2_S8_PT3_21rocsparse_index_base_b.uses_vcc, 1
	.set _ZN9rocsparseL27csrmvn_symm_adaptive_kernelIii21rocsparse_complex_numIdES2_S2_S2_EEvbT_S3_PKS3_NS_24const_host_device_scalarIT4_EES5_PKT0_PKT1_PKT2_S8_PT3_21rocsparse_index_base_b.uses_flat_scratch, 0
	.set _ZN9rocsparseL27csrmvn_symm_adaptive_kernelIii21rocsparse_complex_numIdES2_S2_S2_EEvbT_S3_PKS3_NS_24const_host_device_scalarIT4_EES5_PKT0_PKT1_PKT2_S8_PT3_21rocsparse_index_base_b.has_dyn_sized_stack, 0
	.set _ZN9rocsparseL27csrmvn_symm_adaptive_kernelIii21rocsparse_complex_numIdES2_S2_S2_EEvbT_S3_PKS3_NS_24const_host_device_scalarIT4_EES5_PKT0_PKT1_PKT2_S8_PT3_21rocsparse_index_base_b.has_recursion, 0
	.set _ZN9rocsparseL27csrmvn_symm_adaptive_kernelIii21rocsparse_complex_numIdES2_S2_S2_EEvbT_S3_PKS3_NS_24const_host_device_scalarIT4_EES5_PKT0_PKT1_PKT2_S8_PT3_21rocsparse_index_base_b.has_indirect_call, 0
	.section	.AMDGPU.csdata,"",@progbits
; Kernel info:
; codeLenInByte = 6528
; TotalNumSgprs: 54
; NumVgprs: 34
; NumAgprs: 0
; TotalNumVgprs: 34
; ScratchSize: 0
; MemoryBound: 0
; FloatMode: 240
; IeeeMode: 1
; LDSByteSize: 16384 bytes/workgroup (compile time only)
; SGPRBlocks: 6
; VGPRBlocks: 4
; NumSGPRsForWavesPerEU: 54
; NumVGPRsForWavesPerEU: 34
; AccumOffset: 36
; Occupancy: 8
; WaveLimiterHint : 1
; COMPUTE_PGM_RSRC2:SCRATCH_EN: 0
; COMPUTE_PGM_RSRC2:USER_SGPR: 2
; COMPUTE_PGM_RSRC2:TRAP_HANDLER: 0
; COMPUTE_PGM_RSRC2:TGID_X_EN: 1
; COMPUTE_PGM_RSRC2:TGID_Y_EN: 0
; COMPUTE_PGM_RSRC2:TGID_Z_EN: 0
; COMPUTE_PGM_RSRC2:TIDIG_COMP_CNT: 0
; COMPUTE_PGM_RSRC3_GFX90A:ACCUM_OFFSET: 8
; COMPUTE_PGM_RSRC3_GFX90A:TG_SPLIT: 0
	.section	.text._ZL33csrmvn_symm_large_adaptive_kernelIii21rocsparse_complex_numIdES1_S1_S1_EvbT_PKS2_N9rocsparse24const_host_device_scalarIT4_EES4_PKT0_PKT1_PKT2_S8_PT3_21rocsparse_index_base_b,"axG",@progbits,_ZL33csrmvn_symm_large_adaptive_kernelIii21rocsparse_complex_numIdES1_S1_S1_EvbT_PKS2_N9rocsparse24const_host_device_scalarIT4_EES4_PKT0_PKT1_PKT2_S8_PT3_21rocsparse_index_base_b,comdat
	.globl	_ZL33csrmvn_symm_large_adaptive_kernelIii21rocsparse_complex_numIdES1_S1_S1_EvbT_PKS2_N9rocsparse24const_host_device_scalarIT4_EES4_PKT0_PKT1_PKT2_S8_PT3_21rocsparse_index_base_b ; -- Begin function _ZL33csrmvn_symm_large_adaptive_kernelIii21rocsparse_complex_numIdES1_S1_S1_EvbT_PKS2_N9rocsparse24const_host_device_scalarIT4_EES4_PKT0_PKT1_PKT2_S8_PT3_21rocsparse_index_base_b
	.p2align	8
	.type	_ZL33csrmvn_symm_large_adaptive_kernelIii21rocsparse_complex_numIdES1_S1_S1_EvbT_PKS2_N9rocsparse24const_host_device_scalarIT4_EES4_PKT0_PKT1_PKT2_S8_PT3_21rocsparse_index_base_b,@function
_ZL33csrmvn_symm_large_adaptive_kernelIii21rocsparse_complex_numIdES1_S1_S1_EvbT_PKS2_N9rocsparse24const_host_device_scalarIT4_EES4_PKT0_PKT1_PKT2_S8_PT3_21rocsparse_index_base_b: ; @_ZL33csrmvn_symm_large_adaptive_kernelIii21rocsparse_complex_numIdES1_S1_S1_EvbT_PKS2_N9rocsparse24const_host_device_scalarIT4_EES4_PKT0_PKT1_PKT2_S8_PT3_21rocsparse_index_base_b
; %bb.0:
	s_load_dwordx2 s[10:11], s[0:1], 0x58
	s_load_dwordx2 s[4:5], s[0:1], 0x10
	s_add_u32 s3, s0, 16
	s_addc_u32 s12, s1, 0
	s_waitcnt lgkmcnt(0)
	s_bitcmp1_b32 s11, 0
	s_cselect_b64 s[8:9], -1, 0
	s_and_b64 s[6:7], s[8:9], exec
	s_cselect_b32 s5, s12, s5
	s_cselect_b32 s3, s3, s4
	v_mov_b32_e32 v2, s3
	v_mov_b32_e32 v3, s5
	flat_load_dwordx4 v[2:5], v[2:3]
	s_waitcnt vmcnt(0) lgkmcnt(0)
	v_cmp_eq_f64_e32 vcc, 0, v[2:3]
	v_cmp_eq_f64_e64 s[4:5], 0, v[4:5]
	s_and_b64 s[12:13], vcc, s[4:5]
	s_mov_b64 s[4:5], -1
	s_and_saveexec_b64 s[6:7], s[12:13]
	s_cbranch_execz .LBB36_2
; %bb.1:
	s_load_dwordx2 s[4:5], s[0:1], 0x40
	s_add_u32 s3, s0, 64
	s_addc_u32 s11, s1, 0
	s_and_b64 s[8:9], s[8:9], exec
	s_waitcnt lgkmcnt(0)
	s_cselect_b32 s5, s11, s5
	s_cselect_b32 s3, s3, s4
	v_mov_b32_e32 v6, s3
	v_mov_b32_e32 v7, s5
	flat_load_dwordx4 v[6:9], v[6:7]
	s_waitcnt vmcnt(0) lgkmcnt(0)
	v_cmp_neq_f64_e32 vcc, 1.0, v[6:7]
	v_cmp_neq_f64_e64 s[4:5], 0, v[8:9]
	s_or_b64 s[4:5], vcc, s[4:5]
	s_orn2_b64 s[4:5], s[4:5], exec
.LBB36_2:
	s_or_b64 exec, exec, s[6:7]
	s_and_saveexec_b64 s[6:7], s[4:5]
	s_cbranch_execz .LBB36_36
; %bb.3:
	s_load_dword s3, s[0:1], 0x0
	s_load_dwordx2 s[12:13], s[0:1], 0x8
	s_mov_b32 s4, 0
	s_mov_b32 s6, s4
	;; [unrolled: 1-line block ×3, first 2 shown]
	s_waitcnt lgkmcnt(0)
	s_bitcmp1_b32 s3, 0
	s_cselect_b64 s[8:9], -1, 0
	s_ashr_i32 s3, s2, 31
	s_lshl_b64 s[2:3], s[2:3], 2
	s_mov_b32 s5, s4
	v_mov_b64_e32 v[8:9], s[6:7]
	s_add_u32 s2, s12, s2
	v_lshlrev_b32_e32 v14, 4, v0
	v_mov_b64_e32 v[6:7], s[4:5]
	s_addc_u32 s3, s13, s3
	ds_write_b128 v14, v[6:9]
	ds_write_b128 v14, v[6:9] offset:4096
	ds_write_b128 v14, v[6:9] offset:8192
	;; [unrolled: 1-line block ×3, first 2 shown]
	s_waitcnt lgkmcnt(0)
	s_barrier
	s_load_dwordx2 s[20:21], s[2:3], 0x0
	s_load_dwordx2 s[22:23], s[0:1], 0x50
	s_load_dwordx8 s[12:19], s[0:1], 0x20
	v_subrev_u32_e32 v15, s10, v0
	s_waitcnt lgkmcnt(0)
	s_cmp_ge_i32 s20, s21
	s_cbranch_scc1 .LBB36_27
; %bb.4:
	s_add_u32 s24, s16, 8
	v_cmp_gt_u32_e32 vcc, 64, v0
	v_cmp_gt_u32_e64 s[2:3], 16, v0
	v_cmp_gt_u32_e64 s[4:5], 4, v0
	v_cmp_eq_u32_e64 s[6:7], 0, v0
	s_addc_u32 s25, s17, 0
	s_mov_b64 s[26:27], 0x400
	s_mov_b64 s[28:29], 0x1000
	v_mov_b32_e32 v16, 0
	s_mov_b32 s30, s20
	s_branch .LBB36_6
.LBB36_5:                               ;   in Loop: Header=BB36_6 Depth=1
	s_or_b64 exec, exec, s[34:35]
	s_add_i32 s30, s30, 1
	s_cmp_ge_i32 s30, s21
	s_cbranch_scc1 .LBB36_27
.LBB36_6:                               ; =>This Loop Header: Depth=1
                                        ;     Child Loop BB36_8 Depth 2
                                        ;     Child Loop BB36_20 Depth 2
	;; [unrolled: 1-line block ×3, first 2 shown]
	s_ashr_i32 s31, s30, 31
	s_lshl_b64 s[0:1], s[30:31], 2
	s_add_u32 s0, s12, s0
	s_addc_u32 s1, s13, s1
	s_load_dwordx2 s[34:35], s[0:1], 0x0
	v_mov_b64_e32 v[8:9], 0
	v_mov_b64_e32 v[6:7], 0
	s_waitcnt lgkmcnt(0)
	v_add_u32_e32 v0, s34, v15
	s_sub_i32 s11, s35, s10
	v_cmp_gt_i32_e64 s[0:1], s11, v0
	s_and_saveexec_b64 s[34:35], s[0:1]
	s_cbranch_execz .LBB36_10
; %bb.7:                                ;   in Loop: Header=BB36_6 Depth=1
	v_ashrrev_i32_e32 v1, 31, v0
	v_mov_b64_e32 v[8:9], 0
	v_lshl_add_u64 v[10:11], v[0:1], 2, s[14:15]
	v_lshl_add_u64 v[12:13], v[0:1], 4, s[24:25]
	s_mov_b64 s[36:37], 0
	v_mov_b64_e32 v[6:7], v[8:9]
.LBB36_8:                               ;   Parent Loop BB36_6 Depth=1
                                        ; =>  This Inner Loop Header: Depth=2
	global_load_dword v1, v[10:11], off
	global_load_dwordx4 v[18:21], v[12:13], off offset:-8
	v_add_u32_e32 v0, 0x100, v0
	v_cmp_le_i32_e64 s[0:1], s11, v0
	v_lshl_add_u64 v[10:11], v[10:11], 0, s[26:27]
	v_lshl_add_u64 v[12:13], v[12:13], 0, s[28:29]
	s_or_b64 s[36:37], s[0:1], s[36:37]
	s_waitcnt vmcnt(1)
	v_subrev_u32_e32 v22, s10, v1
	v_ashrrev_i32_e32 v23, 31, v22
	v_lshl_add_u64 v[22:23], v[22:23], 4, s[18:19]
	global_load_dwordx4 v[22:25], v[22:23], off
	s_waitcnt vmcnt(1)
	v_xor_b32_e32 v1, 0x80000000, v21
	v_cndmask_b32_e64 v21, v21, v1, s[8:9]
	s_waitcnt vmcnt(0)
	v_fmac_f64_e32 v[6:7], v[18:19], v[22:23]
	v_fmac_f64_e32 v[8:9], v[20:21], v[22:23]
	v_fma_f64 v[6:7], -v[20:21], v[24:25], v[6:7]
	v_fmac_f64_e32 v[8:9], v[18:19], v[24:25]
	s_andn2_b64 exec, exec, s[36:37]
	s_cbranch_execnz .LBB36_8
; %bb.9:                                ;   in Loop: Header=BB36_6 Depth=1
	s_or_b64 exec, exec, s[36:37]
.LBB36_10:                              ;   in Loop: Header=BB36_6 Depth=1
	s_or_b64 exec, exec, s[34:35]
	ds_write_b128 v14, v[6:9]
	s_waitcnt lgkmcnt(0)
	s_barrier
	ds_read_b128 v[6:9], v14 offset:4096
	ds_read_b128 v[10:13], v14 offset:8192
	;; [unrolled: 1-line block ×3, first 2 shown]
	ds_read_b128 v[22:25], v14
	s_waitcnt lgkmcnt(2)
	v_add_f64 v[0:1], v[10:11], v[6:7]
	v_add_f64 v[6:7], v[12:13], v[8:9]
	s_waitcnt lgkmcnt(1)
	v_add_f64 v[0:1], v[0:1], v[18:19]
	v_add_f64 v[8:9], v[6:7], v[20:21]
	;; [unrolled: 3-line block ×3, first 2 shown]
	ds_write_b128 v14, v[6:9]
	s_waitcnt lgkmcnt(0)
	s_barrier
	s_and_saveexec_b64 s[0:1], vcc
	s_cbranch_execz .LBB36_12
; %bb.11:                               ;   in Loop: Header=BB36_6 Depth=1
	ds_read_b128 v[6:9], v14 offset:1024
	ds_read_b128 v[10:13], v14 offset:2048
	ds_read_b128 v[18:21], v14 offset:3072
	ds_read_b128 v[22:25], v14
	s_waitcnt lgkmcnt(2)
	v_add_f64 v[0:1], v[10:11], v[6:7]
	v_add_f64 v[6:7], v[12:13], v[8:9]
	s_waitcnt lgkmcnt(1)
	v_add_f64 v[0:1], v[0:1], v[18:19]
	v_add_f64 v[8:9], v[6:7], v[20:21]
	s_waitcnt lgkmcnt(0)
	v_add_f64 v[6:7], v[0:1], v[22:23]
	v_add_f64 v[8:9], v[8:9], v[24:25]
	ds_write_b128 v14, v[6:9]
.LBB36_12:                              ;   in Loop: Header=BB36_6 Depth=1
	s_or_b64 exec, exec, s[0:1]
	s_waitcnt lgkmcnt(0)
	s_barrier
	s_and_saveexec_b64 s[0:1], s[2:3]
	s_cbranch_execz .LBB36_14
; %bb.13:                               ;   in Loop: Header=BB36_6 Depth=1
	ds_read_b128 v[6:9], v14 offset:256
	ds_read_b128 v[10:13], v14 offset:512
	ds_read_b128 v[18:21], v14 offset:768
	ds_read_b128 v[22:25], v14
	s_waitcnt lgkmcnt(2)
	v_add_f64 v[0:1], v[10:11], v[6:7]
	v_add_f64 v[6:7], v[12:13], v[8:9]
	s_waitcnt lgkmcnt(1)
	v_add_f64 v[0:1], v[0:1], v[18:19]
	v_add_f64 v[8:9], v[6:7], v[20:21]
	s_waitcnt lgkmcnt(0)
	v_add_f64 v[6:7], v[0:1], v[22:23]
	v_add_f64 v[8:9], v[8:9], v[24:25]
	ds_write_b128 v14, v[6:9]
.LBB36_14:                              ;   in Loop: Header=BB36_6 Depth=1
	s_or_b64 exec, exec, s[0:1]
	s_waitcnt lgkmcnt(0)
	s_barrier
	s_and_saveexec_b64 s[0:1], s[4:5]
	;; [unrolled: 21-line block ×4, first 2 shown]
	s_cbranch_execz .LBB36_5
; %bb.19:                               ;   in Loop: Header=BB36_6 Depth=1
	ds_read_b128 v[6:9], v16
	v_mov_b32_e32 v0, 0
	s_mov_b64 s[0:1], exec
	v_bfrev_b32_e32 v1, 1
	s_waitcnt lgkmcnt(0)
	v_mul_f64 v[10:11], v[8:9], -v[4:5]
	v_fmac_f64_e32 v[10:11], v[2:3], v[6:7]
.LBB36_20:                              ;   Parent Loop BB36_6 Depth=1
                                        ; =>  This Inner Loop Header: Depth=2
	s_ff1_i32_b64 s11, s[0:1]
	s_lshl_b64 s[38:39], 1, s11
	v_readlane_b32 s37, v11, s11
	v_readlane_b32 s36, v10, s11
	s_andn2_b64 s[0:1], s[0:1], s[38:39]
	s_cmp_lg_u64 s[0:1], 0
	v_add_f64 v[0:1], v[0:1], s[36:37]
	s_cbranch_scc1 .LBB36_20
; %bb.21:                               ;   in Loop: Header=BB36_6 Depth=1
	s_lshl_b64 s[0:1], s[30:31], 4
	v_mbcnt_lo_u32_b32 v10, exec_lo, 0
	s_add_u32 s36, s22, s0
	v_mbcnt_hi_u32_b32 v10, exec_hi, v10
	s_addc_u32 s37, s23, s1
	v_cmp_eq_u32_e64 s[0:1], 0, v10
	s_and_saveexec_b64 s[38:39], s[0:1]
	s_xor_b64 s[0:1], exec, s[38:39]
	s_cbranch_execz .LBB36_23
; %bb.22:                               ;   in Loop: Header=BB36_6 Depth=1
	global_atomic_add_f64 v16, v[0:1], s[36:37]
.LBB36_23:                              ;   in Loop: Header=BB36_6 Depth=1
	s_or_b64 exec, exec, s[0:1]
	v_mul_f64 v[8:9], v[2:3], v[8:9]
	v_mov_b32_e32 v0, 0
	s_mov_b64 s[0:1], exec
	v_fmac_f64_e32 v[8:9], v[4:5], v[6:7]
	v_bfrev_b32_e32 v1, 1
.LBB36_24:                              ;   Parent Loop BB36_6 Depth=1
                                        ; =>  This Inner Loop Header: Depth=2
	s_ff1_i32_b64 s11, s[0:1]
	s_lshl_b64 s[40:41], 1, s11
	v_readlane_b32 s39, v9, s11
	v_readlane_b32 s38, v8, s11
	s_andn2_b64 s[0:1], s[0:1], s[40:41]
	s_cmp_lg_u64 s[0:1], 0
	v_add_f64 v[0:1], v[0:1], s[38:39]
	s_cbranch_scc1 .LBB36_24
; %bb.25:                               ;   in Loop: Header=BB36_6 Depth=1
	v_mbcnt_lo_u32_b32 v6, exec_lo, 0
	v_mbcnt_hi_u32_b32 v6, exec_hi, v6
	v_cmp_eq_u32_e64 s[0:1], 0, v6
	s_and_saveexec_b64 s[38:39], s[0:1]
	s_xor_b64 s[38:39], exec, s[38:39]
	s_cbranch_execz .LBB36_5
; %bb.26:                               ;   in Loop: Header=BB36_6 Depth=1
	global_atomic_add_f64 v16, v[0:1], s[36:37] offset:8
	s_branch .LBB36_5
.LBB36_27:
	s_ashr_i32 s1, s20, 31
	s_mov_b32 s0, s20
	s_lshl_b64 s[0:1], s[0:1], 2
	s_add_u32 s0, s12, s0
	s_addc_u32 s1, s13, s1
	s_ashr_i32 s3, s21, 31
	s_mov_b32 s2, s21
	s_lshl_b64 s[2:3], s[2:3], 2
	s_add_u32 s2, s12, s2
	s_addc_u32 s3, s13, s3
	s_load_dword s4, s[2:3], 0x0
	s_load_dword s5, s[0:1], 0x0
	s_waitcnt lgkmcnt(0)
	s_sub_i32 s11, s4, s10
	v_add_u32_e32 v0, s5, v15
	v_cmp_gt_i32_e32 vcc, s11, v0
	s_and_b64 exec, exec, vcc
	s_cbranch_execz .LBB36_36
; %bb.28:
	s_add_i32 s24, s21, -1
	s_cmp_lt_i32 s20, s24
	s_cselect_b64 s[0:1], -1, 0
	s_add_i32 s2, s21, -2
	s_cmp_lg_u32 s20, s2
	s_cselect_b64 s[2:3], -1, 0
	s_and_b64 s[0:1], s[0:1], s[2:3]
	v_cndmask_b32_e64 v1, 0, 1, s[0:1]
	s_mov_b64 s[4:5], 0
	v_cmp_ne_u32_e64 s[2:3], 1, v1
	s_branch .LBB36_30
.LBB36_29:                              ;   in Loop: Header=BB36_30 Depth=1
	s_or_b64 exec, exec, s[0:1]
	v_add_u32_e32 v0, 0x100, v0
	v_cmp_le_i32_e32 vcc, s11, v0
	s_or_b64 s[4:5], vcc, s[4:5]
	s_andn2_b64 exec, exec, s[4:5]
	s_cbranch_execz .LBB36_36
.LBB36_30:                              ; =>This Loop Header: Depth=1
                                        ;     Child Loop BB36_32 Depth 2
	s_and_b64 vcc, exec, s[2:3]
	v_mov_b32_e32 v8, s20
	v_mov_b32_e32 v6, s24
	s_cbranch_vccnz .LBB36_34
; %bb.31:                               ;   in Loop: Header=BB36_30 Depth=1
	s_mov_b64 s[6:7], 0
	v_mov_b32_e32 v8, s20
	v_mov_b32_e32 v6, s24
.LBB36_32:                              ;   Parent Loop BB36_30 Depth=1
                                        ; =>  This Inner Loop Header: Depth=2
	v_add_u32_e32 v1, v6, v8
	v_lshrrev_b32_e32 v7, 31, v1
	v_add_u32_e32 v1, v1, v7
	v_ashrrev_i32_e32 v10, 1, v1
	v_ashrrev_i32_e32 v11, 31, v10
	v_lshl_add_u64 v[12:13], v[10:11], 2, s[12:13]
	global_load_dword v1, v[12:13], off
	s_waitcnt vmcnt(0)
	v_subrev_u32_e32 v1, s10, v1
	v_cmp_lt_i32_e32 vcc, v0, v1
	s_nop 1
	v_cndmask_b32_e32 v6, v6, v10, vcc
	v_cndmask_b32_e32 v8, v10, v8, vcc
	v_add_u32_e32 v1, -1, v6
	v_cmp_ge_i32_e32 vcc, v8, v6
	v_cmp_eq_u32_e64 s[0:1], v8, v1
	s_or_b64 s[0:1], vcc, s[0:1]
	s_and_b64 s[0:1], exec, s[0:1]
	s_or_b64 s[6:7], s[0:1], s[6:7]
	s_andn2_b64 exec, exec, s[6:7]
	s_cbranch_execnz .LBB36_32
; %bb.33:                               ;   in Loop: Header=BB36_30 Depth=1
	s_or_b64 exec, exec, s[6:7]
.LBB36_34:                              ;   in Loop: Header=BB36_30 Depth=1
	v_ashrrev_i32_e32 v7, 31, v6
	v_lshl_add_u64 v[10:11], v[6:7], 2, s[12:13]
	global_load_dword v7, v[10:11], off
	v_ashrrev_i32_e32 v1, 31, v0
	v_lshl_add_u64 v[10:11], v[0:1], 2, s[14:15]
	global_load_dword v9, v[10:11], off
	s_waitcnt vmcnt(1)
	v_subrev_u32_e32 v7, s10, v7
	v_cmp_lt_i32_e32 vcc, v0, v7
	s_nop 1
	v_cndmask_b32_e32 v8, v6, v8, vcc
	s_waitcnt vmcnt(0)
	v_subrev_u32_e32 v6, s10, v9
	v_cmp_ne_u32_e32 vcc, v6, v8
	s_and_saveexec_b64 s[0:1], vcc
	s_cbranch_execz .LBB36_29
; %bb.35:                               ;   in Loop: Header=BB36_30 Depth=1
	v_lshl_add_u64 v[10:11], v[0:1], 4, s[16:17]
	global_load_dwordx4 v[10:13], v[10:11], off
	v_ashrrev_i32_e32 v9, 31, v8
	v_lshl_add_u64 v[8:9], v[8:9], 4, s[18:19]
	global_load_dwordx4 v[14:17], v[8:9], off
	v_ashrrev_i32_e32 v7, 31, v6
	v_lshl_add_u64 v[6:7], v[6:7], 4, s[22:23]
	s_waitcnt vmcnt(1)
	v_xor_b32_e32 v1, 0x80000000, v13
	v_cndmask_b32_e64 v13, v13, v1, s[8:9]
	v_mul_f64 v[8:9], v[12:13], -v[4:5]
	v_mul_f64 v[12:13], v[2:3], v[12:13]
	v_fmac_f64_e32 v[12:13], v[4:5], v[10:11]
	v_fmac_f64_e32 v[8:9], v[2:3], v[10:11]
	s_waitcnt vmcnt(0)
	v_mul_f64 v[10:11], v[16:17], -v[12:13]
	v_mul_f64 v[16:17], v[16:17], v[8:9]
	v_fmac_f64_e32 v[10:11], v[8:9], v[14:15]
	v_fmac_f64_e32 v[16:17], v[12:13], v[14:15]
	global_atomic_add_f64 v[6:7], v[10:11], off
	global_atomic_add_f64 v[6:7], v[16:17], off offset:8
	s_branch .LBB36_29
.LBB36_36:
	s_endpgm
	.section	.rodata,"a",@progbits
	.p2align	6, 0x0
	.amdhsa_kernel _ZL33csrmvn_symm_large_adaptive_kernelIii21rocsparse_complex_numIdES1_S1_S1_EvbT_PKS2_N9rocsparse24const_host_device_scalarIT4_EES4_PKT0_PKT1_PKT2_S8_PT3_21rocsparse_index_base_b
		.amdhsa_group_segment_fixed_size 16384
		.amdhsa_private_segment_fixed_size 0
		.amdhsa_kernarg_size 96
		.amdhsa_user_sgpr_count 2
		.amdhsa_user_sgpr_dispatch_ptr 0
		.amdhsa_user_sgpr_queue_ptr 0
		.amdhsa_user_sgpr_kernarg_segment_ptr 1
		.amdhsa_user_sgpr_dispatch_id 0
		.amdhsa_user_sgpr_kernarg_preload_length 0
		.amdhsa_user_sgpr_kernarg_preload_offset 0
		.amdhsa_user_sgpr_private_segment_size 0
		.amdhsa_uses_dynamic_stack 0
		.amdhsa_enable_private_segment 0
		.amdhsa_system_sgpr_workgroup_id_x 1
		.amdhsa_system_sgpr_workgroup_id_y 0
		.amdhsa_system_sgpr_workgroup_id_z 0
		.amdhsa_system_sgpr_workgroup_info 0
		.amdhsa_system_vgpr_workitem_id 0
		.amdhsa_next_free_vgpr 26
		.amdhsa_next_free_sgpr 42
		.amdhsa_accum_offset 28
		.amdhsa_reserve_vcc 1
		.amdhsa_float_round_mode_32 0
		.amdhsa_float_round_mode_16_64 0
		.amdhsa_float_denorm_mode_32 3
		.amdhsa_float_denorm_mode_16_64 3
		.amdhsa_dx10_clamp 1
		.amdhsa_ieee_mode 1
		.amdhsa_fp16_overflow 0
		.amdhsa_tg_split 0
		.amdhsa_exception_fp_ieee_invalid_op 0
		.amdhsa_exception_fp_denorm_src 0
		.amdhsa_exception_fp_ieee_div_zero 0
		.amdhsa_exception_fp_ieee_overflow 0
		.amdhsa_exception_fp_ieee_underflow 0
		.amdhsa_exception_fp_ieee_inexact 0
		.amdhsa_exception_int_div_zero 0
	.end_amdhsa_kernel
	.section	.text._ZL33csrmvn_symm_large_adaptive_kernelIii21rocsparse_complex_numIdES1_S1_S1_EvbT_PKS2_N9rocsparse24const_host_device_scalarIT4_EES4_PKT0_PKT1_PKT2_S8_PT3_21rocsparse_index_base_b,"axG",@progbits,_ZL33csrmvn_symm_large_adaptive_kernelIii21rocsparse_complex_numIdES1_S1_S1_EvbT_PKS2_N9rocsparse24const_host_device_scalarIT4_EES4_PKT0_PKT1_PKT2_S8_PT3_21rocsparse_index_base_b,comdat
.Lfunc_end36:
	.size	_ZL33csrmvn_symm_large_adaptive_kernelIii21rocsparse_complex_numIdES1_S1_S1_EvbT_PKS2_N9rocsparse24const_host_device_scalarIT4_EES4_PKT0_PKT1_PKT2_S8_PT3_21rocsparse_index_base_b, .Lfunc_end36-_ZL33csrmvn_symm_large_adaptive_kernelIii21rocsparse_complex_numIdES1_S1_S1_EvbT_PKS2_N9rocsparse24const_host_device_scalarIT4_EES4_PKT0_PKT1_PKT2_S8_PT3_21rocsparse_index_base_b
                                        ; -- End function
	.set _ZL33csrmvn_symm_large_adaptive_kernelIii21rocsparse_complex_numIdES1_S1_S1_EvbT_PKS2_N9rocsparse24const_host_device_scalarIT4_EES4_PKT0_PKT1_PKT2_S8_PT3_21rocsparse_index_base_b.num_vgpr, 26
	.set _ZL33csrmvn_symm_large_adaptive_kernelIii21rocsparse_complex_numIdES1_S1_S1_EvbT_PKS2_N9rocsparse24const_host_device_scalarIT4_EES4_PKT0_PKT1_PKT2_S8_PT3_21rocsparse_index_base_b.num_agpr, 0
	.set _ZL33csrmvn_symm_large_adaptive_kernelIii21rocsparse_complex_numIdES1_S1_S1_EvbT_PKS2_N9rocsparse24const_host_device_scalarIT4_EES4_PKT0_PKT1_PKT2_S8_PT3_21rocsparse_index_base_b.numbered_sgpr, 42
	.set _ZL33csrmvn_symm_large_adaptive_kernelIii21rocsparse_complex_numIdES1_S1_S1_EvbT_PKS2_N9rocsparse24const_host_device_scalarIT4_EES4_PKT0_PKT1_PKT2_S8_PT3_21rocsparse_index_base_b.num_named_barrier, 0
	.set _ZL33csrmvn_symm_large_adaptive_kernelIii21rocsparse_complex_numIdES1_S1_S1_EvbT_PKS2_N9rocsparse24const_host_device_scalarIT4_EES4_PKT0_PKT1_PKT2_S8_PT3_21rocsparse_index_base_b.private_seg_size, 0
	.set _ZL33csrmvn_symm_large_adaptive_kernelIii21rocsparse_complex_numIdES1_S1_S1_EvbT_PKS2_N9rocsparse24const_host_device_scalarIT4_EES4_PKT0_PKT1_PKT2_S8_PT3_21rocsparse_index_base_b.uses_vcc, 1
	.set _ZL33csrmvn_symm_large_adaptive_kernelIii21rocsparse_complex_numIdES1_S1_S1_EvbT_PKS2_N9rocsparse24const_host_device_scalarIT4_EES4_PKT0_PKT1_PKT2_S8_PT3_21rocsparse_index_base_b.uses_flat_scratch, 0
	.set _ZL33csrmvn_symm_large_adaptive_kernelIii21rocsparse_complex_numIdES1_S1_S1_EvbT_PKS2_N9rocsparse24const_host_device_scalarIT4_EES4_PKT0_PKT1_PKT2_S8_PT3_21rocsparse_index_base_b.has_dyn_sized_stack, 0
	.set _ZL33csrmvn_symm_large_adaptive_kernelIii21rocsparse_complex_numIdES1_S1_S1_EvbT_PKS2_N9rocsparse24const_host_device_scalarIT4_EES4_PKT0_PKT1_PKT2_S8_PT3_21rocsparse_index_base_b.has_recursion, 0
	.set _ZL33csrmvn_symm_large_adaptive_kernelIii21rocsparse_complex_numIdES1_S1_S1_EvbT_PKS2_N9rocsparse24const_host_device_scalarIT4_EES4_PKT0_PKT1_PKT2_S8_PT3_21rocsparse_index_base_b.has_indirect_call, 0
	.section	.AMDGPU.csdata,"",@progbits
; Kernel info:
; codeLenInByte = 2024
; TotalNumSgprs: 48
; NumVgprs: 26
; NumAgprs: 0
; TotalNumVgprs: 26
; ScratchSize: 0
; MemoryBound: 0
; FloatMode: 240
; IeeeMode: 1
; LDSByteSize: 16384 bytes/workgroup (compile time only)
; SGPRBlocks: 5
; VGPRBlocks: 3
; NumSGPRsForWavesPerEU: 48
; NumVGPRsForWavesPerEU: 26
; AccumOffset: 28
; Occupancy: 8
; WaveLimiterHint : 1
; COMPUTE_PGM_RSRC2:SCRATCH_EN: 0
; COMPUTE_PGM_RSRC2:USER_SGPR: 2
; COMPUTE_PGM_RSRC2:TRAP_HANDLER: 0
; COMPUTE_PGM_RSRC2:TGID_X_EN: 1
; COMPUTE_PGM_RSRC2:TGID_Y_EN: 0
; COMPUTE_PGM_RSRC2:TGID_Z_EN: 0
; COMPUTE_PGM_RSRC2:TIDIG_COMP_CNT: 0
; COMPUTE_PGM_RSRC3_GFX90A:ACCUM_OFFSET: 6
; COMPUTE_PGM_RSRC3_GFX90A:TG_SPLIT: 0
	.section	.text._ZN9rocsparseL22csrmvn_adaptive_kernelIli21rocsparse_complex_numIdES2_S2_S2_EEvbT_PKS3_PjPKT0_NS_24const_host_device_scalarIT4_EES5_S9_PKT1_PKT2_SC_PT3_21rocsparse_index_base_b,"axG",@progbits,_ZN9rocsparseL22csrmvn_adaptive_kernelIli21rocsparse_complex_numIdES2_S2_S2_EEvbT_PKS3_PjPKT0_NS_24const_host_device_scalarIT4_EES5_S9_PKT1_PKT2_SC_PT3_21rocsparse_index_base_b,comdat
	.globl	_ZN9rocsparseL22csrmvn_adaptive_kernelIli21rocsparse_complex_numIdES2_S2_S2_EEvbT_PKS3_PjPKT0_NS_24const_host_device_scalarIT4_EES5_S9_PKT1_PKT2_SC_PT3_21rocsparse_index_base_b ; -- Begin function _ZN9rocsparseL22csrmvn_adaptive_kernelIli21rocsparse_complex_numIdES2_S2_S2_EEvbT_PKS3_PjPKT0_NS_24const_host_device_scalarIT4_EES5_S9_PKT1_PKT2_SC_PT3_21rocsparse_index_base_b
	.p2align	8
	.type	_ZN9rocsparseL22csrmvn_adaptive_kernelIli21rocsparse_complex_numIdES2_S2_S2_EEvbT_PKS3_PjPKT0_NS_24const_host_device_scalarIT4_EES5_S9_PKT1_PKT2_SC_PT3_21rocsparse_index_base_b,@function
_ZN9rocsparseL22csrmvn_adaptive_kernelIli21rocsparse_complex_numIdES2_S2_S2_EEvbT_PKS3_PjPKT0_NS_24const_host_device_scalarIT4_EES5_S9_PKT1_PKT2_SC_PT3_21rocsparse_index_base_b: ; @_ZN9rocsparseL22csrmvn_adaptive_kernelIli21rocsparse_complex_numIdES2_S2_S2_EEvbT_PKS3_PjPKT0_NS_24const_host_device_scalarIT4_EES5_S9_PKT1_PKT2_SC_PT3_21rocsparse_index_base_b
; %bb.0:
	s_load_dwordx2 s[4:5], s[0:1], 0x28
	s_load_dwordx2 s[44:45], s[0:1], 0x70
	s_add_u32 s3, s0, 40
	s_addc_u32 s8, s1, 0
	s_add_u32 s9, s0, 0x58
	s_load_dwordx2 s[6:7], s[0:1], 0x58
	s_addc_u32 s10, s1, 0
	s_waitcnt lgkmcnt(0)
	s_bitcmp1_b32 s45, 0
	s_cselect_b32 s5, s8, s5
	s_cselect_b32 s3, s3, s4
	v_mov_b32_e32 v2, s3
	v_mov_b32_e32 v3, s5
	flat_load_dwordx4 v[6:9], v[2:3]
	s_cselect_b32 s3, s10, s7
	s_cselect_b32 s4, s9, s6
	v_mov_b32_e32 v2, s4
	v_mov_b32_e32 v3, s3
	flat_load_dwordx4 v[2:5], v[2:3]
	s_waitcnt vmcnt(0) lgkmcnt(0)
	v_cmp_eq_f64_e32 vcc, 0, v[6:7]
	v_cmp_eq_f64_e64 s[4:5], 0, v[8:9]
	s_and_b64 s[8:9], vcc, s[4:5]
	s_mov_b64 s[4:5], -1
	s_and_saveexec_b64 s[6:7], s[8:9]
; %bb.1:
	v_cmp_neq_f64_e32 vcc, 1.0, v[2:3]
	v_cmp_neq_f64_e64 s[4:5], 0, v[4:5]
	s_or_b64 s[4:5], vcc, s[4:5]
	s_orn2_b64 s[4:5], s[4:5], exec
; %bb.2:
	s_or_b64 exec, exec, s[6:7]
	s_and_saveexec_b64 s[6:7], s[4:5]
	s_cbranch_execz .LBB37_115
; %bb.3:
	s_load_dwordx2 s[6:7], s[0:1], 0x20
	s_load_dword s3, s[0:1], 0x0
	s_load_dwordx2 s[8:9], s[0:1], 0x10
	s_waitcnt lgkmcnt(0)
	s_bitcmp1_b32 s3, 0
	s_cselect_b64 s[4:5], -1, 0
	s_ashr_i32 s3, s2, 31
	s_lshl_b64 s[10:11], s[2:3], 3
	s_add_u32 s8, s8, s10
	s_addc_u32 s9, s9, s11
	s_load_dwordx4 s[36:39], s[8:9], 0x0
	s_load_dwordx2 s[34:35], s[0:1], 0x68
	s_load_dwordx8 s[24:31], s[0:1], 0x38
	s_lshl_b64 s[46:47], s[2:3], 2
	s_waitcnt lgkmcnt(0)
	s_sub_i32 s3, s38, s36
	s_add_u32 s6, s6, s46
	s_addc_u32 s7, s7, s47
	s_lshl_b64 s[8:9], s[36:37], 3
	s_add_u32 s42, s24, s8
	s_addc_u32 s43, s25, s9
	s_load_dword s33, s[6:7], 0x0
	s_load_dwordx2 s[40:41], s[42:43], 0x0
	s_cmp_lt_i32 s3, 2
	s_mov_b64 s[6:7], -1
	s_cbranch_scc0 .LBB37_71
; %bb.4:
	s_cmp_lg_u32 s3, 1
	s_cselect_b64 s[6:7], -1, 0
	s_waitcnt lgkmcnt(0)
	s_cmp_lg_u32 s33, 0
	s_cselect_b64 s[8:9], -1, 0
	s_or_b64 s[8:9], s[6:7], s[8:9]
	s_mov_b64 s[6:7], -1
	s_and_b64 vcc, exec, s[8:9]
	s_cbranch_vccnz .LBB37_33
; %bb.5:
	v_mov_b64_e32 v[10:11], s[36:37]
	v_cmp_le_i64_e32 vcc, s[38:39], v[10:11]
	s_cbranch_vccnz .LBB37_32
; %bb.6:
	v_subrev_co_u32_e32 v14, vcc, s44, v0
	v_cmp_neq_f64_e64 s[22:23], 0, v[4:5]
	s_nop 0
	v_subb_co_u32_e64 v15, s[6:7], 0, 0, vcc
	v_cmp_neq_f64_e32 vcc, 0, v[2:3]
	s_or_b64 s[22:23], vcc, s[22:23]
	s_movk_i32 s3, 0x80
	s_add_u32 s48, s28, 8
	v_mov_b32_e32 v1, 0
	v_lshlrev_b32_e32 v24, 4, v0
	v_cmp_gt_u32_e64 s[6:7], s3, v0
	v_cmp_gt_u32_e64 s[8:9], 64, v0
	;; [unrolled: 1-line block ×7, first 2 shown]
	v_cmp_eq_u32_e64 s[20:21], 0, v0
	s_addc_u32 s49, s29, 0
	s_mov_b64 s[50:51], 0x100
	s_mov_b64 s[52:53], 0x1000
	;; [unrolled: 1-line block ×3, first 2 shown]
	v_mov_b64_e32 v[16:17], s[38:39]
	s_mov_b64 s[56:57], s[36:37]
	s_branch .LBB37_9
.LBB37_7:                               ;   in Loop: Header=BB37_9 Depth=1
	s_or_b64 exec, exec, s[60:61]
	s_lshl_b64 s[60:61], s[56:57], 4
	s_add_u32 s60, s34, s60
	s_addc_u32 s61, s35, s61
	s_waitcnt lgkmcnt(0)
	global_store_dwordx4 v1, v[10:13], s[60:61]
.LBB37_8:                               ;   in Loop: Header=BB37_9 Depth=1
	s_or_b64 exec, exec, s[58:59]
	s_add_u32 s56, s56, 1
	s_addc_u32 s57, s57, 0
	v_cmp_ge_i64_e32 vcc, s[56:57], v[16:17]
	s_cbranch_vccnz .LBB37_32
.LBB37_9:                               ; =>This Loop Header: Depth=1
                                        ;     Child Loop BB37_11 Depth 2
	s_lshl_b64 s[58:59], s[56:57], 3
	s_add_u32 s58, s24, s58
	s_addc_u32 s59, s25, s59
	s_load_dwordx4 s[64:67], s[58:59], 0x0
	v_mov_b64_e32 v[12:13], 0
	v_mov_b64_e32 v[10:11], 0
	s_waitcnt lgkmcnt(0)
	s_sub_u32 s60, s66, s44
	v_lshl_add_u64 v[18:19], s[64:65], 0, v[14:15]
	s_subb_u32 s61, s67, 0
	v_cmp_gt_i64_e32 vcc, s[60:61], v[18:19]
	s_and_saveexec_b64 s[58:59], vcc
	s_cbranch_execz .LBB37_13
; %bb.10:                               ;   in Loop: Header=BB37_9 Depth=1
	v_mov_b64_e32 v[12:13], 0
	v_lshl_add_u64 v[20:21], v[18:19], 4, s[48:49]
	v_lshl_add_u64 v[22:23], v[18:19], 2, s[26:27]
	s_mov_b64 s[62:63], 0
	v_mov_b64_e32 v[10:11], v[12:13]
.LBB37_11:                              ;   Parent Loop BB37_9 Depth=1
                                        ; =>  This Inner Loop Header: Depth=2
	global_load_dword v25, v[22:23], off
	global_load_dwordx4 v[26:29], v[20:21], off offset:-8
	v_lshl_add_u64 v[18:19], v[18:19], 0, s[50:51]
	v_cmp_le_i64_e32 vcc, s[60:61], v[18:19]
	v_lshl_add_u64 v[20:21], v[20:21], 0, s[52:53]
	v_lshl_add_u64 v[22:23], v[22:23], 0, s[54:55]
	s_or_b64 s[62:63], vcc, s[62:63]
	s_waitcnt vmcnt(1)
	v_subrev_u32_e32 v30, s44, v25
	v_ashrrev_i32_e32 v31, 31, v30
	v_lshl_add_u64 v[30:31], v[30:31], 4, s[30:31]
	global_load_dwordx4 v[30:33], v[30:31], off
	s_waitcnt vmcnt(1)
	v_xor_b32_e32 v25, 0x80000000, v29
	v_cndmask_b32_e64 v29, v29, v25, s[4:5]
	v_mul_f64 v[34:35], v[28:29], -v[8:9]
	v_mul_f64 v[28:29], v[6:7], v[28:29]
	v_fmac_f64_e32 v[34:35], v[6:7], v[26:27]
	v_fmac_f64_e32 v[28:29], v[8:9], v[26:27]
	s_waitcnt vmcnt(0)
	v_fmac_f64_e32 v[10:11], v[34:35], v[30:31]
	v_fmac_f64_e32 v[12:13], v[28:29], v[30:31]
	v_fma_f64 v[10:11], -v[28:29], v[32:33], v[10:11]
	v_fmac_f64_e32 v[12:13], v[34:35], v[32:33]
	s_andn2_b64 exec, exec, s[62:63]
	s_cbranch_execnz .LBB37_11
; %bb.12:                               ;   in Loop: Header=BB37_9 Depth=1
	s_or_b64 exec, exec, s[62:63]
.LBB37_13:                              ;   in Loop: Header=BB37_9 Depth=1
	s_or_b64 exec, exec, s[58:59]
	ds_write_b128 v24, v[10:13]
	s_waitcnt lgkmcnt(0)
	s_barrier
	s_and_saveexec_b64 s[58:59], s[6:7]
	s_cbranch_execz .LBB37_15
; %bb.14:                               ;   in Loop: Header=BB37_9 Depth=1
	ds_read_b128 v[10:13], v24 offset:2048
	ds_read_b128 v[18:21], v24
	s_waitcnt lgkmcnt(0)
	v_add_f64 v[10:11], v[10:11], v[18:19]
	v_add_f64 v[12:13], v[12:13], v[20:21]
	ds_write_b128 v24, v[10:13]
.LBB37_15:                              ;   in Loop: Header=BB37_9 Depth=1
	s_or_b64 exec, exec, s[58:59]
	s_waitcnt lgkmcnt(0)
	s_barrier
	s_and_saveexec_b64 s[58:59], s[8:9]
	s_cbranch_execz .LBB37_17
; %bb.16:                               ;   in Loop: Header=BB37_9 Depth=1
	ds_read_b128 v[10:13], v24 offset:1024
	ds_read_b128 v[18:21], v24
	s_waitcnt lgkmcnt(0)
	v_add_f64 v[10:11], v[10:11], v[18:19]
	v_add_f64 v[12:13], v[12:13], v[20:21]
	ds_write_b128 v24, v[10:13]
.LBB37_17:                              ;   in Loop: Header=BB37_9 Depth=1
	s_or_b64 exec, exec, s[58:59]
	;; [unrolled: 13-line block ×6, first 2 shown]
	s_waitcnt lgkmcnt(0)
	s_barrier
	s_and_saveexec_b64 s[58:59], s[18:19]
	s_cbranch_execz .LBB37_27
; %bb.26:                               ;   in Loop: Header=BB37_9 Depth=1
	ds_read_b128 v[10:13], v24
	ds_read_b128 v[18:21], v24 offset:32
	s_waitcnt lgkmcnt(0)
	v_add_f64 v[10:11], v[18:19], v[10:11]
	v_add_f64 v[12:13], v[20:21], v[12:13]
	ds_write_b128 v24, v[10:13]
.LBB37_27:                              ;   in Loop: Header=BB37_9 Depth=1
	s_or_b64 exec, exec, s[58:59]
	s_waitcnt lgkmcnt(0)
	s_barrier
	s_and_saveexec_b64 s[58:59], s[20:21]
	s_cbranch_execz .LBB37_29
; %bb.28:                               ;   in Loop: Header=BB37_9 Depth=1
	ds_read_b128 v[10:13], v1
	ds_read_b128 v[18:21], v1 offset:16
	s_waitcnt lgkmcnt(0)
	v_add_f64 v[10:11], v[18:19], v[10:11]
	v_add_f64 v[12:13], v[20:21], v[12:13]
	ds_write_b128 v1, v[10:13]
.LBB37_29:                              ;   in Loop: Header=BB37_9 Depth=1
	s_or_b64 exec, exec, s[58:59]
	s_waitcnt lgkmcnt(0)
	s_barrier
	s_and_saveexec_b64 s[58:59], s[20:21]
	s_cbranch_execz .LBB37_8
; %bb.30:                               ;   in Loop: Header=BB37_9 Depth=1
	ds_read_b128 v[10:13], v1
	s_and_saveexec_b64 s[60:61], s[22:23]
	s_cbranch_execz .LBB37_7
; %bb.31:                               ;   in Loop: Header=BB37_9 Depth=1
	s_lshl_b64 s[62:63], s[56:57], 4
	s_add_u32 s62, s34, s62
	s_addc_u32 s63, s35, s63
	global_load_dwordx4 v[18:21], v1, s[62:63]
	s_waitcnt vmcnt(0) lgkmcnt(0)
	v_fmac_f64_e32 v[10:11], v[2:3], v[18:19]
	v_fmac_f64_e32 v[12:13], v[4:5], v[18:19]
	v_fma_f64 v[10:11], -v[4:5], v[20:21], v[10:11]
	v_fmac_f64_e32 v[12:13], v[2:3], v[20:21]
	s_branch .LBB37_7
.LBB37_32:
	s_mov_b64 s[6:7], 0
.LBB37_33:
	s_andn2_b64 vcc, exec, s[6:7]
	s_cbranch_vccnz .LBB37_70
; %bb.34:
	s_load_dwordx2 s[6:7], s[0:1], 0x18
	s_sub_i32 s8, s2, s33
	v_mov_b32_e32 v1, 0
	v_or_b32_e32 v10, s33, v0
	v_cmp_eq_u32_e32 vcc, 0, v10
	s_waitcnt lgkmcnt(0)
	s_add_u32 s2, s6, s46
	s_addc_u32 s3, s7, s47
	global_load_dword v20, v1, s[2:3]
	v_mov_b64_e32 v[10:11], 0
	v_mov_b64_e32 v[12:13], 0
	s_and_saveexec_b64 s[10:11], vcc
	s_cbranch_execz .LBB37_38
; %bb.35:
	s_lshl_b64 s[14:15], s[36:37], 4
	s_add_u32 s14, s34, s14
	s_addc_u32 s15, s35, s15
	global_load_dwordx4 v[14:17], v1, s[14:15]
	s_mov_b64 s[12:13], exec
	v_mbcnt_lo_u32_b32 v10, s12, 0
	v_add_f64 v[18:19], v[2:3], -1.0
	v_mbcnt_hi_u32_b32 v21, s13, v10
	v_cmp_eq_u32_e32 vcc, 0, v21
	s_waitcnt vmcnt(0) expcnt(0) lgkmcnt(0)
	v_mul_f64 v[10:11], v[16:17], -v[4:5]
	v_mul_f64 v[12:13], v[18:19], v[16:17]
	s_and_saveexec_b64 s[14:15], vcc
	s_cbranch_execz .LBB37_37
; %bb.36:
	s_ashr_i32 s9, s8, 31
	s_lshl_b64 s[16:17], s[8:9], 2
	s_add_u32 s16, s6, s16
	s_addc_u32 s17, s7, s17
	s_bcnt1_i32_b64 s9, s[12:13]
	s_and_b32 s9, s9, 1
	v_mov_b32_e32 v16, 0
	v_mov_b32_e32 v17, s9
	global_atomic_xor v16, v17, s[16:17]
.LBB37_37:
	s_or_b64 exec, exec, s[14:15]
	v_fmac_f64_e32 v[10:11], v[18:19], v[14:15]
	v_fmac_f64_e32 v[12:13], v[4:5], v[14:15]
.LBB37_38:
	s_or_b64 exec, exec, s[10:11]
	s_load_dwordx2 s[10:11], s[42:43], 0x8
	s_sub_u32 s13, s40, s44
	s_mul_i32 s12, s33, 0xc00
	s_subb_u32 s15, s41, 0
	s_mul_hi_i32 s9, s33, 0xc00
	s_add_u32 s14, s13, s12
	s_addc_u32 s15, s15, s9
	s_waitcnt lgkmcnt(0)
	s_sub_u32 s12, s10, s44
	s_subb_u32 s13, s11, 0
	v_lshl_add_u64 v[14:15], s[14:15], 0, v[0:1]
	v_cmp_gt_i64_e32 vcc, s[12:13], v[14:15]
	s_and_saveexec_b64 s[10:11], vcc
	s_cbranch_execz .LBB37_42
; %bb.39:
	s_add_u32 s14, s14, 0xc00
	s_addc_u32 s15, s15, 0
	v_mov_b64_e32 v[16:17], s[12:13]
	v_cmp_lt_i64_e32 vcc, s[14:15], v[16:17]
	s_and_b64 s[16:17], vcc, exec
	v_lshl_add_u64 v[16:17], v[14:15], 4, s[28:29]
	s_cselect_b32 s13, s15, s13
	s_cselect_b32 s12, s14, s12
	v_lshl_add_u64 v[16:17], v[16:17], 0, 8
	v_lshl_add_u64 v[18:19], v[14:15], 2, s[26:27]
	s_mov_b64 s[14:15], 0
	s_mov_b64 s[16:17], 0x100
	;; [unrolled: 1-line block ×4, first 2 shown]
.LBB37_40:                              ; =>This Inner Loop Header: Depth=1
	global_load_dword v1, v[18:19], off
	global_load_dwordx4 v[22:25], v[16:17], off offset:-8
	v_lshl_add_u64 v[14:15], v[14:15], 0, s[16:17]
	v_cmp_le_i64_e32 vcc, s[12:13], v[14:15]
	v_lshl_add_u64 v[16:17], v[16:17], 0, s[18:19]
	v_lshl_add_u64 v[18:19], v[18:19], 0, s[20:21]
	s_or_b64 s[14:15], vcc, s[14:15]
	s_waitcnt vmcnt(1)
	v_subrev_u32_e32 v26, s44, v1
	v_ashrrev_i32_e32 v27, 31, v26
	v_lshl_add_u64 v[26:27], v[26:27], 4, s[30:31]
	global_load_dwordx4 v[26:29], v[26:27], off
	s_waitcnt vmcnt(1)
	v_xor_b32_e32 v1, 0x80000000, v25
	v_cndmask_b32_e64 v25, v25, v1, s[4:5]
	v_mul_f64 v[30:31], v[24:25], -v[8:9]
	v_mul_f64 v[24:25], v[6:7], v[24:25]
	v_fmac_f64_e32 v[30:31], v[6:7], v[22:23]
	v_fmac_f64_e32 v[24:25], v[8:9], v[22:23]
	s_waitcnt vmcnt(0)
	v_fmac_f64_e32 v[10:11], v[30:31], v[26:27]
	v_fmac_f64_e32 v[12:13], v[24:25], v[26:27]
	v_fma_f64 v[10:11], -v[24:25], v[28:29], v[10:11]
	v_fmac_f64_e32 v[12:13], v[30:31], v[28:29]
	s_andn2_b64 exec, exec, s[14:15]
	s_cbranch_execnz .LBB37_40
; %bb.41:
	s_or_b64 exec, exec, s[14:15]
.LBB37_42:
	s_or_b64 exec, exec, s[10:11]
	s_movk_i32 s9, 0x80
	v_lshlrev_b32_e32 v1, 4, v0
	v_cmp_gt_u32_e32 vcc, s9, v0
	ds_write_b128 v1, v[10:13]
	s_waitcnt lgkmcnt(0)
	s_barrier
	s_and_saveexec_b64 s[10:11], vcc
	s_cbranch_execz .LBB37_44
; %bb.43:
	ds_read_b128 v[10:13], v1 offset:2048
	ds_read_b128 v[14:17], v1
	s_waitcnt lgkmcnt(0)
	v_add_f64 v[10:11], v[10:11], v[14:15]
	v_add_f64 v[12:13], v[12:13], v[16:17]
	ds_write_b128 v1, v[10:13]
.LBB37_44:
	s_or_b64 exec, exec, s[10:11]
	v_cmp_gt_u32_e32 vcc, 64, v0
	s_waitcnt lgkmcnt(0)
	s_barrier
	s_and_saveexec_b64 s[10:11], vcc
	s_cbranch_execz .LBB37_46
; %bb.45:
	ds_read_b128 v[10:13], v1 offset:1024
	ds_read_b128 v[14:17], v1
	s_waitcnt lgkmcnt(0)
	v_add_f64 v[10:11], v[10:11], v[14:15]
	v_add_f64 v[12:13], v[12:13], v[16:17]
	ds_write_b128 v1, v[10:13]
.LBB37_46:
	s_or_b64 exec, exec, s[10:11]
	v_cmp_gt_u32_e32 vcc, 32, v0
	;; [unrolled: 14-line block ×6, first 2 shown]
	s_waitcnt lgkmcnt(0)
	s_barrier
	s_and_saveexec_b64 s[10:11], vcc
	s_cbranch_execz .LBB37_56
; %bb.55:
	ds_read_b128 v[10:13], v1
	ds_read_b128 v[14:17], v1 offset:32
	s_waitcnt lgkmcnt(0)
	v_add_f64 v[10:11], v[14:15], v[10:11]
	v_add_f64 v[12:13], v[16:17], v[12:13]
	ds_write_b128 v1, v[10:13]
.LBB37_56:
	s_or_b64 exec, exec, s[10:11]
	v_cmp_eq_u32_e32 vcc, 0, v0
	s_waitcnt lgkmcnt(0)
	s_barrier
	s_and_saveexec_b64 s[10:11], vcc
	s_cbranch_execz .LBB37_58
; %bb.57:
	v_mov_b32_e32 v1, 0
	ds_read_b128 v[10:13], v1
	ds_read_b128 v[14:17], v1 offset:16
	s_waitcnt lgkmcnt(0)
	v_add_f64 v[10:11], v[14:15], v[10:11]
	v_add_f64 v[12:13], v[16:17], v[12:13]
	ds_write_b128 v1, v[10:13]
.LBB37_58:
	s_or_b64 exec, exec, s[10:11]
	s_waitcnt lgkmcnt(0)
	s_barrier
	s_and_saveexec_b64 s[10:11], vcc
	s_cbranch_execz .LBB37_69
; %bb.59:
	s_cmp_eq_u32 s33, 0
	s_cbranch_scc1 .LBB37_65
; %bb.60:
	s_ashr_i32 s9, s8, 31
	s_lshl_b64 s[8:9], s[8:9], 2
	s_add_u32 s6, s6, s8
	s_addc_u32 s7, s7, s9
	v_mov_b32_e32 v1, 0
	s_branch .LBB37_62
.LBB37_61:                              ;   in Loop: Header=BB37_62 Depth=1
	s_or_b64 exec, exec, s[8:9]
	s_waitcnt vmcnt(0)
	v_readfirstlane_b32 s8, v10
	s_nop 1
	v_cmp_eq_u32_e32 vcc, s8, v20
	s_cbranch_vccz .LBB37_64
.LBB37_62:                              ; =>This Inner Loop Header: Depth=1
	v_mbcnt_lo_u32_b32 v10, exec_lo, 0
	v_mbcnt_hi_u32_b32 v10, exec_hi, v10
	v_cmp_eq_u32_e32 vcc, 0, v10
                                        ; implicit-def: $vgpr10
	s_and_saveexec_b64 s[8:9], vcc
	s_cbranch_execz .LBB37_61
; %bb.63:                               ;   in Loop: Header=BB37_62 Depth=1
	global_load_dword v10, v1, s[6:7] sc1
	s_branch .LBB37_61
.LBB37_64:
	v_mov_b32_e32 v1, 0
	global_load_ushort v10, v1, s[2:3]
	s_waitcnt vmcnt(0)
	v_xor_b32_e32 v10, 1, v10
	global_store_short v1, v10, s[2:3]
.LBB37_65:
	v_mov_b32_e32 v1, 0
	ds_read_b128 v[10:13], v1
	s_mov_b64 s[6:7], exec
	s_lshl_b64 s[2:3], s[36:37], 4
	v_mbcnt_lo_u32_b32 v14, s6, 0
	s_add_u32 s2, s34, s2
	v_mbcnt_hi_u32_b32 v14, s7, v14
	s_addc_u32 s3, s35, s3
	v_cmp_eq_u32_e32 vcc, 0, v14
	s_and_saveexec_b64 s[8:9], vcc
	s_cbranch_execz .LBB37_67
; %bb.66:
	s_bcnt1_i32_b64 s6, s[6:7]
	v_cvt_f64_u32_e32 v[14:15], s6
	s_waitcnt lgkmcnt(0)
	v_mul_f64 v[10:11], v[10:11], v[14:15]
	global_atomic_add_f64 v1, v[10:11], s[2:3]
.LBB37_67:
	s_or_b64 exec, exec, s[8:9]
	s_mov_b64 s[6:7], exec
	v_mbcnt_lo_u32_b32 v1, s6, 0
	v_mbcnt_hi_u32_b32 v1, s7, v1
	v_cmp_eq_u32_e32 vcc, 0, v1
	s_and_b64 s[8:9], exec, vcc
	s_mov_b64 exec, s[8:9]
	s_cbranch_execz .LBB37_69
; %bb.68:
	s_bcnt1_i32_b64 s6, s[6:7]
	s_waitcnt lgkmcnt(0)
	v_cvt_f64_u32_e32 v[10:11], s6
	v_mul_f64 v[10:11], v[12:13], v[10:11]
	v_mov_b32_e32 v1, 0
	global_atomic_add_f64 v1, v[10:11], s[2:3] offset:8
.LBB37_69:
	s_or_b64 exec, exec, s[10:11]
.LBB37_70:
	s_mov_b64 s[6:7], 0
.LBB37_71:
	s_andn2_b64 vcc, exec, s[6:7]
	s_cbranch_vccnz .LBB37_115
; %bb.72:
	s_load_dwordx2 s[0:1], s[0:1], 0x8
	s_waitcnt lgkmcnt(0)
	v_subrev_co_u32_e32 v10, vcc, s44, v0
	v_mov_b32_e32 v1, 0
	s_nop 0
	v_subb_co_u32_e64 v11, s[2:3], 0, 0, vcc
	v_lshl_add_u64 v[10:11], s[40:41], 0, v[10:11]
	s_mov_b64 s[2:3], 0x300
	v_lshl_add_u64 v[12:13], v[10:11], 0, s[2:3]
	v_cmp_le_i64_e32 vcc, s[0:1], v[12:13]
	s_and_saveexec_b64 s[0:1], vcc
	s_xor_b64 s[0:1], exec, s[0:1]
	s_cbranch_execz .LBB37_77
; %bb.73:
	s_lshl_b64 s[2:3], s[38:39], 3
	s_add_u32 s2, s24, s2
	s_addc_u32 s3, s25, s3
	s_load_dwordx2 s[2:3], s[2:3], 0x0
	s_waitcnt lgkmcnt(0)
	s_sub_u32 s2, s2, s44
	s_subb_u32 s3, s3, 0
	v_cmp_gt_i64_e32 vcc, s[2:3], v[10:11]
	s_and_saveexec_b64 s[6:7], vcc
	s_cbranch_execz .LBB37_76
; %bb.74:
	v_lshl_add_u64 v[12:13], v[10:11], 4, s[28:29]
	v_lshlrev_b32_e32 v16, 4, v0
	v_lshl_add_u64 v[12:13], v[12:13], 0, 8
	v_lshl_add_u64 v[14:15], v[10:11], 2, s[26:27]
	s_mov_b64 s[8:9], 0
	s_mov_b64 s[10:11], 0x100
	;; [unrolled: 1-line block ×4, first 2 shown]
.LBB37_75:                              ; =>This Inner Loop Header: Depth=1
	global_load_dword v17, v[14:15], off
	global_load_dwordx4 v[18:21], v[12:13], off offset:-8
	v_lshl_add_u64 v[10:11], v[10:11], 0, s[10:11]
	v_cmp_le_i64_e32 vcc, s[2:3], v[10:11]
	v_lshl_add_u64 v[12:13], v[12:13], 0, s[12:13]
	v_lshl_add_u64 v[14:15], v[14:15], 0, s[14:15]
	s_or_b64 s[8:9], vcc, s[8:9]
	s_waitcnt vmcnt(1)
	v_subrev_u32_e32 v22, s44, v17
	v_ashrrev_i32_e32 v23, 31, v22
	v_lshl_add_u64 v[22:23], v[22:23], 4, s[30:31]
	global_load_dwordx4 v[22:25], v[22:23], off
	s_waitcnt vmcnt(1)
	v_xor_b32_e32 v17, 0x80000000, v21
	v_cndmask_b32_e64 v21, v21, v17, s[4:5]
	v_mul_f64 v[26:27], v[20:21], -v[8:9]
	v_mul_f64 v[28:29], v[6:7], v[20:21]
	v_fmac_f64_e32 v[26:27], v[6:7], v[18:19]
	v_fmac_f64_e32 v[28:29], v[8:9], v[18:19]
	s_waitcnt vmcnt(0)
	v_mul_f64 v[18:19], v[24:25], -v[28:29]
	v_mul_f64 v[20:21], v[24:25], v[26:27]
	v_fmac_f64_e32 v[18:19], v[26:27], v[22:23]
	v_fmac_f64_e32 v[20:21], v[28:29], v[22:23]
	ds_write_b128 v16, v[18:21]
	v_add_u32_e32 v16, 0x1000, v16
	s_andn2_b64 exec, exec, s[8:9]
	s_cbranch_execnz .LBB37_75
.LBB37_76:
	s_or_b64 exec, exec, s[6:7]
                                        ; implicit-def: $vgpr10_vgpr11
                                        ; implicit-def: $vgpr8_vgpr9
.LBB37_77:
	s_or_saveexec_b64 s[0:1], s[0:1]
	v_lshlrev_b32_e32 v16, 4, v0
	s_xor_b64 exec, exec, s[0:1]
	s_cbranch_execz .LBB37_79
; %bb.78:
	v_lshl_add_u64 v[12:13], v[10:11], 2, s[26:27]
	global_load_dword v17, v[12:13], off
	global_load_dword v32, v[12:13], off offset:1024
	global_load_dword v33, v[12:13], off offset:2048
	;; [unrolled: 1-line block ×3, first 2 shown]
	v_lshl_add_u64 v[14:15], v[10:11], 4, s[28:29]
	s_movk_i32 s2, 0x2000
	v_add_co_u32_e32 v30, vcc, s2, v14
	s_movk_i32 s3, 0x3000
	s_nop 0
	v_addc_co_u32_e32 v31, vcc, 0, v15, vcc
	global_load_dwordx4 v[10:13], v[14:15], off
	v_add_co_u32_e32 v14, vcc, s3, v14
	s_waitcnt vmcnt(3)
	v_subrev_u32_e32 v34, s44, v32
	v_addc_co_u32_e32 v15, vcc, 0, v15, vcc
	global_load_dwordx4 v[18:21], v[30:31], off offset:-4096
	global_load_dwordx4 v[22:25], v[30:31], off
	global_load_dwordx4 v[26:29], v[14:15], off
	v_subrev_u32_e32 v14, s44, v17
	v_ashrrev_i32_e32 v15, 31, v14
	s_waitcnt vmcnt(5)
	v_subrev_u32_e32 v38, s44, v33
	s_waitcnt vmcnt(4)
	v_subrev_u32_e32 v42, s44, v35
	v_ashrrev_i32_e32 v35, 31, v34
	v_lshl_add_u64 v[14:15], v[14:15], 4, s[30:31]
	v_ashrrev_i32_e32 v39, 31, v38
	global_load_dwordx4 v[30:33], v[14:15], off
	v_lshl_add_u64 v[14:15], v[34:35], 4, s[30:31]
	v_ashrrev_i32_e32 v43, 31, v42
	global_load_dwordx4 v[34:37], v[14:15], off
	v_lshl_add_u64 v[14:15], v[38:39], 4, s[30:31]
	global_load_dwordx4 v[38:41], v[14:15], off
	v_lshl_add_u64 v[14:15], v[42:43], 4, s[30:31]
	global_load_dwordx4 v[42:45], v[14:15], off
	s_waitcnt vmcnt(7)
	v_xor_b32_e32 v14, 0x80000000, v13
	v_cndmask_b32_e64 v13, v13, v14, s[4:5]
	v_mul_f64 v[14:15], v[12:13], -v[8:9]
	v_mul_f64 v[46:47], v[6:7], v[12:13]
	v_fmac_f64_e32 v[14:15], v[6:7], v[10:11]
	v_fmac_f64_e32 v[46:47], v[8:9], v[10:11]
	s_waitcnt vmcnt(6)
	v_xor_b32_e32 v17, 0x80000000, v21
	s_waitcnt vmcnt(5)
	v_xor_b32_e32 v48, 0x80000000, v25
	;; [unrolled: 2-line block ×3, first 2 shown]
	v_cndmask_b32_e64 v21, v21, v17, s[4:5]
	v_cndmask_b32_e64 v25, v25, v48, s[4:5]
	;; [unrolled: 1-line block ×3, first 2 shown]
	v_mul_f64 v[48:49], v[20:21], -v[8:9]
	v_mul_f64 v[50:51], v[6:7], v[20:21]
	v_mul_f64 v[52:53], v[24:25], -v[8:9]
	v_mul_f64 v[54:55], v[6:7], v[24:25]
	;; [unrolled: 2-line block ×3, first 2 shown]
	v_fmac_f64_e32 v[48:49], v[6:7], v[18:19]
	v_fmac_f64_e32 v[50:51], v[8:9], v[18:19]
	;; [unrolled: 1-line block ×6, first 2 shown]
	s_waitcnt vmcnt(3)
	v_mul_f64 v[6:7], v[32:33], -v[46:47]
	v_mul_f64 v[8:9], v[32:33], v[14:15]
	s_waitcnt vmcnt(2)
	v_mul_f64 v[10:11], v[36:37], -v[50:51]
	v_mul_f64 v[12:13], v[36:37], v[48:49]
	;; [unrolled: 3-line block ×4, first 2 shown]
	v_fmac_f64_e32 v[6:7], v[14:15], v[30:31]
	v_fmac_f64_e32 v[8:9], v[46:47], v[30:31]
	;; [unrolled: 1-line block ×8, first 2 shown]
	ds_write_b128 v16, v[6:9]
	ds_write_b128 v16, v[10:13] offset:4096
	ds_write_b128 v16, v[18:21] offset:8192
	;; [unrolled: 1-line block ×3, first 2 shown]
.LBB37_79:
	s_or_b64 exec, exec, s[0:1]
	s_cmp_lt_i32 s33, 2
	s_mov_b64 s[0:1], -1
	s_waitcnt lgkmcnt(0)
	s_barrier
	s_cbranch_scc0 .LBB37_90
; %bb.80:
	v_lshl_add_u64 v[14:15], s[36:37], 0, v[0:1]
	v_cmp_gt_i64_e32 vcc, s[38:39], v[14:15]
	s_and_saveexec_b64 s[2:3], vcc
	s_cbranch_execz .LBB37_89
; %bb.81:
	v_cmp_neq_f64_e32 vcc, 0, v[2:3]
	v_cmp_neq_f64_e64 s[0:1], 0, v[4:5]
	s_lshl_b32 s6, s40, 4
	s_mov_b64 s[4:5], 0
	s_or_b64 s[0:1], vcc, s[0:1]
	s_sub_i32 s12, 0, s6
	s_mov_b64 s[6:7], 0x100
	s_branch .LBB37_83
.LBB37_82:                              ;   in Loop: Header=BB37_83 Depth=1
	s_or_b64 exec, exec, s[8:9]
	v_lshl_add_u64 v[14:15], v[14:15], 0, s[6:7]
	v_cmp_le_i64_e32 vcc, s[38:39], v[14:15]
	s_or_b64 s[4:5], vcc, s[4:5]
	global_store_dwordx4 v[10:11], v[6:9], off
	s_andn2_b64 exec, exec, s[4:5]
	s_cbranch_execz .LBB37_89
.LBB37_83:                              ; =>This Loop Header: Depth=1
                                        ;     Child Loop BB37_85 Depth 2
	v_lshl_add_u64 v[6:7], v[14:15], 3, s[24:25]
	global_load_dwordx4 v[10:13], v[6:7], off
	v_mov_b64_e32 v[8:9], 0
	v_mov_b64_e32 v[6:7], 0
	s_waitcnt vmcnt(0)
	v_subrev_u32_e32 v1, s40, v10
	v_subrev_u32_e32 v11, s40, v12
	v_cmp_lt_i32_e32 vcc, v1, v11
	s_and_saveexec_b64 s[8:9], vcc
	s_cbranch_execz .LBB37_87
; %bb.84:                               ;   in Loop: Header=BB37_83 Depth=1
	v_mov_b64_e32 v[8:9], 0
	v_lshl_add_u32 v10, v10, 4, s12
	s_mov_b64 s[10:11], 0
	v_mov_b64_e32 v[6:7], v[8:9]
.LBB37_85:                              ;   Parent Loop BB37_83 Depth=1
                                        ; =>  This Inner Loop Header: Depth=2
	ds_read_b128 v[18:21], v10
	v_add_u32_e32 v1, 1, v1
	v_cmp_ge_i32_e32 vcc, v1, v11
	v_add_u32_e32 v10, 16, v10
	s_or_b64 s[10:11], vcc, s[10:11]
	s_waitcnt lgkmcnt(0)
	v_add_f64 v[6:7], v[6:7], v[18:19]
	v_add_f64 v[8:9], v[8:9], v[20:21]
	s_andn2_b64 exec, exec, s[10:11]
	s_cbranch_execnz .LBB37_85
; %bb.86:                               ;   in Loop: Header=BB37_83 Depth=1
	s_or_b64 exec, exec, s[10:11]
.LBB37_87:                              ;   in Loop: Header=BB37_83 Depth=1
	s_or_b64 exec, exec, s[8:9]
	v_lshl_add_u64 v[10:11], v[14:15], 4, s[34:35]
	s_and_saveexec_b64 s[8:9], s[0:1]
	s_cbranch_execz .LBB37_82
; %bb.88:                               ;   in Loop: Header=BB37_83 Depth=1
	global_load_dwordx4 v[18:21], v[10:11], off
	s_waitcnt vmcnt(0)
	v_fmac_f64_e32 v[6:7], v[2:3], v[18:19]
	v_fmac_f64_e32 v[8:9], v[4:5], v[18:19]
	v_fma_f64 v[6:7], -v[4:5], v[20:21], v[6:7]
	v_fmac_f64_e32 v[8:9], v[2:3], v[20:21]
	s_branch .LBB37_82
.LBB37_89:
	s_or_b64 exec, exec, s[2:3]
	s_mov_b64 s[0:1], 0
.LBB37_90:
	s_andn2_b64 vcc, exec, s[0:1]
	s_cbranch_vccnz .LBB37_115
; %bb.91:
	s_flbit_i32_b32 s0, s33
	s_xor_b32 s0, s0, 31
	v_lshrrev_b32_e32 v12, s0, v0
	v_mov_b32_e32 v13, 0
	v_lshl_add_u64 v[10:11], s[36:37], 0, v[12:13]
	s_add_i32 s0, s33, -1
	v_mov_b64_e32 v[6:7], 0
	v_and_b32_e32 v0, s0, v0
	v_cmp_le_i64_e32 vcc, s[38:39], v[10:11]
	v_cmp_gt_i64_e64 s[0:1], s[38:39], v[10:11]
	v_mov_b64_e32 v[8:9], v[6:7]
	s_and_saveexec_b64 s[2:3], s[0:1]
	s_cbranch_execz .LBB37_97
; %bb.92:
	v_lshlrev_b32_e32 v1, 3, v12
	global_load_dword v6, v1, s[42:43] offset:8
	global_load_dword v7, v1, s[42:43]
	v_mov_b64_e32 v[8:9], 0
	s_waitcnt vmcnt(1)
	v_subrev_u32_e32 v1, s40, v6
	s_waitcnt vmcnt(0)
	v_subrev_u32_e32 v6, s40, v7
	v_add_u32_e32 v12, v0, v6
	v_cmp_lt_i32_e64 s[0:1], v12, v1
	v_mov_b64_e32 v[6:7], 0
	s_and_saveexec_b64 s[4:5], s[0:1]
	s_cbranch_execz .LBB37_96
; %bb.93:
	v_mov_b64_e32 v[8:9], 0
	v_lshlrev_b32_e32 v13, 4, v12
	s_lshl_b32 s8, s33, 4
	s_mov_b64 s[6:7], 0
	v_mov_b64_e32 v[6:7], v[8:9]
.LBB37_94:                              ; =>This Inner Loop Header: Depth=1
	ds_read_b128 v[18:21], v13
	v_add_u32_e32 v12, s33, v12
	v_cmp_ge_i32_e64 s[0:1], v12, v1
	v_add_u32_e32 v13, s8, v13
	s_or_b64 s[6:7], s[0:1], s[6:7]
	s_waitcnt lgkmcnt(0)
	v_add_f64 v[6:7], v[6:7], v[18:19]
	v_add_f64 v[8:9], v[8:9], v[20:21]
	s_andn2_b64 exec, exec, s[6:7]
	s_cbranch_execnz .LBB37_94
; %bb.95:
	s_or_b64 exec, exec, s[6:7]
.LBB37_96:
	s_or_b64 exec, exec, s[4:5]
.LBB37_97:
	s_or_b64 exec, exec, s[2:3]
	s_cmpk_lt_u32 s33, 0x81
	s_barrier
	ds_write_b128 v16, v[6:9]
	s_waitcnt lgkmcnt(0)
	s_barrier
	s_cbranch_scc1 .LBB37_99
; %bb.98:
	ds_read_b128 v[12:15], v16 offset:2048
	s_waitcnt lgkmcnt(0)
	s_barrier
	v_add_f64 v[6:7], v[6:7], v[12:13]
	v_add_f64 v[8:9], v[8:9], v[14:15]
	ds_write_b128 v16, v[6:9]
.LBB37_99:
	s_cmpk_lt_u32 s33, 0x41
	s_waitcnt lgkmcnt(0)
	s_barrier
	s_cbranch_scc1 .LBB37_101
; %bb.100:
	ds_read_b128 v[12:15], v16 offset:1024
	s_waitcnt lgkmcnt(0)
	s_barrier
	v_add_f64 v[6:7], v[6:7], v[12:13]
	v_add_f64 v[8:9], v[8:9], v[14:15]
	ds_write_b128 v16, v[6:9]
.LBB37_101:
	s_cmp_lt_u32 s33, 33
	s_waitcnt lgkmcnt(0)
	s_barrier
	s_cbranch_scc1 .LBB37_103
; %bb.102:
	ds_read_b128 v[12:15], v16 offset:512
	s_waitcnt lgkmcnt(0)
	s_barrier
	v_add_f64 v[6:7], v[6:7], v[12:13]
	v_add_f64 v[8:9], v[8:9], v[14:15]
	ds_write_b128 v16, v[6:9]
.LBB37_103:
	s_cmp_lt_u32 s33, 17
	;; [unrolled: 12-line block ×4, first 2 shown]
	s_waitcnt lgkmcnt(0)
	s_barrier
	s_cbranch_scc1 .LBB37_109
; %bb.108:
	ds_read_b128 v[12:15], v16 offset:64
	s_waitcnt lgkmcnt(0)
	s_barrier
	v_add_f64 v[6:7], v[6:7], v[12:13]
	v_add_f64 v[8:9], v[8:9], v[14:15]
	ds_write_b128 v16, v[6:9]
.LBB37_109:
	s_cmp_eq_u32 s33, 2
	s_waitcnt lgkmcnt(0)
	s_barrier
	s_cbranch_scc1 .LBB37_111
; %bb.110:
	ds_read_b128 v[12:15], v16 offset:32
	s_waitcnt lgkmcnt(0)
	s_barrier
	v_add_f64 v[6:7], v[6:7], v[12:13]
	v_add_f64 v[8:9], v[8:9], v[14:15]
	ds_write_b128 v16, v[6:9]
.LBB37_111:
	s_waitcnt lgkmcnt(0)
	s_barrier
	ds_read_b128 v[12:15], v16 offset:16
	v_cmp_eq_u32_e64 s[0:1], 0, v0
	s_xor_b64 s[2:3], vcc, -1
	s_and_b64 s[0:1], s[0:1], s[2:3]
	s_waitcnt lgkmcnt(0)
	v_add_f64 v[6:7], v[6:7], v[12:13]
	v_add_f64 v[8:9], v[8:9], v[14:15]
	s_barrier
	ds_write_b128 v16, v[6:9]
	s_and_b64 exec, exec, s[0:1]
	s_cbranch_execz .LBB37_115
; %bb.112:
	v_cmp_neq_f64_e32 vcc, 0, v[2:3]
	v_cmp_neq_f64_e64 s[0:1], 0, v[4:5]
	s_or_b64 s[2:3], vcc, s[0:1]
	v_lshl_add_u64 v[0:1], v[10:11], 4, s[34:35]
	s_and_saveexec_b64 s[0:1], s[2:3]
	s_cbranch_execz .LBB37_114
; %bb.113:
	global_load_dwordx4 v[10:13], v[0:1], off
	s_waitcnt vmcnt(0)
	v_fmac_f64_e32 v[6:7], v[2:3], v[10:11]
	v_fmac_f64_e32 v[8:9], v[4:5], v[10:11]
	v_fma_f64 v[6:7], -v[4:5], v[12:13], v[6:7]
	v_fmac_f64_e32 v[8:9], v[2:3], v[12:13]
.LBB37_114:
	s_or_b64 exec, exec, s[0:1]
	global_store_dwordx4 v[0:1], v[6:9], off
.LBB37_115:
	s_endpgm
	.section	.rodata,"a",@progbits
	.p2align	6, 0x0
	.amdhsa_kernel _ZN9rocsparseL22csrmvn_adaptive_kernelIli21rocsparse_complex_numIdES2_S2_S2_EEvbT_PKS3_PjPKT0_NS_24const_host_device_scalarIT4_EES5_S9_PKT1_PKT2_SC_PT3_21rocsparse_index_base_b
		.amdhsa_group_segment_fixed_size 16384
		.amdhsa_private_segment_fixed_size 0
		.amdhsa_kernarg_size 120
		.amdhsa_user_sgpr_count 2
		.amdhsa_user_sgpr_dispatch_ptr 0
		.amdhsa_user_sgpr_queue_ptr 0
		.amdhsa_user_sgpr_kernarg_segment_ptr 1
		.amdhsa_user_sgpr_dispatch_id 0
		.amdhsa_user_sgpr_kernarg_preload_length 0
		.amdhsa_user_sgpr_kernarg_preload_offset 0
		.amdhsa_user_sgpr_private_segment_size 0
		.amdhsa_uses_dynamic_stack 0
		.amdhsa_enable_private_segment 0
		.amdhsa_system_sgpr_workgroup_id_x 1
		.amdhsa_system_sgpr_workgroup_id_y 0
		.amdhsa_system_sgpr_workgroup_id_z 0
		.amdhsa_system_sgpr_workgroup_info 0
		.amdhsa_system_vgpr_workitem_id 0
		.amdhsa_next_free_vgpr 58
		.amdhsa_next_free_sgpr 68
		.amdhsa_accum_offset 60
		.amdhsa_reserve_vcc 1
		.amdhsa_float_round_mode_32 0
		.amdhsa_float_round_mode_16_64 0
		.amdhsa_float_denorm_mode_32 3
		.amdhsa_float_denorm_mode_16_64 3
		.amdhsa_dx10_clamp 1
		.amdhsa_ieee_mode 1
		.amdhsa_fp16_overflow 0
		.amdhsa_tg_split 0
		.amdhsa_exception_fp_ieee_invalid_op 0
		.amdhsa_exception_fp_denorm_src 0
		.amdhsa_exception_fp_ieee_div_zero 0
		.amdhsa_exception_fp_ieee_overflow 0
		.amdhsa_exception_fp_ieee_underflow 0
		.amdhsa_exception_fp_ieee_inexact 0
		.amdhsa_exception_int_div_zero 0
	.end_amdhsa_kernel
	.section	.text._ZN9rocsparseL22csrmvn_adaptive_kernelIli21rocsparse_complex_numIdES2_S2_S2_EEvbT_PKS3_PjPKT0_NS_24const_host_device_scalarIT4_EES5_S9_PKT1_PKT2_SC_PT3_21rocsparse_index_base_b,"axG",@progbits,_ZN9rocsparseL22csrmvn_adaptive_kernelIli21rocsparse_complex_numIdES2_S2_S2_EEvbT_PKS3_PjPKT0_NS_24const_host_device_scalarIT4_EES5_S9_PKT1_PKT2_SC_PT3_21rocsparse_index_base_b,comdat
.Lfunc_end37:
	.size	_ZN9rocsparseL22csrmvn_adaptive_kernelIli21rocsparse_complex_numIdES2_S2_S2_EEvbT_PKS3_PjPKT0_NS_24const_host_device_scalarIT4_EES5_S9_PKT1_PKT2_SC_PT3_21rocsparse_index_base_b, .Lfunc_end37-_ZN9rocsparseL22csrmvn_adaptive_kernelIli21rocsparse_complex_numIdES2_S2_S2_EEvbT_PKS3_PjPKT0_NS_24const_host_device_scalarIT4_EES5_S9_PKT1_PKT2_SC_PT3_21rocsparse_index_base_b
                                        ; -- End function
	.set _ZN9rocsparseL22csrmvn_adaptive_kernelIli21rocsparse_complex_numIdES2_S2_S2_EEvbT_PKS3_PjPKT0_NS_24const_host_device_scalarIT4_EES5_S9_PKT1_PKT2_SC_PT3_21rocsparse_index_base_b.num_vgpr, 58
	.set _ZN9rocsparseL22csrmvn_adaptive_kernelIli21rocsparse_complex_numIdES2_S2_S2_EEvbT_PKS3_PjPKT0_NS_24const_host_device_scalarIT4_EES5_S9_PKT1_PKT2_SC_PT3_21rocsparse_index_base_b.num_agpr, 0
	.set _ZN9rocsparseL22csrmvn_adaptive_kernelIli21rocsparse_complex_numIdES2_S2_S2_EEvbT_PKS3_PjPKT0_NS_24const_host_device_scalarIT4_EES5_S9_PKT1_PKT2_SC_PT3_21rocsparse_index_base_b.numbered_sgpr, 68
	.set _ZN9rocsparseL22csrmvn_adaptive_kernelIli21rocsparse_complex_numIdES2_S2_S2_EEvbT_PKS3_PjPKT0_NS_24const_host_device_scalarIT4_EES5_S9_PKT1_PKT2_SC_PT3_21rocsparse_index_base_b.num_named_barrier, 0
	.set _ZN9rocsparseL22csrmvn_adaptive_kernelIli21rocsparse_complex_numIdES2_S2_S2_EEvbT_PKS3_PjPKT0_NS_24const_host_device_scalarIT4_EES5_S9_PKT1_PKT2_SC_PT3_21rocsparse_index_base_b.private_seg_size, 0
	.set _ZN9rocsparseL22csrmvn_adaptive_kernelIli21rocsparse_complex_numIdES2_S2_S2_EEvbT_PKS3_PjPKT0_NS_24const_host_device_scalarIT4_EES5_S9_PKT1_PKT2_SC_PT3_21rocsparse_index_base_b.uses_vcc, 1
	.set _ZN9rocsparseL22csrmvn_adaptive_kernelIli21rocsparse_complex_numIdES2_S2_S2_EEvbT_PKS3_PjPKT0_NS_24const_host_device_scalarIT4_EES5_S9_PKT1_PKT2_SC_PT3_21rocsparse_index_base_b.uses_flat_scratch, 0
	.set _ZN9rocsparseL22csrmvn_adaptive_kernelIli21rocsparse_complex_numIdES2_S2_S2_EEvbT_PKS3_PjPKT0_NS_24const_host_device_scalarIT4_EES5_S9_PKT1_PKT2_SC_PT3_21rocsparse_index_base_b.has_dyn_sized_stack, 0
	.set _ZN9rocsparseL22csrmvn_adaptive_kernelIli21rocsparse_complex_numIdES2_S2_S2_EEvbT_PKS3_PjPKT0_NS_24const_host_device_scalarIT4_EES5_S9_PKT1_PKT2_SC_PT3_21rocsparse_index_base_b.has_recursion, 0
	.set _ZN9rocsparseL22csrmvn_adaptive_kernelIli21rocsparse_complex_numIdES2_S2_S2_EEvbT_PKS3_PjPKT0_NS_24const_host_device_scalarIT4_EES5_S9_PKT1_PKT2_SC_PT3_21rocsparse_index_base_b.has_indirect_call, 0
	.section	.AMDGPU.csdata,"",@progbits
; Kernel info:
; codeLenInByte = 4776
; TotalNumSgprs: 74
; NumVgprs: 58
; NumAgprs: 0
; TotalNumVgprs: 58
; ScratchSize: 0
; MemoryBound: 0
; FloatMode: 240
; IeeeMode: 1
; LDSByteSize: 16384 bytes/workgroup (compile time only)
; SGPRBlocks: 9
; VGPRBlocks: 7
; NumSGPRsForWavesPerEU: 74
; NumVGPRsForWavesPerEU: 58
; AccumOffset: 60
; Occupancy: 8
; WaveLimiterHint : 1
; COMPUTE_PGM_RSRC2:SCRATCH_EN: 0
; COMPUTE_PGM_RSRC2:USER_SGPR: 2
; COMPUTE_PGM_RSRC2:TRAP_HANDLER: 0
; COMPUTE_PGM_RSRC2:TGID_X_EN: 1
; COMPUTE_PGM_RSRC2:TGID_Y_EN: 0
; COMPUTE_PGM_RSRC2:TGID_Z_EN: 0
; COMPUTE_PGM_RSRC2:TIDIG_COMP_CNT: 0
; COMPUTE_PGM_RSRC3_GFX90A:ACCUM_OFFSET: 14
; COMPUTE_PGM_RSRC3_GFX90A:TG_SPLIT: 0
	.section	.text._ZN9rocsparseL27csrmvn_symm_adaptive_kernelIli21rocsparse_complex_numIdES2_S2_S2_EEvbT_S3_PKS3_NS_24const_host_device_scalarIT4_EES5_PKT0_PKT1_PKT2_S8_PT3_21rocsparse_index_base_b,"axG",@progbits,_ZN9rocsparseL27csrmvn_symm_adaptive_kernelIli21rocsparse_complex_numIdES2_S2_S2_EEvbT_S3_PKS3_NS_24const_host_device_scalarIT4_EES5_PKT0_PKT1_PKT2_S8_PT3_21rocsparse_index_base_b,comdat
	.globl	_ZN9rocsparseL27csrmvn_symm_adaptive_kernelIli21rocsparse_complex_numIdES2_S2_S2_EEvbT_S3_PKS3_NS_24const_host_device_scalarIT4_EES5_PKT0_PKT1_PKT2_S8_PT3_21rocsparse_index_base_b ; -- Begin function _ZN9rocsparseL27csrmvn_symm_adaptive_kernelIli21rocsparse_complex_numIdES2_S2_S2_EEvbT_S3_PKS3_NS_24const_host_device_scalarIT4_EES5_PKT0_PKT1_PKT2_S8_PT3_21rocsparse_index_base_b
	.p2align	8
	.type	_ZN9rocsparseL27csrmvn_symm_adaptive_kernelIli21rocsparse_complex_numIdES2_S2_S2_EEvbT_S3_PKS3_NS_24const_host_device_scalarIT4_EES5_PKT0_PKT1_PKT2_S8_PT3_21rocsparse_index_base_b,@function
_ZN9rocsparseL27csrmvn_symm_adaptive_kernelIli21rocsparse_complex_numIdES2_S2_S2_EEvbT_S3_PKS3_NS_24const_host_device_scalarIT4_EES5_PKT0_PKT1_PKT2_S8_PT3_21rocsparse_index_base_b: ; @_ZN9rocsparseL27csrmvn_symm_adaptive_kernelIli21rocsparse_complex_numIdES2_S2_S2_EEvbT_S3_PKS3_NS_24const_host_device_scalarIT4_EES5_PKT0_PKT1_PKT2_S8_PT3_21rocsparse_index_base_b
; %bb.0:
	s_load_dwordx2 s[34:35], s[0:1], 0x68
	s_load_dwordx2 s[4:5], s[0:1], 0x20
	s_add_u32 s3, s0, 32
	s_addc_u32 s10, s1, 0
	s_waitcnt lgkmcnt(0)
	s_bitcmp1_b32 s35, 0
	s_cselect_b64 s[8:9], -1, 0
	s_and_b64 s[6:7], s[8:9], exec
	s_cselect_b32 s5, s10, s5
	s_cselect_b32 s3, s3, s4
	v_mov_b32_e32 v2, s3
	v_mov_b32_e32 v3, s5
	flat_load_dwordx4 v[2:5], v[2:3]
	s_waitcnt vmcnt(0) lgkmcnt(0)
	v_cmp_eq_f64_e32 vcc, 0, v[2:3]
	v_cmp_eq_f64_e64 s[4:5], 0, v[4:5]
	s_and_b64 s[10:11], vcc, s[4:5]
	s_mov_b64 s[4:5], -1
	s_and_saveexec_b64 s[6:7], s[10:11]
	s_cbranch_execz .LBB38_2
; %bb.1:
	s_load_dwordx2 s[4:5], s[0:1], 0x50
	s_add_u32 s3, s0, 0x50
	s_addc_u32 s10, s1, 0
	s_and_b64 s[8:9], s[8:9], exec
	s_waitcnt lgkmcnt(0)
	s_cselect_b32 s5, s10, s5
	s_cselect_b32 s3, s3, s4
	v_mov_b32_e32 v6, s3
	v_mov_b32_e32 v7, s5
	flat_load_dwordx4 v[6:9], v[6:7]
	s_waitcnt vmcnt(0) lgkmcnt(0)
	v_cmp_neq_f64_e32 vcc, 1.0, v[6:7]
	v_cmp_neq_f64_e64 s[4:5], 0, v[8:9]
	s_or_b64 s[4:5], vcc, s[4:5]
	s_orn2_b64 s[4:5], s[4:5], exec
.LBB38_2:
	s_or_b64 exec, exec, s[6:7]
	s_and_saveexec_b64 s[6:7], s[4:5]
	s_cbranch_execz .LBB38_141
; %bb.3:
	s_load_dword s3, s[0:1], 0x0
	s_load_dwordx2 s[8:9], s[0:1], 0x18
	s_mov_b32 s4, 0
	s_mov_b32 s6, s4
	;; [unrolled: 1-line block ×3, first 2 shown]
	s_waitcnt lgkmcnt(0)
	s_bitcmp1_b32 s3, 0
	s_cselect_b64 s[14:15], -1, 0
	s_ashr_i32 s3, s2, 31
	s_lshl_b64 s[2:3], s[2:3], 3
	s_mov_b32 s5, s4
	v_mov_b64_e32 v[8:9], s[6:7]
	s_add_u32 s2, s8, s2
	v_lshlrev_b32_e32 v20, 4, v0
	v_mov_b64_e32 v[6:7], s[4:5]
	s_addc_u32 s3, s9, s3
	ds_write_b128 v20, v[6:9]
	ds_write_b128 v20, v[6:9] offset:4096
	ds_write_b128 v20, v[6:9] offset:8192
	;; [unrolled: 1-line block ×3, first 2 shown]
	s_waitcnt lgkmcnt(0)
	s_barrier
	s_load_dwordx4 s[24:27], s[2:3], 0x0
	s_load_dwordx2 s[28:29], s[0:1], 0x60
	s_load_dwordx8 s[16:23], s[0:1], 0x30
	s_mov_b64 s[2:3], -1
	s_waitcnt lgkmcnt(0)
	s_sub_u32 s30, s26, s24
	s_subb_u32 s31, s27, s25
	v_cmp_gt_i64_e64 s[4:5], s[30:31], 2
	s_and_b64 vcc, exec, s[4:5]
	s_cbranch_vccnz .LBB38_40
; %bb.4:
	v_mov_b64_e32 v[6:7], s[24:25]
	v_cmp_le_i64_e32 vcc, s[26:27], v[6:7]
	v_subrev_co_u32_e64 v10, s[2:3], s34, v0
	v_mov_b32_e32 v1, 0
	s_nop 0
	v_subb_co_u32_e64 v11, s[2:3], 0, 0, s[2:3]
	s_cbranch_vccnz .LBB38_30
; %bb.5:
	s_movk_i32 s2, 0x100
	v_cmp_gt_u32_e64 s[4:5], s2, v0
	s_add_u32 s2, s20, 8
	v_cmp_gt_u32_e64 s[6:7], 64, v0
	v_cmp_gt_u32_e64 s[8:9], 16, v0
	;; [unrolled: 1-line block ×3, first 2 shown]
	v_cmp_eq_u32_e64 s[12:13], 0, v0
	s_addc_u32 s3, s21, 0
	s_mov_b64 s[36:37], 0x100
	s_mov_b64 s[38:39], 0x400
	s_mov_b64 s[40:41], 0x1000
	v_mov_b64_e32 v[12:13], s[26:27]
	s_mov_b64 s[42:43], s[24:25]
	s_branch .LBB38_7
.LBB38_6:                               ;   in Loop: Header=BB38_7 Depth=1
	s_or_b64 exec, exec, s[44:45]
	s_add_u32 s42, s42, 1
	s_addc_u32 s43, s43, 0
	v_cmp_ge_i64_e32 vcc, s[42:43], v[12:13]
	s_cbranch_vccnz .LBB38_30
.LBB38_7:                               ; =>This Loop Header: Depth=1
                                        ;     Child Loop BB38_9 Depth 2
                                        ;     Child Loop BB38_23 Depth 2
	;; [unrolled: 1-line block ×3, first 2 shown]
	s_lshl_b64 s[44:45], s[42:43], 3
	s_add_u32 s48, s16, s44
	s_addc_u32 s49, s17, s45
	s_load_dwordx4 s[44:47], s[48:49], 0x0
	v_mov_b64_e32 v[8:9], 0
	v_mov_b64_e32 v[6:7], 0
	s_waitcnt lgkmcnt(0)
	s_sub_u32 s46, s46, s34
	v_lshl_add_u64 v[14:15], s[44:45], 0, v[10:11]
	s_subb_u32 s47, s47, 0
	v_cmp_gt_i64_e32 vcc, s[46:47], v[14:15]
	s_and_saveexec_b64 s[44:45], vcc
	s_cbranch_execz .LBB38_11
; %bb.8:                                ;   in Loop: Header=BB38_7 Depth=1
	v_mov_b64_e32 v[8:9], 0
	v_lshl_add_u64 v[16:17], v[14:15], 2, s[18:19]
	v_lshl_add_u64 v[18:19], v[14:15], 4, s[2:3]
	s_mov_b64 s[48:49], 0
	v_mov_b64_e32 v[6:7], v[8:9]
.LBB38_9:                               ;   Parent Loop BB38_7 Depth=1
                                        ; =>  This Inner Loop Header: Depth=2
	global_load_dword v21, v[16:17], off
	global_load_dwordx4 v[22:25], v[18:19], off offset:-8
	v_lshl_add_u64 v[14:15], v[14:15], 0, s[36:37]
	v_cmp_le_i64_e32 vcc, s[46:47], v[14:15]
	v_lshl_add_u64 v[16:17], v[16:17], 0, s[38:39]
	v_lshl_add_u64 v[18:19], v[18:19], 0, s[40:41]
	s_or_b64 s[48:49], vcc, s[48:49]
	s_waitcnt vmcnt(1)
	v_subrev_u32_e32 v26, s34, v21
	v_ashrrev_i32_e32 v27, 31, v26
	v_lshl_add_u64 v[26:27], v[26:27], 4, s[22:23]
	global_load_dwordx4 v[26:29], v[26:27], off
	s_waitcnt vmcnt(1)
	v_xor_b32_e32 v21, 0x80000000, v25
	v_cndmask_b32_e64 v25, v25, v21, s[14:15]
	s_waitcnt vmcnt(0)
	v_fmac_f64_e32 v[6:7], v[22:23], v[26:27]
	v_fmac_f64_e32 v[8:9], v[24:25], v[26:27]
	v_fma_f64 v[6:7], -v[24:25], v[28:29], v[6:7]
	v_fmac_f64_e32 v[8:9], v[22:23], v[28:29]
	s_andn2_b64 exec, exec, s[48:49]
	s_cbranch_execnz .LBB38_9
; %bb.10:                               ;   in Loop: Header=BB38_7 Depth=1
	s_or_b64 exec, exec, s[48:49]
.LBB38_11:                              ;   in Loop: Header=BB38_7 Depth=1
	s_or_b64 exec, exec, s[44:45]
	ds_write_b128 v20, v[6:9]
	s_waitcnt lgkmcnt(0)
	s_barrier
	s_and_saveexec_b64 s[44:45], s[4:5]
	s_cbranch_execz .LBB38_13
; %bb.12:                               ;   in Loop: Header=BB38_7 Depth=1
	ds_read_b128 v[6:9], v20 offset:4096
	ds_read_b128 v[14:17], v20 offset:8192
	ds_read_b128 v[22:25], v20 offset:12288
	ds_read_b128 v[26:29], v20
	s_waitcnt lgkmcnt(2)
	v_add_f64 v[6:7], v[14:15], v[6:7]
	v_add_f64 v[8:9], v[16:17], v[8:9]
	s_waitcnt lgkmcnt(1)
	v_add_f64 v[6:7], v[6:7], v[22:23]
	v_add_f64 v[8:9], v[8:9], v[24:25]
	s_waitcnt lgkmcnt(0)
	v_add_f64 v[6:7], v[6:7], v[26:27]
	v_add_f64 v[8:9], v[8:9], v[28:29]
	ds_write_b128 v20, v[6:9]
.LBB38_13:                              ;   in Loop: Header=BB38_7 Depth=1
	s_or_b64 exec, exec, s[44:45]
	s_waitcnt lgkmcnt(0)
	s_barrier
	s_and_saveexec_b64 s[44:45], s[6:7]
	s_cbranch_execz .LBB38_15
; %bb.14:                               ;   in Loop: Header=BB38_7 Depth=1
	ds_read_b128 v[6:9], v20 offset:1024
	ds_read_b128 v[14:17], v20 offset:2048
	ds_read_b128 v[22:25], v20 offset:3072
	ds_read_b128 v[26:29], v20
	s_waitcnt lgkmcnt(2)
	v_add_f64 v[6:7], v[14:15], v[6:7]
	v_add_f64 v[8:9], v[16:17], v[8:9]
	s_waitcnt lgkmcnt(1)
	v_add_f64 v[6:7], v[6:7], v[22:23]
	v_add_f64 v[8:9], v[8:9], v[24:25]
	s_waitcnt lgkmcnt(0)
	v_add_f64 v[6:7], v[6:7], v[26:27]
	v_add_f64 v[8:9], v[8:9], v[28:29]
	ds_write_b128 v20, v[6:9]
.LBB38_15:                              ;   in Loop: Header=BB38_7 Depth=1
	s_or_b64 exec, exec, s[44:45]
	;; [unrolled: 21-line block ×5, first 2 shown]
	s_waitcnt lgkmcnt(0)
	s_barrier
	s_and_saveexec_b64 s[44:45], s[12:13]
	s_cbranch_execz .LBB38_6
; %bb.22:                               ;   in Loop: Header=BB38_7 Depth=1
	ds_read_b128 v[6:9], v1
	v_mov_b32_e32 v14, 0
	s_mov_b64 s[46:47], exec
	v_bfrev_b32_e32 v15, 1
	s_waitcnt lgkmcnt(0)
	v_mul_f64 v[16:17], v[8:9], -v[4:5]
	v_fmac_f64_e32 v[16:17], v[2:3], v[6:7]
.LBB38_23:                              ;   Parent Loop BB38_7 Depth=1
                                        ; =>  This Inner Loop Header: Depth=2
	s_ff1_i32_b64 s33, s[46:47]
	s_lshl_b64 s[50:51], 1, s33
	v_readlane_b32 s49, v17, s33
	v_readlane_b32 s48, v16, s33
	s_andn2_b64 s[46:47], s[46:47], s[50:51]
	s_cmp_lg_u64 s[46:47], 0
	v_add_f64 v[14:15], v[14:15], s[48:49]
	s_cbranch_scc1 .LBB38_23
; %bb.24:                               ;   in Loop: Header=BB38_7 Depth=1
	s_lshl_b64 s[46:47], s[42:43], 4
	v_mbcnt_lo_u32_b32 v16, exec_lo, 0
	s_add_u32 s46, s28, s46
	v_mbcnt_hi_u32_b32 v16, exec_hi, v16
	s_addc_u32 s47, s29, s47
	v_cmp_eq_u32_e32 vcc, 0, v16
	s_and_saveexec_b64 s[48:49], vcc
	s_xor_b64 s[48:49], exec, s[48:49]
	s_cbranch_execz .LBB38_26
; %bb.25:                               ;   in Loop: Header=BB38_7 Depth=1
	global_atomic_add_f64 v1, v[14:15], s[46:47]
.LBB38_26:                              ;   in Loop: Header=BB38_7 Depth=1
	s_or_b64 exec, exec, s[48:49]
	v_mul_f64 v[8:9], v[2:3], v[8:9]
	v_fmac_f64_e32 v[8:9], v[4:5], v[6:7]
	v_mov_b32_e32 v6, 0
	s_mov_b64 s[48:49], exec
	v_bfrev_b32_e32 v7, 1
.LBB38_27:                              ;   Parent Loop BB38_7 Depth=1
                                        ; =>  This Inner Loop Header: Depth=2
	s_ff1_i32_b64 s33, s[48:49]
	s_lshl_b64 s[52:53], 1, s33
	v_readlane_b32 s51, v9, s33
	v_readlane_b32 s50, v8, s33
	s_andn2_b64 s[48:49], s[48:49], s[52:53]
	s_cmp_lg_u64 s[48:49], 0
	v_add_f64 v[6:7], v[6:7], s[50:51]
	s_cbranch_scc1 .LBB38_27
; %bb.28:                               ;   in Loop: Header=BB38_7 Depth=1
	v_mbcnt_lo_u32_b32 v8, exec_lo, 0
	v_mbcnt_hi_u32_b32 v8, exec_hi, v8
	v_cmp_eq_u32_e32 vcc, 0, v8
	s_and_saveexec_b64 s[48:49], vcc
	s_xor_b64 s[48:49], exec, s[48:49]
	s_cbranch_execz .LBB38_6
; %bb.29:                               ;   in Loop: Header=BB38_7 Depth=1
	global_atomic_add_f64 v1, v[6:7], s[46:47] offset:8
	s_branch .LBB38_6
.LBB38_30:
	s_lshl_b64 s[2:3], s[24:25], 3
	s_add_u32 s2, s16, s2
	s_addc_u32 s3, s17, s3
	s_lshl_b64 s[4:5], s[26:27], 3
	s_add_u32 s4, s16, s4
	s_addc_u32 s5, s17, s5
	s_load_dwordx2 s[6:7], s[4:5], 0x0
	s_load_dwordx2 s[8:9], s[2:3], 0x0
	s_waitcnt lgkmcnt(0)
	s_sub_u32 s6, s6, s34
	s_subb_u32 s7, s7, 0
	v_lshl_add_u64 v[6:7], s[8:9], 0, v[10:11]
	v_cmp_gt_i64_e32 vcc, s[6:7], v[6:7]
	s_and_saveexec_b64 s[8:9], vcc
	s_cbranch_execz .LBB38_39
; %bb.31:
	s_add_u32 s10, s26, -1
	s_addc_u32 s11, s27, -1
	s_add_u32 s2, s26, -2
	s_addc_u32 s3, s27, -1
	v_mov_b64_e32 v[8:9], s[10:11]
	s_cmp_lg_u64 s[24:25], s[2:3]
	v_cmp_lt_i64_e32 vcc, s[24:25], v[8:9]
	s_cselect_b64 s[2:3], -1, 0
	s_and_b64 s[2:3], vcc, s[2:3]
	v_cndmask_b32_e64 v1, 0, 1, s[2:3]
	s_mov_b64 s[12:13], 0
	v_cmp_ne_u32_e64 s[4:5], 1, v1
	v_mov_b32_e32 v9, 0
	s_mov_b64 s[36:37], 0x100
	s_branch .LBB38_33
.LBB38_32:                              ;   in Loop: Header=BB38_33 Depth=1
	s_or_b64 exec, exec, s[2:3]
	v_lshl_add_u64 v[6:7], v[6:7], 0, s[36:37]
	v_cmp_le_i64_e32 vcc, s[6:7], v[6:7]
	s_or_b64 s[12:13], vcc, s[12:13]
	s_andn2_b64 exec, exec, s[12:13]
	s_cbranch_execz .LBB38_39
.LBB38_33:                              ; =>This Loop Header: Depth=1
                                        ;     Child Loop BB38_35 Depth 2
	s_and_b64 vcc, exec, s[4:5]
	v_mov_b64_e32 v[10:11], s[24:25]
	v_mov_b64_e32 v[12:13], s[10:11]
	s_cbranch_vccnz .LBB38_37
; %bb.34:                               ;   in Loop: Header=BB38_33 Depth=1
	s_mov_b64 s[38:39], 0
	v_mov_b64_e32 v[10:11], s[24:25]
	v_mov_b64_e32 v[12:13], s[10:11]
.LBB38_35:                              ;   Parent Loop BB38_33 Depth=1
                                        ; =>  This Inner Loop Header: Depth=2
	v_lshl_add_u64 v[14:15], v[12:13], 0, v[10:11]
	v_lshrrev_b32_e32 v8, 31, v15
	v_lshl_add_u64 v[14:15], v[14:15], 0, v[8:9]
	v_ashrrev_i64 v[14:15], 1, v[14:15]
	v_lshl_add_u64 v[16:17], v[14:15], 3, s[16:17]
	global_load_dwordx2 v[16:17], v[16:17], off
	s_waitcnt vmcnt(0)
	v_subrev_co_u32_e32 v16, vcc, s34, v16
	s_nop 1
	v_subbrev_co_u32_e32 v17, vcc, 0, v17, vcc
	v_cmp_lt_i64_e32 vcc, v[6:7], v[16:17]
	s_nop 1
	v_cndmask_b32_e32 v13, v13, v15, vcc
	v_cndmask_b32_e32 v12, v12, v14, vcc
	;; [unrolled: 1-line block ×4, first 2 shown]
	v_lshl_add_u64 v[14:15], v[12:13], 0, -1
	v_cmp_ge_i64_e32 vcc, v[10:11], v[12:13]
	v_cmp_eq_u64_e64 s[2:3], v[10:11], v[14:15]
	s_or_b64 s[2:3], vcc, s[2:3]
	s_and_b64 s[2:3], exec, s[2:3]
	s_or_b64 s[38:39], s[2:3], s[38:39]
	s_andn2_b64 exec, exec, s[38:39]
	s_cbranch_execnz .LBB38_35
; %bb.36:                               ;   in Loop: Header=BB38_33 Depth=1
	s_or_b64 exec, exec, s[38:39]
.LBB38_37:                              ;   in Loop: Header=BB38_33 Depth=1
	v_lshl_add_u64 v[14:15], v[12:13], 3, s[16:17]
	global_load_dwordx2 v[14:15], v[14:15], off
	v_lshl_add_u64 v[16:17], v[6:7], 2, s[18:19]
	global_load_dword v1, v[16:17], off
	s_waitcnt vmcnt(1)
	v_subrev_co_u32_e32 v16, vcc, s34, v14
	s_nop 1
	v_subbrev_co_u32_e32 v17, vcc, 0, v15, vcc
	s_waitcnt vmcnt(0)
	v_subrev_u32_e32 v14, s34, v1
	v_cmp_lt_i64_e32 vcc, v[6:7], v[16:17]
	v_ashrrev_i32_e32 v15, 31, v14
	s_nop 0
	v_cndmask_b32_e32 v11, v13, v11, vcc
	v_cndmask_b32_e32 v10, v12, v10, vcc
	v_cmp_ne_u64_e32 vcc, v[10:11], v[14:15]
	s_and_saveexec_b64 s[2:3], vcc
	s_cbranch_execz .LBB38_32
; %bb.38:                               ;   in Loop: Header=BB38_33 Depth=1
	v_lshl_add_u64 v[12:13], v[6:7], 4, s[20:21]
	global_load_dwordx4 v[16:19], v[12:13], off
	v_lshl_add_u64 v[10:11], v[10:11], 4, s[22:23]
	global_load_dwordx4 v[10:13], v[10:11], off
	v_lshl_add_u64 v[14:15], v[14:15], 4, s[28:29]
	s_waitcnt vmcnt(1)
	v_xor_b32_e32 v1, 0x80000000, v19
	v_cndmask_b32_e64 v19, v19, v1, s[14:15]
	v_mul_f64 v[22:23], v[18:19], -v[4:5]
	v_mul_f64 v[18:19], v[2:3], v[18:19]
	v_fmac_f64_e32 v[18:19], v[4:5], v[16:17]
	v_fmac_f64_e32 v[22:23], v[2:3], v[16:17]
	s_waitcnt vmcnt(0)
	v_mul_f64 v[16:17], v[12:13], -v[18:19]
	v_mul_f64 v[12:13], v[12:13], v[22:23]
	v_fmac_f64_e32 v[16:17], v[22:23], v[10:11]
	v_fmac_f64_e32 v[12:13], v[18:19], v[10:11]
	global_atomic_add_f64 v[14:15], v[16:17], off
	global_atomic_add_f64 v[14:15], v[12:13], off offset:8
	s_branch .LBB38_32
.LBB38_39:
	s_or_b64 exec, exec, s[8:9]
	s_mov_b64 s[2:3], 0
.LBB38_40:
	s_and_b64 vcc, exec, s[2:3]
	s_cbranch_vccz .LBB38_141
; %bb.41:
	s_load_dword s2, s[0:1], 0x7c
	s_mov_b32 s13, 0
	v_mov_b64_e32 v[6:7], s[30:31]
	s_mov_b64 s[36:37], 0
	s_waitcnt lgkmcnt(0)
	s_and_b32 s12, s2, 0xffff
	v_cmp_lt_u64_e32 vcc, s[12:13], v[6:7]
	s_cbranch_vccnz .LBB38_43
; %bb.42:
	v_cvt_f32_u32_e32 v1, s30
	s_sub_i32 s2, 0, s30
	v_rcp_iflag_f32_e32 v1, v1
	s_nop 0
	v_mul_f32_e32 v1, 0x4f7ffffe, v1
	v_cvt_u32_f32_e32 v1, v1
	s_nop 0
	v_readfirstlane_b32 s3, v1
	s_mul_i32 s2, s2, s3
	s_mul_hi_u32 s2, s3, s2
	s_add_i32 s3, s3, s2
	s_mul_hi_u32 s2, s12, s3
	s_mul_i32 s4, s2, s30
	s_sub_i32 s4, s12, s4
	s_add_i32 s3, s2, 1
	s_sub_i32 s5, s4, s30
	s_cmp_ge_u32 s4, s30
	s_cselect_b32 s2, s3, s2
	s_cselect_b32 s4, s5, s4
	s_add_i32 s3, s2, 1
	s_cmp_ge_u32 s4, s30
	s_cselect_b32 s36, s3, s2
.LBB38_43:
	s_load_dwordx4 s[4:7], s[0:1], 0x8
	s_lshl_b64 s[0:1], s[24:25], 3
	s_add_u32 s10, s16, s0
	s_addc_u32 s11, s17, s1
	s_load_dwordx2 s[8:9], s[10:11], 0x0
	v_subrev_co_u32_e32 v6, vcc, s34, v0
	v_mov_b32_e32 v1, 0
	s_nop 0
	v_subb_co_u32_e64 v7, s[0:1], 0, 0, vcc
	s_waitcnt lgkmcnt(0)
	v_lshl_add_u64 v[6:7], s[8:9], 0, v[6:7]
	s_mov_b64 s[0:1], 0x300
	v_lshl_add_u64 v[8:9], v[6:7], 0, s[0:1]
	v_cmp_le_i64_e64 s[0:1], s[4:5], v[8:9]
	s_and_saveexec_b64 s[2:3], s[0:1]
	s_xor_b64 s[2:3], exec, s[2:3]
	s_cbranch_execnz .LBB38_46
; %bb.44:
	s_andn2_saveexec_b64 s[4:5], s[2:3]
	s_cbranch_execnz .LBB38_50
.LBB38_45:
	s_or_b64 exec, exec, s[4:5]
	v_cmp_gt_i64_e32 vcc, s[6:7], v[0:1]
	s_and_saveexec_b64 s[2:3], vcc
	s_cbranch_execnz .LBB38_51
	s_branch .LBB38_53
.LBB38_46:
	s_lshl_b64 s[4:5], s[26:27], 3
	s_add_u32 s4, s16, s4
	s_addc_u32 s5, s17, s5
	s_load_dwordx2 s[4:5], s[4:5], 0x0
	s_waitcnt lgkmcnt(0)
	s_sub_u32 s4, s4, s8
	s_subb_u32 s5, s5, s9
	v_cmp_gt_i64_e32 vcc, s[4:5], v[0:1]
	s_and_saveexec_b64 s[38:39], vcc
	s_cbranch_execz .LBB38_49
; %bb.47:
	v_lshl_add_u64 v[10:11], v[6:7], 4, s[20:21]
	v_lshl_add_u64 v[10:11], v[10:11], 0, 8
	s_mov_b64 s[40:41], 0
	s_mov_b64 s[42:43], 0x1000
	;; [unrolled: 1-line block ×3, first 2 shown]
	v_mov_b32_e32 v14, v20
	v_mov_b64_e32 v[12:13], v[0:1]
.LBB38_48:                              ; =>This Inner Loop Header: Depth=1
	global_load_dwordx4 v[16:19], v[10:11], off offset:-8
	v_lshl_add_u64 v[12:13], v[12:13], 0, s[44:45]
	v_cmp_le_i64_e32 vcc, s[4:5], v[12:13]
	v_lshl_add_u64 v[10:11], v[10:11], 0, s[42:43]
	s_or_b64 s[40:41], vcc, s[40:41]
	s_waitcnt vmcnt(0)
	v_xor_b32_e32 v15, 0x80000000, v19
	v_cndmask_b32_e64 v19, v19, v15, s[14:15]
	v_mul_f64 v[22:23], v[18:19], -v[4:5]
	v_mul_f64 v[24:25], v[2:3], v[18:19]
	v_fmac_f64_e32 v[22:23], v[2:3], v[16:17]
	v_fmac_f64_e32 v[24:25], v[4:5], v[16:17]
	ds_write_b128 v14, v[22:25]
	v_add_u32_e32 v14, 0x1000, v14
	s_andn2_b64 exec, exec, s[40:41]
	s_cbranch_execnz .LBB38_48
.LBB38_49:
	s_or_b64 exec, exec, s[38:39]
                                        ; implicit-def: $vgpr4_vgpr5
	s_andn2_saveexec_b64 s[4:5], s[2:3]
	s_cbranch_execz .LBB38_45
.LBB38_50:
	v_lshl_add_u64 v[18:19], v[6:7], 4, s[20:21]
	s_movk_i32 s2, 0x3000
	global_load_dwordx4 v[10:13], v[18:19], off
	v_add_co_u32_e32 v26, vcc, 0x1000, v18
	v_add_co_u32_e64 v28, s[2:3], s2, v18
	s_nop 0
	v_addc_co_u32_e32 v27, vcc, 0, v19, vcc
	v_addc_co_u32_e64 v29, s[2:3], 0, v19, s[2:3]
	global_load_dwordx4 v[14:17], v[28:29], off offset:-4096
	global_load_dwordx4 v[22:25], v[28:29], off
	s_waitcnt vmcnt(2)
	v_xor_b32_e32 v18, 0x80000000, v13
	global_load_dwordx4 v[26:29], v[26:27], off
	v_cndmask_b32_e64 v13, v13, v18, s[14:15]
	v_mul_f64 v[30:31], v[12:13], -v[4:5]
	v_mul_f64 v[32:33], v[2:3], v[12:13]
	v_fmac_f64_e32 v[30:31], v[2:3], v[10:11]
	v_fmac_f64_e32 v[32:33], v[4:5], v[10:11]
	ds_write_b128 v20, v[30:33]
	s_waitcnt vmcnt(2)
	v_xor_b32_e32 v18, 0x80000000, v17
	s_waitcnt vmcnt(1)
	v_xor_b32_e32 v19, 0x80000000, v25
	v_cndmask_b32_e64 v17, v17, v18, s[14:15]
	v_cndmask_b32_e64 v25, v25, v19, s[14:15]
	v_mul_f64 v[10:11], v[16:17], -v[4:5]
	v_mul_f64 v[18:19], v[2:3], v[24:25]
	v_fmac_f64_e32 v[10:11], v[2:3], v[14:15]
	v_fmac_f64_e32 v[18:19], v[4:5], v[22:23]
	s_waitcnt vmcnt(0)
	v_xor_b32_e32 v12, 0x80000000, v29
	v_cndmask_b32_e64 v29, v29, v12, s[14:15]
	v_mul_f64 v[12:13], v[2:3], v[16:17]
	v_mul_f64 v[16:17], v[24:25], -v[4:5]
	v_mul_f64 v[30:31], v[28:29], -v[4:5]
	v_mul_f64 v[32:33], v[2:3], v[28:29]
	v_fmac_f64_e32 v[12:13], v[4:5], v[14:15]
	v_fmac_f64_e32 v[16:17], v[2:3], v[22:23]
	;; [unrolled: 1-line block ×4, first 2 shown]
	ds_write_b128 v20, v[10:13] offset:8192
	ds_write_b128 v20, v[30:33] offset:4096
	;; [unrolled: 1-line block ×3, first 2 shown]
	s_or_b64 exec, exec, s[4:5]
	v_cmp_gt_i64_e32 vcc, s[6:7], v[0:1]
	s_and_saveexec_b64 s[2:3], vcc
	s_cbranch_execz .LBB38_53
.LBB38_51:
	s_mov_b32 s14, 0
	v_mov_b32_e32 v2, 0x4000
	s_mov_b32 s15, s14
	s_mov_b32 s20, s14
	;; [unrolled: 1-line block ×3, first 2 shown]
	v_lshl_add_u32 v12, v0, 4, v2
	s_mov_b64 s[4:5], 0
	v_mov_b64_e32 v[2:3], s[14:15]
	v_mov_b64_e32 v[4:5], s[20:21]
	s_mov_b64 s[14:15], 0x100
	v_mov_b64_e32 v[10:11], v[0:1]
.LBB38_52:                              ; =>This Inner Loop Header: Depth=1
	v_lshl_add_u64 v[10:11], v[10:11], 0, s[14:15]
	v_cmp_le_i64_e32 vcc, s[6:7], v[10:11]
	ds_write2_b64 v12, v[2:3], v[4:5] offset1:1
	s_or_b64 s[4:5], vcc, s[4:5]
	v_add_u32_e32 v12, 0x1000, v12
	s_andn2_b64 exec, exec, s[4:5]
	s_cbranch_execnz .LBB38_52
.LBB38_53:
	s_or_b64 exec, exec, s[2:3]
	s_sub_u32 s4, s26, s6
	v_mov_b64_e32 v[2:3], s[6:7]
	s_subb_u32 s5, s27, s7
	v_cmp_ge_i64_e32 vcc, s[26:27], v[2:3]
	s_and_b64 s[2:3], vcc, exec
	s_cselect_b32 s5, s5, 0
	s_cselect_b32 s4, s4, 0
	s_waitcnt lgkmcnt(0)
	s_barrier
	s_and_saveexec_b64 s[2:3], s[0:1]
	s_xor_b64 s[14:15], exec, s[2:3]
	s_cbranch_execz .LBB38_70
; %bb.54:
	s_lshl_b64 s[0:1], s[26:27], 3
	s_add_u32 s0, s16, s0
	s_addc_u32 s1, s17, s1
	s_load_dwordx2 s[0:1], s[0:1], 0x0
	s_waitcnt lgkmcnt(0)
	s_sub_u32 s20, s0, s8
	s_subb_u32 s21, s1, s9
	v_cmp_gt_i64_e32 vcc, s[20:21], v[0:1]
	s_and_saveexec_b64 s[38:39], vcc
	s_cbranch_execz .LBB38_69
; %bb.55:
	s_add_u32 s40, s26, -1
	s_addc_u32 s41, s27, -1
	s_add_u32 s2, s26, -2
	s_addc_u32 s3, s27, -1
	s_cmp_lg_u64 s[24:25], s[2:3]
	s_cselect_b64 s[2:3], -1, 0
	s_sub_u32 s42, s0, s34
	v_cndmask_b32_e64 v2, 0, 1, s[2:3]
	s_subb_u32 s43, s1, 0
	s_mov_b64 s[44:45], 0
	v_cmp_ne_u32_e64 s[0:1], 1, v2
	v_mov_b32_e32 v9, 0
	v_mov_b32_e32 v18, 0x4000
	s_mov_b64 s[46:47], 0
	s_branch .LBB38_58
.LBB38_56:                              ;   in Loop: Header=BB38_58 Depth=1
	s_or_b64 exec, exec, s[2:3]
.LBB38_57:                              ;   in Loop: Header=BB38_58 Depth=1
	s_or_b64 exec, exec, s[48:49]
	v_lshl_add_u64 v[12:13], v[12:13], 4, s[22:23]
	global_load_dwordx4 v[22:25], v[12:13], off
	s_add_u32 s46, s46, 0x100
	s_addc_u32 s47, s47, 0
	v_lshlrev_b32_e32 v8, 4, v10
	v_lshl_add_u64 v[10:11], s[46:47], 0, v[0:1]
	v_cmp_le_i64_e32 vcc, s[20:21], v[10:11]
	s_or_b64 s[44:45], vcc, s[44:45]
	s_waitcnt vmcnt(0)
	v_mul_f64 v[10:11], v[24:25], v[14:15]
	v_mul_f64 v[12:13], v[24:25], v[2:3]
	v_fmac_f64_e32 v[10:11], v[2:3], v[22:23]
	v_fmac_f64_e32 v[12:13], v[4:5], v[22:23]
	ds_write_b128 v8, v[10:13]
	s_andn2_b64 exec, exec, s[44:45]
	s_cbranch_execz .LBB38_69
.LBB38_58:                              ; =>This Loop Header: Depth=1
                                        ;     Child Loop BB38_60 Depth 2
	v_lshl_add_u64 v[2:3], s[46:47], 0, v[6:7]
	s_and_b64 vcc, exec, s[0:1]
	v_mov_b64_e32 v[4:5], s[24:25]
	v_mov_b64_e32 v[14:15], s[40:41]
	s_cbranch_vccnz .LBB38_62
; %bb.59:                               ;   in Loop: Header=BB38_58 Depth=1
	s_mov_b64 s[48:49], 0
	v_mov_b64_e32 v[4:5], s[24:25]
	v_mov_b64_e32 v[14:15], s[40:41]
.LBB38_60:                              ;   Parent Loop BB38_58 Depth=1
                                        ; =>  This Inner Loop Header: Depth=2
	v_lshl_add_u64 v[10:11], v[14:15], 0, v[4:5]
	v_lshrrev_b32_e32 v8, 31, v11
	v_lshl_add_u64 v[10:11], v[10:11], 0, v[8:9]
	v_ashrrev_i64 v[10:11], 1, v[10:11]
	v_lshl_add_u64 v[12:13], v[10:11], 3, s[16:17]
	global_load_dwordx2 v[12:13], v[12:13], off
	s_waitcnt vmcnt(0)
	v_subrev_co_u32_e32 v12, vcc, s34, v12
	s_nop 1
	v_subbrev_co_u32_e32 v13, vcc, 0, v13, vcc
	v_cmp_lt_i64_e32 vcc, v[2:3], v[12:13]
	s_nop 1
	v_cndmask_b32_e32 v15, v15, v11, vcc
	v_cndmask_b32_e32 v14, v14, v10, vcc
	;; [unrolled: 1-line block ×4, first 2 shown]
	v_lshl_add_u64 v[10:11], v[14:15], 0, -1
	v_cmp_ge_i64_e32 vcc, v[4:5], v[14:15]
	v_cmp_eq_u64_e64 s[2:3], v[4:5], v[10:11]
	s_or_b64 s[2:3], vcc, s[2:3]
	s_and_b64 s[2:3], exec, s[2:3]
	s_or_b64 s[48:49], s[2:3], s[48:49]
	s_andn2_b64 exec, exec, s[48:49]
	s_cbranch_execnz .LBB38_60
; %bb.61:                               ;   in Loop: Header=BB38_58 Depth=1
	s_or_b64 exec, exec, s[48:49]
.LBB38_62:                              ;   in Loop: Header=BB38_58 Depth=1
	v_lshl_add_u64 v[10:11], v[14:15], 3, s[16:17]
	global_load_dwordx2 v[12:13], v[10:11], off
	v_lshl_add_u64 v[10:11], v[2:3], 2, s[18:19]
	global_load_dword v8, v[10:11], off
	v_lshl_add_u64 v[10:11], s[46:47], 0, v[0:1]
	v_cmp_le_i64_e32 vcc, s[42:43], v[2:3]
	s_waitcnt vmcnt(1)
	v_subrev_co_u32_e64 v16, s[2:3], s34, v12
	s_nop 1
	v_subbrev_co_u32_e64 v17, s[2:3], 0, v13, s[2:3]
	s_waitcnt vmcnt(0)
	v_subrev_u32_e32 v12, s34, v8
	v_cmp_lt_i64_e64 s[2:3], v[2:3], v[16:17]
	v_ashrrev_i32_e32 v13, 31, v12
	v_lshlrev_b32_e32 v8, 4, v10
	v_cndmask_b32_e64 v17, v15, v5, s[2:3]
	v_cndmask_b32_e64 v16, v14, v4, s[2:3]
	v_cmp_eq_u64_e64 s[2:3], v[16:17], v[12:13]
	s_or_b64 s[2:3], s[2:3], vcc
                                        ; implicit-def: $vgpr2_vgpr3
                                        ; implicit-def: $vgpr14_vgpr15
	s_and_saveexec_b64 s[48:49], s[2:3]
	s_xor_b64 s[2:3], exec, s[48:49]
	s_cbranch_execz .LBB38_64
; %bb.63:                               ;   in Loop: Header=BB38_58 Depth=1
	ds_read_b128 v[2:5], v8
                                        ; implicit-def: $vgpr8
                                        ; implicit-def: $vgpr16_vgpr17
	s_waitcnt lgkmcnt(0)
	v_xor_b32_e32 v15, 0x80000000, v5
	v_mov_b32_e32 v14, v4
.LBB38_64:                              ;   in Loop: Header=BB38_58 Depth=1
	s_andn2_saveexec_b64 s[48:49], s[2:3]
	s_cbranch_execz .LBB38_57
; %bb.65:                               ;   in Loop: Header=BB38_58 Depth=1
	v_cmp_gt_i64_e32 vcc, s[4:5], v[12:13]
	v_cmp_le_i64_e64 s[2:3], s[26:27], v[12:13]
	s_or_b64 s[2:3], vcc, s[2:3]
	v_lshl_add_u64 v[16:17], v[16:17], 4, s[22:23]
                                        ; implicit-def: $vgpr2_vgpr3
                                        ; implicit-def: $vgpr14_vgpr15
	s_and_saveexec_b64 s[50:51], s[2:3]
	s_xor_b64 s[2:3], exec, s[50:51]
	s_cbranch_execz .LBB38_67
; %bb.66:                               ;   in Loop: Header=BB38_58 Depth=1
	global_load_dwordx4 v[14:17], v[16:17], off
	ds_read_b128 v[2:5], v8
	v_lshl_add_u64 v[22:23], v[12:13], 4, s[28:29]
                                        ; implicit-def: $vgpr8
	s_waitcnt vmcnt(0) lgkmcnt(0)
	v_mul_f64 v[24:25], v[16:17], -v[4:5]
	v_mul_f64 v[16:17], v[16:17], v[2:3]
	v_fmac_f64_e32 v[24:25], v[2:3], v[14:15]
	v_fmac_f64_e32 v[16:17], v[4:5], v[14:15]
	global_atomic_add_f64 v[22:23], v[24:25], off
	global_atomic_add_f64 v[22:23], v[16:17], off offset:8
	v_xor_b32_e32 v15, 0x80000000, v5
	v_mov_b32_e32 v14, v4
                                        ; implicit-def: $vgpr16_vgpr17
.LBB38_67:                              ;   in Loop: Header=BB38_58 Depth=1
	s_andn2_saveexec_b64 s[2:3], s[2:3]
	s_cbranch_execz .LBB38_56
; %bb.68:                               ;   in Loop: Header=BB38_58 Depth=1
	global_load_dwordx4 v[14:17], v[16:17], off
	ds_read_b128 v[2:5], v8
	v_subrev_u32_e32 v8, s4, v12
	v_lshl_add_u32 v8, v8, 4, v18
	s_waitcnt vmcnt(0) lgkmcnt(0)
	v_mul_f64 v[22:23], v[16:17], -v[4:5]
	v_mul_f64 v[16:17], v[16:17], v[2:3]
	v_fmac_f64_e32 v[22:23], v[2:3], v[14:15]
	v_fmac_f64_e32 v[16:17], v[4:5], v[14:15]
	ds_add_f64 v8, v[22:23]
	ds_add_f64 v8, v[16:17] offset:8
	v_xor_b32_e32 v15, 0x80000000, v5
	v_mov_b32_e32 v14, v4
	s_branch .LBB38_56
.LBB38_69:
	s_or_b64 exec, exec, s[38:39]
                                        ; implicit-def: $vgpr8_vgpr9
                                        ; implicit-def: $vgpr6_vgpr7
.LBB38_70:
	s_andn2_saveexec_b64 s[14:15], s[14:15]
	s_cbranch_execz .LBB38_112
; %bb.71:
	s_add_u32 s20, s26, -1
	s_addc_u32 s21, s27, -1
	s_add_u32 s0, s26, -2
	s_addc_u32 s1, s27, -1
	s_cmp_lg_u64 s[24:25], s[0:1]
	s_cselect_b64 s[2:3], -1, 0
	s_cmp_eq_u64 s[24:25], s[0:1]
	v_mov_b64_e32 v[10:11], s[24:25]
	v_mov_b64_e32 v[12:13], s[20:21]
	s_cbranch_scc1 .LBB38_75
; %bb.72:
	s_mov_b64 s[38:39], 0
	v_mov_b64_e32 v[10:11], s[24:25]
	v_mov_b64_e32 v[12:13], s[20:21]
	v_mov_b32_e32 v3, 0
.LBB38_73:                              ; =>This Inner Loop Header: Depth=1
	v_lshl_add_u64 v[4:5], v[12:13], 0, v[10:11]
	v_lshrrev_b32_e32 v2, 31, v5
	v_lshl_add_u64 v[4:5], v[4:5], 0, v[2:3]
	v_ashrrev_i64 v[4:5], 1, v[4:5]
	v_lshl_add_u64 v[14:15], v[4:5], 3, s[16:17]
	global_load_dwordx2 v[14:15], v[14:15], off
	s_waitcnt vmcnt(0)
	v_subrev_co_u32_e32 v14, vcc, s34, v14
	s_nop 1
	v_subbrev_co_u32_e32 v15, vcc, 0, v15, vcc
	v_cmp_lt_i64_e32 vcc, v[6:7], v[14:15]
	s_nop 1
	v_cndmask_b32_e32 v13, v13, v5, vcc
	v_cndmask_b32_e32 v12, v12, v4, vcc
	;; [unrolled: 1-line block ×4, first 2 shown]
	v_lshl_add_u64 v[4:5], v[12:13], 0, -1
	v_cmp_ge_i64_e32 vcc, v[10:11], v[12:13]
	v_cmp_eq_u64_e64 s[0:1], v[10:11], v[4:5]
	s_or_b64 s[0:1], vcc, s[0:1]
	s_and_b64 s[0:1], exec, s[0:1]
	s_or_b64 s[38:39], s[0:1], s[38:39]
	s_andn2_b64 exec, exec, s[38:39]
	s_cbranch_execnz .LBB38_73
; %bb.74:
	s_or_b64 exec, exec, s[38:39]
.LBB38_75:
	v_lshl_add_u64 v[2:3], v[12:13], 3, s[16:17]
	global_load_dwordx2 v[4:5], v[2:3], off
	v_lshl_add_u64 v[2:3], v[6:7], 2, s[18:19]
	global_load_dword v16, v[2:3], off
	s_lshl_b64 s[0:1], s[26:27], 3
	s_add_u32 s18, s16, s0
	s_addc_u32 s19, s17, s1
	s_waitcnt vmcnt(1)
	v_subrev_co_u32_e32 v14, vcc, s34, v4
	s_nop 1
	v_subbrev_co_u32_e32 v15, vcc, 0, v5, vcc
	s_waitcnt vmcnt(0)
	v_subrev_u32_e32 v4, s34, v16
	v_cmp_lt_i64_e32 vcc, v[6:7], v[14:15]
	v_ashrrev_i32_e32 v5, 31, v4
	s_nop 0
	v_cndmask_b32_e32 v11, v13, v11, vcc
	v_cndmask_b32_e32 v10, v12, v10, vcc
	v_cmp_ne_u64_e32 vcc, v[10:11], v[4:5]
	s_and_saveexec_b64 s[38:39], vcc
	s_cbranch_execz .LBB38_81
; %bb.76:
	s_load_dwordx2 s[0:1], s[18:19], 0x0
	s_waitcnt lgkmcnt(0)
	s_sub_u32 s0, s0, s34
	s_subb_u32 s1, s1, 0
	v_cmp_gt_i64_e32 vcc, s[0:1], v[6:7]
	s_and_b64 exec, exec, vcc
	s_cbranch_execz .LBB38_81
; %bb.77:
	v_cmp_gt_i64_e32 vcc, s[4:5], v[4:5]
	v_cmp_le_i64_e64 s[0:1], s[26:27], v[4:5]
	s_or_b64 s[0:1], vcc, s[0:1]
	v_lshl_add_u64 v[10:11], v[10:11], 4, s[22:23]
	s_and_saveexec_b64 s[40:41], s[0:1]
	s_xor_b64 s[0:1], exec, s[40:41]
	s_cbranch_execz .LBB38_79
; %bb.78:
	global_load_dwordx4 v[10:13], v[10:11], off
	ds_read_b128 v[14:17], v20
	v_lshl_add_u64 v[18:19], v[4:5], 4, s[28:29]
	s_waitcnt vmcnt(0) lgkmcnt(0)
	v_mul_f64 v[22:23], v[12:13], -v[16:17]
	v_mul_f64 v[12:13], v[12:13], v[14:15]
	v_fmac_f64_e32 v[22:23], v[14:15], v[10:11]
	v_fmac_f64_e32 v[12:13], v[16:17], v[10:11]
	global_atomic_add_f64 v[18:19], v[22:23], off
	global_atomic_add_f64 v[18:19], v[12:13], off offset:8
                                        ; implicit-def: $vgpr10_vgpr11
.LBB38_79:
	s_andn2_saveexec_b64 s[0:1], s[0:1]
	s_cbranch_execz .LBB38_81
; %bb.80:
	global_load_dwordx4 v[10:13], v[10:11], off
	ds_read_b128 v[14:17], v20
	v_subrev_u32_e32 v18, s4, v4
	v_mov_b32_e32 v19, 0x4000
	v_lshl_add_u32 v21, v18, 4, v19
	s_waitcnt vmcnt(0) lgkmcnt(0)
	v_mul_f64 v[18:19], v[12:13], -v[16:17]
	v_mul_f64 v[12:13], v[12:13], v[14:15]
	v_fmac_f64_e32 v[18:19], v[14:15], v[10:11]
	v_fmac_f64_e32 v[12:13], v[16:17], v[10:11]
	ds_add_f64 v21, v[18:19]
	ds_add_f64 v21, v[12:13] offset:8
.LBB38_81:
	s_or_b64 exec, exec, s[38:39]
	v_lshl_add_u64 v[4:5], v[4:5], 4, s[22:23]
	global_load_dwordx4 v[14:17], v[4:5], off
	ds_read_b128 v[22:25], v20
	s_mov_b64 s[0:1], 0x100
	v_cndmask_b32_e64 v10, 0, 1, s[2:3]
	v_mov_b64_e32 v[12:13], s[24:25]
	v_lshl_add_u64 v[4:5], v[6:7], 0, s[0:1]
	v_cmp_ne_u32_e64 s[0:1], 1, v10
	s_andn2_b64 vcc, exec, s[2:3]
	s_waitcnt vmcnt(0) lgkmcnt(0)
	v_mul_f64 v[26:27], v[16:17], -v[24:25]
	v_mul_f64 v[28:29], v[16:17], v[22:23]
	v_fmac_f64_e32 v[26:27], v[22:23], v[14:15]
	v_fmac_f64_e32 v[28:29], v[24:25], v[14:15]
	v_mov_b64_e32 v[14:15], s[20:21]
	ds_write_b128 v20, v[26:29]
	s_cbranch_vccnz .LBB38_85
; %bb.82:
	s_mov_b64 s[38:39], 0
	v_mov_b64_e32 v[12:13], s[24:25]
	v_mov_b64_e32 v[14:15], s[20:21]
	v_mov_b32_e32 v11, 0
.LBB38_83:                              ; =>This Inner Loop Header: Depth=1
	v_lshl_add_u64 v[16:17], v[14:15], 0, v[12:13]
	v_lshrrev_b32_e32 v10, 31, v17
	v_lshl_add_u64 v[16:17], v[16:17], 0, v[10:11]
	v_ashrrev_i64 v[16:17], 1, v[16:17]
	v_lshl_add_u64 v[18:19], v[16:17], 3, s[16:17]
	global_load_dwordx2 v[18:19], v[18:19], off
	s_waitcnt vmcnt(0)
	v_subrev_co_u32_e32 v18, vcc, s34, v18
	s_nop 1
	v_subbrev_co_u32_e32 v19, vcc, 0, v19, vcc
	v_cmp_lt_i64_e32 vcc, v[4:5], v[18:19]
	s_nop 1
	v_cndmask_b32_e32 v15, v15, v17, vcc
	v_cndmask_b32_e32 v14, v14, v16, vcc
	;; [unrolled: 1-line block ×4, first 2 shown]
	v_lshl_add_u64 v[16:17], v[14:15], 0, -1
	v_cmp_ge_i64_e32 vcc, v[12:13], v[14:15]
	v_cmp_eq_u64_e64 s[2:3], v[12:13], v[16:17]
	s_or_b64 s[2:3], vcc, s[2:3]
	s_and_b64 s[2:3], exec, s[2:3]
	s_or_b64 s[38:39], s[2:3], s[38:39]
	s_andn2_b64 exec, exec, s[38:39]
	s_cbranch_execnz .LBB38_83
; %bb.84:
	s_or_b64 exec, exec, s[38:39]
.LBB38_85:
	v_lshl_add_u64 v[10:11], v[14:15], 3, s[16:17]
	global_load_dwordx2 v[16:17], v[10:11], off
	global_load_dword v18, v[2:3], off offset:1024
	s_waitcnt vmcnt(1)
	v_subrev_co_u32_e32 v16, vcc, s34, v16
	s_nop 1
	v_subbrev_co_u32_e32 v17, vcc, 0, v17, vcc
	s_waitcnt vmcnt(0)
	v_subrev_u32_e32 v10, s34, v18
	v_cmp_lt_i64_e32 vcc, v[4:5], v[16:17]
	v_ashrrev_i32_e32 v11, 31, v10
	s_nop 0
	v_cndmask_b32_e32 v13, v15, v13, vcc
	v_cndmask_b32_e32 v12, v14, v12, vcc
	v_cmp_ne_u64_e32 vcc, v[12:13], v[10:11]
	s_and_saveexec_b64 s[38:39], vcc
	s_cbranch_execz .LBB38_91
; %bb.86:
	s_load_dwordx2 s[2:3], s[18:19], 0x0
	s_waitcnt lgkmcnt(0)
	s_sub_u32 s2, s2, s34
	s_subb_u32 s3, s3, 0
	v_cmp_gt_i64_e32 vcc, s[2:3], v[4:5]
	s_and_b64 exec, exec, vcc
	s_cbranch_execz .LBB38_91
; %bb.87:
	v_cmp_gt_i64_e32 vcc, s[4:5], v[10:11]
	v_cmp_le_i64_e64 s[2:3], s[26:27], v[10:11]
	s_or_b64 s[2:3], vcc, s[2:3]
	v_lshl_add_u64 v[4:5], v[12:13], 4, s[22:23]
	s_and_saveexec_b64 s[40:41], s[2:3]
	s_xor_b64 s[2:3], exec, s[40:41]
	s_cbranch_execz .LBB38_89
; %bb.88:
	global_load_dwordx4 v[12:15], v[4:5], off
	ds_read_b128 v[16:19], v20 offset:4096
	v_lshl_add_u64 v[4:5], v[10:11], 4, s[28:29]
	s_waitcnt vmcnt(0) lgkmcnt(0)
	v_mul_f64 v[22:23], v[14:15], -v[18:19]
	v_mul_f64 v[14:15], v[14:15], v[16:17]
	v_fmac_f64_e32 v[22:23], v[16:17], v[12:13]
	v_fmac_f64_e32 v[14:15], v[18:19], v[12:13]
	global_atomic_add_f64 v[4:5], v[22:23], off
	global_atomic_add_f64 v[4:5], v[14:15], off offset:8
                                        ; implicit-def: $vgpr4_vgpr5
.LBB38_89:
	s_andn2_saveexec_b64 s[2:3], s[2:3]
	s_cbranch_execz .LBB38_91
; %bb.90:
	global_load_dwordx4 v[12:15], v[4:5], off
	ds_read_b128 v[16:19], v20 offset:4096
	v_subrev_u32_e32 v4, s4, v10
	v_mov_b32_e32 v5, 0x4000
	v_lshl_add_u32 v21, v4, 4, v5
	s_waitcnt vmcnt(0) lgkmcnt(0)
	v_mul_f64 v[4:5], v[14:15], -v[18:19]
	v_mul_f64 v[14:15], v[14:15], v[16:17]
	v_fmac_f64_e32 v[4:5], v[16:17], v[12:13]
	v_fmac_f64_e32 v[14:15], v[18:19], v[12:13]
	ds_add_f64 v21, v[4:5]
	ds_add_f64 v21, v[14:15] offset:8
.LBB38_91:
	s_or_b64 exec, exec, s[38:39]
	v_lshl_add_u64 v[4:5], v[10:11], 4, s[22:23]
	global_load_dwordx4 v[12:15], v[4:5], off
	ds_read_b128 v[16:19], v20 offset:4096
	s_mov_b64 s[2:3], 0x200
	s_and_b64 vcc, exec, s[0:1]
	v_mov_b64_e32 v[10:11], s[24:25]
	v_lshl_add_u64 v[4:5], v[6:7], 0, s[2:3]
	s_waitcnt vmcnt(0) lgkmcnt(0)
	v_mul_f64 v[22:23], v[14:15], -v[18:19]
	v_mul_f64 v[24:25], v[14:15], v[16:17]
	v_fmac_f64_e32 v[22:23], v[16:17], v[12:13]
	v_fmac_f64_e32 v[24:25], v[18:19], v[12:13]
	v_mov_b64_e32 v[12:13], s[20:21]
	ds_write_b128 v20, v[22:25] offset:4096
	s_cbranch_vccnz .LBB38_95
; %bb.92:
	s_mov_b64 s[38:39], 0
	v_mov_b64_e32 v[10:11], s[24:25]
	v_mov_b64_e32 v[12:13], s[20:21]
	v_mov_b32_e32 v7, 0
.LBB38_93:                              ; =>This Inner Loop Header: Depth=1
	v_lshl_add_u64 v[14:15], v[12:13], 0, v[10:11]
	v_lshrrev_b32_e32 v6, 31, v15
	v_lshl_add_u64 v[14:15], v[14:15], 0, v[6:7]
	v_ashrrev_i64 v[14:15], 1, v[14:15]
	v_lshl_add_u64 v[16:17], v[14:15], 3, s[16:17]
	global_load_dwordx2 v[16:17], v[16:17], off
	s_waitcnt vmcnt(0)
	v_subrev_co_u32_e32 v16, vcc, s34, v16
	s_nop 1
	v_subbrev_co_u32_e32 v17, vcc, 0, v17, vcc
	v_cmp_lt_i64_e32 vcc, v[4:5], v[16:17]
	s_nop 1
	v_cndmask_b32_e32 v13, v13, v15, vcc
	v_cndmask_b32_e32 v12, v12, v14, vcc
	;; [unrolled: 1-line block ×4, first 2 shown]
	v_lshl_add_u64 v[14:15], v[12:13], 0, -1
	v_cmp_ge_i64_e32 vcc, v[10:11], v[12:13]
	v_cmp_eq_u64_e64 s[2:3], v[10:11], v[14:15]
	s_or_b64 s[2:3], vcc, s[2:3]
	s_and_b64 s[2:3], exec, s[2:3]
	s_or_b64 s[38:39], s[2:3], s[38:39]
	s_andn2_b64 exec, exec, s[38:39]
	s_cbranch_execnz .LBB38_93
; %bb.94:
	s_or_b64 exec, exec, s[38:39]
.LBB38_95:
	v_lshl_add_u64 v[6:7], v[12:13], 3, s[16:17]
	global_load_dwordx2 v[14:15], v[6:7], off
	global_load_dword v16, v[2:3], off offset:2048
	s_waitcnt vmcnt(1)
	v_subrev_co_u32_e32 v14, vcc, s34, v14
	s_nop 1
	v_subbrev_co_u32_e32 v15, vcc, 0, v15, vcc
	s_waitcnt vmcnt(0)
	v_subrev_u32_e32 v6, s34, v16
	v_cmp_lt_i64_e32 vcc, v[4:5], v[14:15]
	v_ashrrev_i32_e32 v7, 31, v6
	s_nop 0
	v_cndmask_b32_e32 v11, v13, v11, vcc
	v_cndmask_b32_e32 v10, v12, v10, vcc
	v_cmp_ne_u64_e32 vcc, v[10:11], v[6:7]
	s_and_saveexec_b64 s[38:39], vcc
	s_cbranch_execz .LBB38_101
; %bb.96:
	s_load_dwordx2 s[2:3], s[18:19], 0x0
	s_waitcnt lgkmcnt(0)
	s_sub_u32 s2, s2, s34
	s_subb_u32 s3, s3, 0
	v_cmp_gt_i64_e32 vcc, s[2:3], v[4:5]
	s_and_b64 exec, exec, vcc
	s_cbranch_execz .LBB38_101
; %bb.97:
	v_cmp_gt_i64_e32 vcc, s[4:5], v[6:7]
	v_cmp_le_i64_e64 s[2:3], s[26:27], v[6:7]
	s_or_b64 s[2:3], vcc, s[2:3]
	v_lshl_add_u64 v[4:5], v[10:11], 4, s[22:23]
	s_and_saveexec_b64 s[40:41], s[2:3]
	s_xor_b64 s[2:3], exec, s[40:41]
	s_cbranch_execz .LBB38_99
; %bb.98:
	global_load_dwordx4 v[10:13], v[4:5], off
	ds_read_b128 v[14:17], v20 offset:8192
	v_lshl_add_u64 v[4:5], v[6:7], 4, s[28:29]
	s_waitcnt vmcnt(0) lgkmcnt(0)
	v_mul_f64 v[18:19], v[12:13], -v[16:17]
	v_mul_f64 v[12:13], v[12:13], v[14:15]
	v_fmac_f64_e32 v[18:19], v[14:15], v[10:11]
	v_fmac_f64_e32 v[12:13], v[16:17], v[10:11]
	global_atomic_add_f64 v[4:5], v[18:19], off
	global_atomic_add_f64 v[4:5], v[12:13], off offset:8
                                        ; implicit-def: $vgpr4_vgpr5
.LBB38_99:
	s_andn2_saveexec_b64 s[2:3], s[2:3]
	s_cbranch_execz .LBB38_101
; %bb.100:
	global_load_dwordx4 v[10:13], v[4:5], off
	ds_read_b128 v[14:17], v20 offset:8192
	v_subrev_u32_e32 v4, s4, v6
	v_mov_b32_e32 v5, 0x4000
	v_lshl_add_u32 v18, v4, 4, v5
	s_waitcnt vmcnt(0) lgkmcnt(0)
	v_mul_f64 v[4:5], v[12:13], -v[16:17]
	v_mul_f64 v[12:13], v[12:13], v[14:15]
	v_fmac_f64_e32 v[4:5], v[14:15], v[10:11]
	v_fmac_f64_e32 v[12:13], v[16:17], v[10:11]
	ds_add_f64 v18, v[4:5]
	ds_add_f64 v18, v[12:13] offset:8
.LBB38_101:
	s_or_b64 exec, exec, s[38:39]
	v_lshl_add_u64 v[4:5], v[6:7], 4, s[22:23]
	global_load_dwordx4 v[10:13], v[4:5], off
	ds_read_b128 v[14:17], v20 offset:8192
	s_and_b64 vcc, exec, s[0:1]
	v_mov_b64_e32 v[4:5], s[24:25]
	v_mov_b64_e32 v[6:7], s[20:21]
	s_waitcnt vmcnt(0) lgkmcnt(0)
	v_mul_f64 v[22:23], v[12:13], -v[16:17]
	v_mul_f64 v[24:25], v[12:13], v[14:15]
	v_fmac_f64_e32 v[22:23], v[14:15], v[10:11]
	v_fmac_f64_e32 v[24:25], v[16:17], v[10:11]
	ds_write_b128 v20, v[22:25] offset:8192
	s_cbranch_vccnz .LBB38_105
; %bb.102:
	s_mov_b64 s[2:3], 0
	v_mov_b64_e32 v[4:5], s[24:25]
	v_mov_b64_e32 v[6:7], s[20:21]
	v_mov_b32_e32 v11, 0
.LBB38_103:                             ; =>This Inner Loop Header: Depth=1
	v_lshl_add_u64 v[12:13], v[6:7], 0, v[4:5]
	v_lshrrev_b32_e32 v10, 31, v13
	v_lshl_add_u64 v[12:13], v[12:13], 0, v[10:11]
	v_ashrrev_i64 v[12:13], 1, v[12:13]
	v_lshl_add_u64 v[14:15], v[12:13], 3, s[16:17]
	global_load_dwordx2 v[14:15], v[14:15], off
	s_waitcnt vmcnt(0)
	v_subrev_co_u32_e32 v14, vcc, s34, v14
	s_nop 1
	v_subbrev_co_u32_e32 v15, vcc, 0, v15, vcc
	v_cmp_lt_i64_e32 vcc, v[8:9], v[14:15]
	s_nop 1
	v_cndmask_b32_e32 v7, v7, v13, vcc
	v_cndmask_b32_e32 v6, v6, v12, vcc
	;; [unrolled: 1-line block ×4, first 2 shown]
	v_lshl_add_u64 v[12:13], v[6:7], 0, -1
	v_cmp_ge_i64_e32 vcc, v[4:5], v[6:7]
	v_cmp_eq_u64_e64 s[0:1], v[4:5], v[12:13]
	s_or_b64 s[0:1], vcc, s[0:1]
	s_and_b64 s[0:1], exec, s[0:1]
	s_or_b64 s[2:3], s[0:1], s[2:3]
	s_andn2_b64 exec, exec, s[2:3]
	s_cbranch_execnz .LBB38_103
; %bb.104:
	s_or_b64 exec, exec, s[2:3]
.LBB38_105:
	global_load_dword v12, v[2:3], off offset:3072
	v_lshl_add_u64 v[2:3], v[6:7], 3, s[16:17]
	global_load_dwordx2 v[10:11], v[2:3], off
	s_waitcnt vmcnt(1)
	v_subrev_u32_e32 v2, s34, v12
	v_ashrrev_i32_e32 v3, 31, v2
	s_waitcnt vmcnt(0)
	v_subrev_co_u32_e32 v10, vcc, s34, v10
	s_nop 1
	v_subbrev_co_u32_e32 v11, vcc, 0, v11, vcc
	v_cmp_lt_i64_e32 vcc, v[8:9], v[10:11]
	s_nop 1
	v_cndmask_b32_e32 v5, v7, v5, vcc
	v_cndmask_b32_e32 v4, v6, v4, vcc
	v_cmp_ne_u64_e32 vcc, v[4:5], v[2:3]
	s_and_saveexec_b64 s[2:3], vcc
	s_cbranch_execz .LBB38_111
; %bb.106:
	s_load_dwordx2 s[0:1], s[18:19], 0x0
	s_waitcnt lgkmcnt(0)
	s_sub_u32 s0, s0, s34
	s_subb_u32 s1, s1, 0
	v_cmp_gt_i64_e32 vcc, s[0:1], v[8:9]
	s_and_b64 exec, exec, vcc
	s_cbranch_execz .LBB38_111
; %bb.107:
	v_cmp_gt_i64_e32 vcc, s[4:5], v[2:3]
	v_cmp_le_i64_e64 s[0:1], s[26:27], v[2:3]
	s_or_b64 s[0:1], vcc, s[0:1]
	v_lshl_add_u64 v[4:5], v[4:5], 4, s[22:23]
	s_and_saveexec_b64 s[18:19], s[0:1]
	s_xor_b64 s[0:1], exec, s[18:19]
	s_cbranch_execz .LBB38_109
; %bb.108:
	global_load_dwordx4 v[4:7], v[4:5], off
	ds_read_b128 v[8:11], v20 offset:12288
	v_lshl_add_u64 v[12:13], v[2:3], 4, s[28:29]
	s_waitcnt vmcnt(0) lgkmcnt(0)
	v_mul_f64 v[14:15], v[6:7], -v[10:11]
	v_mul_f64 v[6:7], v[6:7], v[8:9]
	v_fmac_f64_e32 v[14:15], v[8:9], v[4:5]
	v_fmac_f64_e32 v[6:7], v[10:11], v[4:5]
	global_atomic_add_f64 v[12:13], v[14:15], off
	global_atomic_add_f64 v[12:13], v[6:7], off offset:8
                                        ; implicit-def: $vgpr4_vgpr5
.LBB38_109:
	s_andn2_saveexec_b64 s[0:1], s[0:1]
	s_cbranch_execz .LBB38_111
; %bb.110:
	global_load_dwordx4 v[4:7], v[4:5], off
	ds_read_b128 v[8:11], v20 offset:12288
	v_subrev_u32_e32 v12, s4, v2
	v_mov_b32_e32 v13, 0x4000
	v_lshl_add_u32 v14, v12, 4, v13
	s_waitcnt vmcnt(0) lgkmcnt(0)
	v_mul_f64 v[12:13], v[6:7], -v[10:11]
	v_mul_f64 v[6:7], v[6:7], v[8:9]
	v_fmac_f64_e32 v[12:13], v[8:9], v[4:5]
	v_fmac_f64_e32 v[6:7], v[10:11], v[4:5]
	ds_add_f64 v14, v[12:13]
	ds_add_f64 v14, v[6:7] offset:8
.LBB38_111:
	s_or_b64 exec, exec, s[2:3]
	v_lshl_add_u64 v[2:3], v[2:3], 4, s[22:23]
	global_load_dwordx4 v[2:5], v[2:3], off
	ds_read_b128 v[6:9], v20 offset:12288
	s_waitcnt vmcnt(0) lgkmcnt(0)
	v_mul_f64 v[10:11], v[4:5], -v[8:9]
	v_mul_f64 v[12:13], v[4:5], v[6:7]
	v_fmac_f64_e32 v[10:11], v[6:7], v[2:3]
	v_fmac_f64_e32 v[12:13], v[8:9], v[2:3]
	ds_write_b128 v20, v[10:13] offset:12288
.LBB38_112:
	s_or_b64 exec, exec, s[14:15]
	v_mov_b64_e32 v[2:3], s[6:7]
	v_cmp_lt_i64_e32 vcc, s[26:27], v[2:3]
	s_and_b64 s[0:1], vcc, exec
	s_cselect_b32 s18, s26, s6
	s_cselect_b32 s0, s27, s7
	s_sub_u32 s2, s18, s30
	s_subb_u32 s3, s0, s31
	v_cmp_gt_i64_e32 vcc, s[2:3], v[0:1]
	s_waitcnt lgkmcnt(0)
	s_barrier
	s_and_saveexec_b64 s[0:1], vcc
	s_cbranch_execz .LBB38_115
; %bb.113:
	v_mov_b64_e32 v[2:3], s[6:7]
	v_cmp_gt_i64_e32 vcc, s[26:27], v[2:3]
	s_and_b64 s[4:5], vcc, exec
	s_cselect_b32 s5, s27, s7
	s_cselect_b32 s4, s26, s6
	v_lshlrev_b32_e32 v2, 4, v0
	v_mov_b32_e32 v3, 0
	v_lshl_add_u64 v[2:3], s[4:5], 4, v[2:3]
	s_lshl_b64 s[4:5], s[6:7], 4
	v_mov_b32_e32 v4, s5
	v_subrev_co_u32_e32 v2, vcc, s4, v2
	v_or_b32_e32 v2, 8, v2
	s_nop 0
	v_subb_co_u32_e32 v3, vcc, v3, v4, vcc
	v_mov_b32_e32 v4, 0x4000
	v_lshl_add_u64 v[2:3], s[28:29], 0, v[2:3]
	v_lshl_add_u32 v6, v0, 4, v4
	s_mov_b64 s[4:5], 0
	s_mov_b64 s[6:7], 0x100
	;; [unrolled: 1-line block ×3, first 2 shown]
	v_mov_b64_e32 v[4:5], v[0:1]
.LBB38_114:                             ; =>This Inner Loop Header: Depth=1
	ds_read2_b64 v[8:11], v6 offset1:1
	v_lshl_add_u64 v[4:5], v[4:5], 0, s[6:7]
	v_cmp_le_i64_e32 vcc, s[2:3], v[4:5]
	v_add_u32_e32 v6, 0x1000, v6
	s_or_b64 s[4:5], vcc, s[4:5]
	s_waitcnt lgkmcnt(0)
	global_atomic_add_f64 v[2:3], v[8:9], off offset:-8
	global_atomic_add_f64 v[2:3], v[10:11], off
	v_lshl_add_u64 v[2:3], v[2:3], 0, s[14:15]
	s_andn2_b64 exec, exec, s[4:5]
	s_cbranch_execnz .LBB38_114
.LBB38_115:
	s_or_b64 exec, exec, s[0:1]
	s_add_i32 s0, s36, -1
	s_ashr_i32 s1, s0, 1
	s_or_b32 s0, s1, s0
	s_ashr_i32 s1, s0, 2
	s_or_b32 s0, s1, s0
	;; [unrolled: 2-line block ×5, first 2 shown]
	s_add_i32 s0, s0, 1
	s_ashr_i32 s3, s0, 1
	v_lshl_add_u64 v[6:7], s[24:25], 0, v[0:1]
	s_cmp_gt_i32 s3, 1
	s_mov_b64 s[0:1], -1
	s_barrier
	s_cbranch_scc1 .LBB38_124
; %bb.116:
	v_cmp_gt_i64_e32 vcc, s[26:27], v[6:7]
	s_and_saveexec_b64 s[0:1], vcc
	s_cbranch_execz .LBB38_123
; %bb.117:
	s_sub_i32 s4, s18, s26
	s_lshl_b32 s4, s4, 4
	s_add_i32 s18, s4, 0x4000
	s_lshl_b32 s4, s8, 4
	s_sub_i32 s19, 0, s4
	s_mov_b64 s[4:5], 0
	v_mov_b64_e32 v[8:9], v[6:7]
	s_branch .LBB38_119
.LBB38_118:                             ;   in Loop: Header=BB38_119 Depth=1
	s_or_b64 exec, exec, s[6:7]
	v_lshl_add_u32 v2, v8, 4, s18
	ds_read2_b64 v[2:5], v2 offset1:1
	s_waitcnt lgkmcnt(0)
	v_add_f64 v[2:3], v[12:13], v[2:3]
	v_add_f64 v[4:5], v[10:11], v[4:5]
	v_lshl_add_u64 v[10:11], v[8:9], 4, s[28:29]
	global_atomic_add_f64 v[10:11], v[2:3], off
	global_atomic_add_f64 v[10:11], v[4:5], off offset:8
	v_lshl_add_u64 v[8:9], v[8:9], 0, s[12:13]
	v_cmp_le_i64_e32 vcc, s[26:27], v[8:9]
	s_or_b64 s[4:5], vcc, s[4:5]
	s_andn2_b64 exec, exec, s[4:5]
	s_cbranch_execz .LBB38_123
.LBB38_119:                             ; =>This Loop Header: Depth=1
                                        ;     Child Loop BB38_121 Depth 2
	v_lshl_add_u64 v[2:3], v[8:9], 3, s[16:17]
	global_load_dwordx4 v[2:5], v[2:3], off
	v_mov_b64_e32 v[10:11], 0
	v_mov_b64_e32 v[12:13], 0
	s_waitcnt vmcnt(0)
	v_cmp_lt_i64_e32 vcc, v[2:3], v[4:5]
	s_and_saveexec_b64 s[6:7], vcc
	s_cbranch_execz .LBB38_118
; %bb.120:                              ;   in Loop: Header=BB38_119 Depth=1
	v_mov_b32_e32 v10, s9
	v_subrev_co_u32_e32 v4, vcc, s8, v4
	s_mov_b64 s[14:15], 0
	s_nop 0
	v_subb_co_u32_e32 v5, vcc, v5, v10, vcc
	v_subrev_co_u32_e32 v14, vcc, s8, v2
	v_lshl_add_u32 v2, v2, 4, s19
	s_nop 0
	v_subb_co_u32_e32 v15, vcc, v3, v10, vcc
	v_mov_b64_e32 v[10:11], 0
	v_mov_b64_e32 v[12:13], 0
.LBB38_121:                             ;   Parent Loop BB38_119 Depth=1
                                        ; =>  This Inner Loop Header: Depth=2
	ds_read_b128 v[16:19], v2
	v_lshl_add_u64 v[14:15], v[14:15], 0, 1
	v_cmp_ge_i64_e32 vcc, v[14:15], v[4:5]
	v_add_u32_e32 v2, 16, v2
	s_or_b64 s[14:15], vcc, s[14:15]
	s_waitcnt lgkmcnt(0)
	v_add_f64 v[12:13], v[12:13], v[16:17]
	v_add_f64 v[10:11], v[10:11], v[18:19]
	s_andn2_b64 exec, exec, s[14:15]
	s_cbranch_execnz .LBB38_121
; %bb.122:                              ;   in Loop: Header=BB38_119 Depth=1
	s_or_b64 exec, exec, s[14:15]
	s_branch .LBB38_118
.LBB38_123:
	s_or_b64 exec, exec, s[0:1]
	s_mov_b64 s[0:1], 0
.LBB38_124:
	s_andn2_b64 vcc, exec, s[0:1]
	s_cbranch_vccnz .LBB38_141
; %bb.125:
	v_cvt_f32_u32_e32 v2, s3
	s_sub_i32 s12, 0, s3
	v_mov_b32_e32 v3, 0
	v_rcp_iflag_f32_e32 v2, v2
	s_nop 0
	v_mul_f32_e32 v2, 0x4f7ffffe, v2
	v_cvt_u32_f32_e32 v2, v2
	v_mul_lo_u32 v4, s12, v2
	v_mul_hi_u32 v4, v2, v4
	v_add_u32_e32 v2, v2, v4
	v_mul_hi_u32 v2, v0, v2
	v_mul_lo_u32 v4, v2, s3
	v_sub_u32_e32 v4, v0, v4
	v_add_u32_e32 v5, 1, v2
	v_cmp_le_u32_e32 vcc, s3, v4
	s_nop 1
	v_cndmask_b32_e32 v2, v2, v5, vcc
	v_subrev_u32_e32 v5, s3, v4
	v_cndmask_b32_e32 v4, v4, v5, vcc
	v_add_u32_e32 v5, 1, v2
	v_cmp_le_u32_e32 vcc, s3, v4
	s_nop 1
	v_cndmask_b32_e32 v2, v2, v5, vcc
	v_lshl_add_u64 v[4:5], v[2:3], 3, s[10:11]
	global_load_dwordx4 v[8:11], v[4:5], off
	v_mov_b32_e32 v4, s9
	v_mov_b32_e32 v5, s9
	s_waitcnt vmcnt(0)
	v_subrev_co_u32_e32 v8, vcc, s8, v8
	s_nop 1
	v_subb_co_u32_e32 v9, vcc, v9, v4, vcc
	v_subrev_co_u32_e32 v16, vcc, s8, v10
	v_mov_b32_e32 v10, v3
	s_nop 0
	v_subb_co_u32_e32 v17, vcc, v11, v5, vcc
	v_sub_co_u32_e32 v4, vcc, v16, v8
	s_nop 1
	v_subb_co_u32_e32 v5, vcc, v17, v9, vcc
	v_mov_b32_e32 v11, v5
	v_cmp_ne_u64_e32 vcc, 0, v[10:11]
                                        ; implicit-def: $vgpr10_vgpr11
	s_and_saveexec_b64 s[0:1], vcc
	s_xor_b64 s[4:5], exec, s[0:1]
	s_cbranch_execz .LBB38_127
; %bb.126:
	s_add_u32 s0, s3, 0
	s_addc_u32 s1, 0, 0
	s_xor_b64 s[6:7], s[0:1], 0
	v_cvt_f32_u32_e32 v10, s6
	v_cvt_f32_u32_e32 v11, s7
	s_sub_u32 s8, 0, s6
	s_subb_u32 s9, 0, s7
	v_ashrrev_i32_e32 v12, 31, v5
	v_fmamk_f32 v10, v11, 0x4f800000, v10
	v_rcp_f32_e32 v10, v10
	v_mov_b32_e32 v13, v12
	v_lshl_add_u64 v[4:5], v[4:5], 0, v[12:13]
	v_xor_b32_e32 v18, v4, v12
	v_mul_f32_e32 v10, 0x5f7ffffc, v10
	v_mul_f32_e32 v11, 0x2f800000, v10
	v_trunc_f32_e32 v11, v11
	v_fmamk_f32 v10, v11, 0xcf800000, v10
	v_cvt_u32_f32_e32 v11, v11
	v_cvt_u32_f32_e32 v10, v10
	v_xor_b32_e32 v13, v5, v12
	v_readfirstlane_b32 s10, v11
	v_readfirstlane_b32 s0, v10
	s_mul_i32 s1, s8, s10
	s_mul_hi_u32 s13, s8, s0
	s_mul_i32 s11, s9, s0
	s_add_i32 s1, s13, s1
	s_mul_i32 s14, s8, s0
	s_add_i32 s1, s1, s11
	s_mul_i32 s13, s0, s1
	s_mul_hi_u32 s15, s0, s14
	s_mul_hi_u32 s11, s0, s1
	s_add_u32 s13, s15, s13
	s_addc_u32 s11, 0, s11
	s_mul_hi_u32 s16, s10, s14
	s_mul_i32 s14, s10, s14
	s_add_u32 s13, s13, s14
	s_mul_hi_u32 s15, s10, s1
	s_addc_u32 s11, s11, s16
	s_addc_u32 s13, s15, 0
	s_mul_i32 s1, s10, s1
	s_add_u32 s1, s11, s1
	s_addc_u32 s11, 0, s13
	s_add_u32 s13, s0, s1
	s_cselect_b64 s[0:1], -1, 0
	s_cmp_lg_u64 s[0:1], 0
	s_addc_u32 s10, s10, s11
	s_mul_i32 s0, s8, s10
	s_mul_hi_u32 s1, s8, s13
	s_add_i32 s0, s1, s0
	s_mul_i32 s9, s9, s13
	s_add_i32 s0, s0, s9
	s_mul_i32 s8, s8, s13
	s_mul_hi_u32 s9, s10, s8
	s_mul_i32 s11, s10, s8
	s_mul_i32 s15, s13, s0
	s_mul_hi_u32 s8, s13, s8
	s_mul_hi_u32 s14, s13, s0
	s_add_u32 s8, s8, s15
	s_addc_u32 s14, 0, s14
	s_add_u32 s8, s8, s11
	s_mul_hi_u32 s1, s10, s0
	s_addc_u32 s8, s14, s9
	s_addc_u32 s1, s1, 0
	s_mul_i32 s0, s10, s0
	s_add_u32 s0, s8, s0
	s_addc_u32 s8, 0, s1
	s_add_u32 s9, s13, s0
	s_cselect_b64 s[0:1], -1, 0
	s_cmp_lg_u64 s[0:1], 0
	s_addc_u32 s8, s10, s8
	v_mad_u64_u32 v[4:5], s[0:1], v18, s8, 0
	v_mul_hi_u32 v10, v18, s9
	v_mov_b32_e32 v11, v3
	v_lshl_add_u64 v[4:5], v[10:11], 0, v[4:5]
	v_mad_u64_u32 v[14:15], s[0:1], v13, s9, 0
	v_add_co_u32_e32 v4, vcc, v4, v14
	v_mad_u64_u32 v[10:11], s[0:1], v13, s8, 0
	s_nop 0
	v_addc_co_u32_e32 v4, vcc, v5, v15, vcc
	v_mov_b32_e32 v5, v3
	s_nop 0
	v_addc_co_u32_e32 v11, vcc, 0, v11, vcc
	v_lshl_add_u64 v[4:5], v[4:5], 0, v[10:11]
	v_mul_lo_u32 v14, s7, v4
	v_mul_lo_u32 v15, s6, v5
	v_mad_u64_u32 v[10:11], s[0:1], s6, v4, 0
	v_add3_u32 v19, v11, v15, v14
	v_sub_u32_e32 v11, v13, v19
	v_mov_b32_e32 v14, s7
	v_sub_co_u32_e32 v18, vcc, v18, v10
	s_nop 1
	v_subb_co_u32_e64 v10, s[0:1], v11, v14, vcc
	v_subrev_co_u32_e64 v11, s[0:1], s6, v18
	v_subb_co_u32_e32 v13, vcc, v13, v19, vcc
	s_nop 0
	v_subbrev_co_u32_e64 v10, s[0:1], 0, v10, s[0:1]
	v_cmp_le_u32_e64 s[0:1], s7, v10
	v_cmp_le_u32_e32 vcc, s7, v13
	s_nop 0
	v_cndmask_b32_e64 v14, 0, -1, s[0:1]
	v_cmp_le_u32_e64 s[0:1], s6, v11
	s_nop 1
	v_cndmask_b32_e64 v11, 0, -1, s[0:1]
	v_cmp_eq_u32_e64 s[0:1], s7, v10
	s_nop 1
	v_cndmask_b32_e64 v21, v14, v11, s[0:1]
	v_lshl_add_u64 v[10:11], v[4:5], 0, 2
	v_lshl_add_u64 v[14:15], v[4:5], 0, 1
	v_cmp_ne_u32_e64 s[0:1], 0, v21
	s_nop 1
	v_cndmask_b32_e64 v11, v15, v11, s[0:1]
	v_cndmask_b32_e64 v15, 0, -1, vcc
	v_cmp_le_u32_e32 vcc, s6, v18
	v_cndmask_b32_e64 v10, v14, v10, s[0:1]
	s_nop 0
	v_cndmask_b32_e64 v18, 0, -1, vcc
	v_cmp_eq_u32_e32 vcc, s7, v13
	s_nop 1
	v_cndmask_b32_e32 v13, v15, v18, vcc
	v_cmp_ne_u32_e32 vcc, 0, v13
	s_nop 1
	v_cndmask_b32_e32 v4, v4, v10, vcc
	v_cndmask_b32_e32 v5, v5, v11, vcc
	v_xor_b32_e32 v4, v4, v12
	v_xor_b32_e32 v5, v5, v12
	v_sub_co_u32_e32 v10, vcc, v4, v12
                                        ; implicit-def: $vgpr4
	s_nop 1
	v_subb_co_u32_e32 v11, vcc, v5, v12, vcc
.LBB38_127:
	s_andn2_saveexec_b64 s[0:1], s[4:5]
	s_cbranch_execz .LBB38_129
; %bb.128:
	v_cvt_f32_u32_e32 v5, s3
	v_rcp_iflag_f32_e32 v5, v5
	s_nop 0
	v_mul_f32_e32 v5, 0x4f7ffffe, v5
	v_cvt_u32_f32_e32 v5, v5
	v_mul_lo_u32 v10, s12, v5
	v_mul_hi_u32 v10, v5, v10
	v_add_u32_e32 v5, v5, v10
	v_mul_hi_u32 v5, v4, v5
	v_mul_lo_u32 v10, v5, s3
	v_sub_u32_e32 v4, v4, v10
	v_add_u32_e32 v11, 1, v5
	v_subrev_u32_e32 v10, s3, v4
	v_cmp_le_u32_e32 vcc, s3, v4
	s_nop 1
	v_cndmask_b32_e32 v4, v4, v10, vcc
	v_cndmask_b32_e32 v5, v5, v11, vcc
	v_add_u32_e32 v10, 1, v5
	v_cmp_le_u32_e32 vcc, s3, v4
	v_mov_b32_e32 v11, 0
	s_nop 0
	v_cndmask_b32_e32 v10, v5, v10, vcc
.LBB38_129:
	s_or_b64 exec, exec, s[0:1]
	v_cmp_gt_i64_e32 vcc, s[30:31], v[2:3]
	v_mov_b64_e32 v[4:5], 0
	v_mov_b64_e32 v[2:3], 0
	s_and_saveexec_b64 s[0:1], vcc
	s_cbranch_execz .LBB38_137
; %bb.130:
	s_add_i32 s4, s3, -1
	v_and_b32_e32 v12, s4, v0
	s_mov_b64 s[4:5], 0
	v_cmp_lt_i64_e32 vcc, 0, v[10:11]
	v_mov_b64_e32 v[4:5], 0
	v_lshlrev_b32_e32 v18, 4, v12
	v_mov_b64_e32 v[2:3], 0
	s_and_saveexec_b64 s[6:7], vcc
	s_cbranch_execz .LBB38_134
; %bb.131:
	v_mov_b64_e32 v[4:5], 0
	v_lshl_add_u32 v13, v8, 4, v18
	s_lshl_b32 s8, s3, 4
	v_mov_b64_e32 v[14:15], v[10:11]
	v_mov_b64_e32 v[2:3], v[4:5]
.LBB38_132:                             ; =>This Inner Loop Header: Depth=1
	ds_read_b128 v[22:25], v13
	v_lshl_add_u64 v[14:15], v[14:15], 0, -1
	v_cmp_eq_u64_e32 vcc, 0, v[14:15]
	v_add_u32_e32 v13, s8, v13
	s_or_b64 s[4:5], vcc, s[4:5]
	s_waitcnt lgkmcnt(0)
	v_add_f64 v[2:3], v[2:3], v[22:23]
	v_add_f64 v[4:5], v[4:5], v[24:25]
	s_andn2_b64 exec, exec, s[4:5]
	s_cbranch_execnz .LBB38_132
; %bb.133:
	s_or_b64 exec, exec, s[4:5]
.LBB38_134:
	s_or_b64 exec, exec, s[6:7]
	v_mad_u64_u32 v[8:9], s[4:5], v10, s3, v[8:9]
	v_mov_b32_e32 v10, v9
	v_mad_u64_u32 v[10:11], s[4:5], v11, s3, v[10:11]
	v_sub_co_u32_e32 v14, vcc, v16, v8
	v_mov_b32_e32 v13, 0
	s_nop 0
	v_subb_co_u32_e32 v15, vcc, v17, v10, vcc
	v_cmp_gt_i64_e32 vcc, v[14:15], v[12:13]
	s_and_saveexec_b64 s[4:5], vcc
	s_cbranch_execz .LBB38_136
; %bb.135:
	v_lshl_add_u32 v8, v8, 4, v18
	ds_read_b128 v[8:11], v8
	s_waitcnt lgkmcnt(0)
	v_add_f64 v[2:3], v[2:3], v[8:9]
	v_add_f64 v[4:5], v[4:5], v[10:11]
.LBB38_136:
	s_or_b64 exec, exec, s[4:5]
.LBB38_137:
	s_or_b64 exec, exec, s[0:1]
	v_cmp_gt_i64_e32 vcc, s[30:31], v[0:1]
	s_barrier
	ds_write_b128 v20, v[2:5]
	s_waitcnt lgkmcnt(0)
	s_barrier
	s_and_b64 exec, exec, vcc
	s_cbranch_execz .LBB38_141
; %bb.138:
	v_mul_lo_u32 v1, s3, v0
	v_lshlrev_b32_e32 v1, 4, v1
	v_mov_b64_e32 v[2:3], 0
	v_mov_b64_e32 v[4:5], 0
.LBB38_139:                             ; =>This Inner Loop Header: Depth=1
	ds_read_b128 v[8:11], v1
	s_add_i32 s3, s3, -1
	v_add_u32_e32 v1, 16, v1
	s_cmp_eq_u32 s3, 0
	s_waitcnt lgkmcnt(0)
	v_add_f64 v[4:5], v[4:5], v[8:9]
	v_add_f64 v[2:3], v[2:3], v[10:11]
	s_cbranch_scc0 .LBB38_139
; %bb.140:
	s_lshl_b32 s0, s2, 4
	s_addk_i32 s0, 0x4000
	v_lshl_add_u32 v0, v0, 4, s0
	ds_read2_b64 v[8:11], v0 offset1:1
	s_waitcnt lgkmcnt(0)
	v_add_f64 v[0:1], v[4:5], v[8:9]
	v_lshl_add_u64 v[4:5], v[6:7], 4, s[28:29]
	v_add_f64 v[2:3], v[2:3], v[10:11]
	global_atomic_add_f64 v[4:5], v[0:1], off
	global_atomic_add_f64 v[4:5], v[2:3], off offset:8
.LBB38_141:
	s_endpgm
	.section	.rodata,"a",@progbits
	.p2align	6, 0x0
	.amdhsa_kernel _ZN9rocsparseL27csrmvn_symm_adaptive_kernelIli21rocsparse_complex_numIdES2_S2_S2_EEvbT_S3_PKS3_NS_24const_host_device_scalarIT4_EES5_PKT0_PKT1_PKT2_S8_PT3_21rocsparse_index_base_b
		.amdhsa_group_segment_fixed_size 16384
		.amdhsa_private_segment_fixed_size 0
		.amdhsa_kernarg_size 368
		.amdhsa_user_sgpr_count 2
		.amdhsa_user_sgpr_dispatch_ptr 0
		.amdhsa_user_sgpr_queue_ptr 0
		.amdhsa_user_sgpr_kernarg_segment_ptr 1
		.amdhsa_user_sgpr_dispatch_id 0
		.amdhsa_user_sgpr_kernarg_preload_length 0
		.amdhsa_user_sgpr_kernarg_preload_offset 0
		.amdhsa_user_sgpr_private_segment_size 0
		.amdhsa_uses_dynamic_stack 0
		.amdhsa_enable_private_segment 0
		.amdhsa_system_sgpr_workgroup_id_x 1
		.amdhsa_system_sgpr_workgroup_id_y 0
		.amdhsa_system_sgpr_workgroup_id_z 0
		.amdhsa_system_sgpr_workgroup_info 0
		.amdhsa_system_vgpr_workitem_id 0
		.amdhsa_next_free_vgpr 34
		.amdhsa_next_free_sgpr 54
		.amdhsa_accum_offset 36
		.amdhsa_reserve_vcc 1
		.amdhsa_float_round_mode_32 0
		.amdhsa_float_round_mode_16_64 0
		.amdhsa_float_denorm_mode_32 3
		.amdhsa_float_denorm_mode_16_64 3
		.amdhsa_dx10_clamp 1
		.amdhsa_ieee_mode 1
		.amdhsa_fp16_overflow 0
		.amdhsa_tg_split 0
		.amdhsa_exception_fp_ieee_invalid_op 0
		.amdhsa_exception_fp_denorm_src 0
		.amdhsa_exception_fp_ieee_div_zero 0
		.amdhsa_exception_fp_ieee_overflow 0
		.amdhsa_exception_fp_ieee_underflow 0
		.amdhsa_exception_fp_ieee_inexact 0
		.amdhsa_exception_int_div_zero 0
	.end_amdhsa_kernel
	.section	.text._ZN9rocsparseL27csrmvn_symm_adaptive_kernelIli21rocsparse_complex_numIdES2_S2_S2_EEvbT_S3_PKS3_NS_24const_host_device_scalarIT4_EES5_PKT0_PKT1_PKT2_S8_PT3_21rocsparse_index_base_b,"axG",@progbits,_ZN9rocsparseL27csrmvn_symm_adaptive_kernelIli21rocsparse_complex_numIdES2_S2_S2_EEvbT_S3_PKS3_NS_24const_host_device_scalarIT4_EES5_PKT0_PKT1_PKT2_S8_PT3_21rocsparse_index_base_b,comdat
.Lfunc_end38:
	.size	_ZN9rocsparseL27csrmvn_symm_adaptive_kernelIli21rocsparse_complex_numIdES2_S2_S2_EEvbT_S3_PKS3_NS_24const_host_device_scalarIT4_EES5_PKT0_PKT1_PKT2_S8_PT3_21rocsparse_index_base_b, .Lfunc_end38-_ZN9rocsparseL27csrmvn_symm_adaptive_kernelIli21rocsparse_complex_numIdES2_S2_S2_EEvbT_S3_PKS3_NS_24const_host_device_scalarIT4_EES5_PKT0_PKT1_PKT2_S8_PT3_21rocsparse_index_base_b
                                        ; -- End function
	.set _ZN9rocsparseL27csrmvn_symm_adaptive_kernelIli21rocsparse_complex_numIdES2_S2_S2_EEvbT_S3_PKS3_NS_24const_host_device_scalarIT4_EES5_PKT0_PKT1_PKT2_S8_PT3_21rocsparse_index_base_b.num_vgpr, 34
	.set _ZN9rocsparseL27csrmvn_symm_adaptive_kernelIli21rocsparse_complex_numIdES2_S2_S2_EEvbT_S3_PKS3_NS_24const_host_device_scalarIT4_EES5_PKT0_PKT1_PKT2_S8_PT3_21rocsparse_index_base_b.num_agpr, 0
	.set _ZN9rocsparseL27csrmvn_symm_adaptive_kernelIli21rocsparse_complex_numIdES2_S2_S2_EEvbT_S3_PKS3_NS_24const_host_device_scalarIT4_EES5_PKT0_PKT1_PKT2_S8_PT3_21rocsparse_index_base_b.numbered_sgpr, 54
	.set _ZN9rocsparseL27csrmvn_symm_adaptive_kernelIli21rocsparse_complex_numIdES2_S2_S2_EEvbT_S3_PKS3_NS_24const_host_device_scalarIT4_EES5_PKT0_PKT1_PKT2_S8_PT3_21rocsparse_index_base_b.num_named_barrier, 0
	.set _ZN9rocsparseL27csrmvn_symm_adaptive_kernelIli21rocsparse_complex_numIdES2_S2_S2_EEvbT_S3_PKS3_NS_24const_host_device_scalarIT4_EES5_PKT0_PKT1_PKT2_S8_PT3_21rocsparse_index_base_b.private_seg_size, 0
	.set _ZN9rocsparseL27csrmvn_symm_adaptive_kernelIli21rocsparse_complex_numIdES2_S2_S2_EEvbT_S3_PKS3_NS_24const_host_device_scalarIT4_EES5_PKT0_PKT1_PKT2_S8_PT3_21rocsparse_index_base_b.uses_vcc, 1
	.set _ZN9rocsparseL27csrmvn_symm_adaptive_kernelIli21rocsparse_complex_numIdES2_S2_S2_EEvbT_S3_PKS3_NS_24const_host_device_scalarIT4_EES5_PKT0_PKT1_PKT2_S8_PT3_21rocsparse_index_base_b.uses_flat_scratch, 0
	.set _ZN9rocsparseL27csrmvn_symm_adaptive_kernelIli21rocsparse_complex_numIdES2_S2_S2_EEvbT_S3_PKS3_NS_24const_host_device_scalarIT4_EES5_PKT0_PKT1_PKT2_S8_PT3_21rocsparse_index_base_b.has_dyn_sized_stack, 0
	.set _ZN9rocsparseL27csrmvn_symm_adaptive_kernelIli21rocsparse_complex_numIdES2_S2_S2_EEvbT_S3_PKS3_NS_24const_host_device_scalarIT4_EES5_PKT0_PKT1_PKT2_S8_PT3_21rocsparse_index_base_b.has_recursion, 0
	.set _ZN9rocsparseL27csrmvn_symm_adaptive_kernelIli21rocsparse_complex_numIdES2_S2_S2_EEvbT_S3_PKS3_NS_24const_host_device_scalarIT4_EES5_PKT0_PKT1_PKT2_S8_PT3_21rocsparse_index_base_b.has_indirect_call, 0
	.section	.AMDGPU.csdata,"",@progbits
; Kernel info:
; codeLenInByte = 8004
; TotalNumSgprs: 60
; NumVgprs: 34
; NumAgprs: 0
; TotalNumVgprs: 34
; ScratchSize: 0
; MemoryBound: 0
; FloatMode: 240
; IeeeMode: 1
; LDSByteSize: 16384 bytes/workgroup (compile time only)
; SGPRBlocks: 7
; VGPRBlocks: 4
; NumSGPRsForWavesPerEU: 60
; NumVGPRsForWavesPerEU: 34
; AccumOffset: 36
; Occupancy: 8
; WaveLimiterHint : 1
; COMPUTE_PGM_RSRC2:SCRATCH_EN: 0
; COMPUTE_PGM_RSRC2:USER_SGPR: 2
; COMPUTE_PGM_RSRC2:TRAP_HANDLER: 0
; COMPUTE_PGM_RSRC2:TGID_X_EN: 1
; COMPUTE_PGM_RSRC2:TGID_Y_EN: 0
; COMPUTE_PGM_RSRC2:TGID_Z_EN: 0
; COMPUTE_PGM_RSRC2:TIDIG_COMP_CNT: 0
; COMPUTE_PGM_RSRC3_GFX90A:ACCUM_OFFSET: 8
; COMPUTE_PGM_RSRC3_GFX90A:TG_SPLIT: 0
	.section	.text._ZL33csrmvn_symm_large_adaptive_kernelIli21rocsparse_complex_numIdES1_S1_S1_EvbT_PKS2_N9rocsparse24const_host_device_scalarIT4_EES4_PKT0_PKT1_PKT2_S8_PT3_21rocsparse_index_base_b,"axG",@progbits,_ZL33csrmvn_symm_large_adaptive_kernelIli21rocsparse_complex_numIdES1_S1_S1_EvbT_PKS2_N9rocsparse24const_host_device_scalarIT4_EES4_PKT0_PKT1_PKT2_S8_PT3_21rocsparse_index_base_b,comdat
	.globl	_ZL33csrmvn_symm_large_adaptive_kernelIli21rocsparse_complex_numIdES1_S1_S1_EvbT_PKS2_N9rocsparse24const_host_device_scalarIT4_EES4_PKT0_PKT1_PKT2_S8_PT3_21rocsparse_index_base_b ; -- Begin function _ZL33csrmvn_symm_large_adaptive_kernelIli21rocsparse_complex_numIdES1_S1_S1_EvbT_PKS2_N9rocsparse24const_host_device_scalarIT4_EES4_PKT0_PKT1_PKT2_S8_PT3_21rocsparse_index_base_b
	.p2align	8
	.type	_ZL33csrmvn_symm_large_adaptive_kernelIli21rocsparse_complex_numIdES1_S1_S1_EvbT_PKS2_N9rocsparse24const_host_device_scalarIT4_EES4_PKT0_PKT1_PKT2_S8_PT3_21rocsparse_index_base_b,@function
_ZL33csrmvn_symm_large_adaptive_kernelIli21rocsparse_complex_numIdES1_S1_S1_EvbT_PKS2_N9rocsparse24const_host_device_scalarIT4_EES4_PKT0_PKT1_PKT2_S8_PT3_21rocsparse_index_base_b: ; @_ZL33csrmvn_symm_large_adaptive_kernelIli21rocsparse_complex_numIdES1_S1_S1_EvbT_PKS2_N9rocsparse24const_host_device_scalarIT4_EES4_PKT0_PKT1_PKT2_S8_PT3_21rocsparse_index_base_b
; %bb.0:
	s_load_dwordx2 s[24:25], s[0:1], 0x60
	s_load_dwordx2 s[4:5], s[0:1], 0x18
	s_add_u32 s3, s0, 24
	s_addc_u32 s10, s1, 0
	s_waitcnt lgkmcnt(0)
	s_bitcmp1_b32 s25, 0
	s_cselect_b64 s[8:9], -1, 0
	s_and_b64 s[6:7], s[8:9], exec
	s_cselect_b32 s5, s10, s5
	s_cselect_b32 s3, s3, s4
	v_mov_b32_e32 v2, s3
	v_mov_b32_e32 v3, s5
	flat_load_dwordx4 v[2:5], v[2:3]
	s_waitcnt vmcnt(0) lgkmcnt(0)
	v_cmp_eq_f64_e32 vcc, 0, v[2:3]
	v_cmp_eq_f64_e64 s[4:5], 0, v[4:5]
	s_and_b64 s[10:11], vcc, s[4:5]
	s_mov_b64 s[4:5], -1
	s_and_saveexec_b64 s[6:7], s[10:11]
	s_cbranch_execz .LBB39_2
; %bb.1:
	s_load_dwordx2 s[4:5], s[0:1], 0x48
	s_add_u32 s3, s0, 0x48
	s_addc_u32 s10, s1, 0
	s_and_b64 s[8:9], s[8:9], exec
	s_waitcnt lgkmcnt(0)
	s_cselect_b32 s5, s10, s5
	s_cselect_b32 s3, s3, s4
	v_mov_b32_e32 v6, s3
	v_mov_b32_e32 v7, s5
	flat_load_dwordx4 v[6:9], v[6:7]
	s_waitcnt vmcnt(0) lgkmcnt(0)
	v_cmp_neq_f64_e32 vcc, 1.0, v[6:7]
	v_cmp_neq_f64_e64 s[4:5], 0, v[8:9]
	s_or_b64 s[4:5], vcc, s[4:5]
	s_orn2_b64 s[4:5], s[4:5], exec
.LBB39_2:
	s_or_b64 exec, exec, s[6:7]
	s_and_saveexec_b64 s[6:7], s[4:5]
	s_cbranch_execz .LBB39_36
; %bb.3:
	s_load_dword s3, s[0:1], 0x0
	s_load_dwordx2 s[8:9], s[0:1], 0x10
	s_mov_b32 s4, 0
	s_mov_b32 s6, s4
	;; [unrolled: 1-line block ×3, first 2 shown]
	s_waitcnt lgkmcnt(0)
	s_bitcmp1_b32 s3, 0
	s_cselect_b64 s[10:11], -1, 0
	s_ashr_i32 s3, s2, 31
	s_lshl_b64 s[2:3], s[2:3], 3
	s_mov_b32 s5, s4
	v_mov_b64_e32 v[8:9], s[6:7]
	s_add_u32 s2, s8, s2
	v_lshlrev_b32_e32 v18, 4, v0
	v_mov_b64_e32 v[6:7], s[4:5]
	s_addc_u32 s3, s9, s3
	ds_write_b128 v18, v[6:9]
	ds_write_b128 v18, v[6:9] offset:4096
	ds_write_b128 v18, v[6:9] offset:8192
	;; [unrolled: 1-line block ×3, first 2 shown]
	s_waitcnt lgkmcnt(0)
	s_barrier
	s_load_dwordx4 s[20:23], s[2:3], 0x0
	s_load_dwordx2 s[26:27], s[0:1], 0x58
	s_load_dwordx8 s[12:19], s[0:1], 0x28
	v_subrev_co_u32_e64 v10, s[0:1], s24, v0
	s_waitcnt lgkmcnt(0)
	v_mov_b64_e32 v[6:7], s[22:23]
	v_cmp_ge_i64_e32 vcc, s[20:21], v[6:7]
	v_mov_b32_e32 v19, 0
	v_subb_co_u32_e64 v11, s[0:1], 0, 0, s[0:1]
	s_cbranch_vccnz .LBB39_27
; %bb.4:
	s_add_u32 s0, s16, 8
	v_cmp_gt_u32_e64 s[2:3], 64, v0
	v_cmp_gt_u32_e64 s[4:5], 16, v0
	;; [unrolled: 1-line block ×3, first 2 shown]
	v_cmp_eq_u32_e64 s[8:9], 0, v0
	s_addc_u32 s1, s17, 0
	s_mov_b64 s[28:29], 0x100
	s_mov_b64 s[30:31], 0x400
	;; [unrolled: 1-line block ×3, first 2 shown]
	v_mov_b64_e32 v[0:1], s[22:23]
	s_mov_b64 s[36:37], s[20:21]
	s_branch .LBB39_6
.LBB39_5:                               ;   in Loop: Header=BB39_6 Depth=1
	s_or_b64 exec, exec, s[38:39]
	s_add_u32 s36, s36, 1
	s_addc_u32 s37, s37, 0
	v_cmp_ge_i64_e32 vcc, s[36:37], v[0:1]
	s_cbranch_vccnz .LBB39_27
.LBB39_6:                               ; =>This Loop Header: Depth=1
                                        ;     Child Loop BB39_8 Depth 2
                                        ;     Child Loop BB39_20 Depth 2
	;; [unrolled: 1-line block ×3, first 2 shown]
	s_lshl_b64 s[38:39], s[36:37], 3
	s_add_u32 s38, s12, s38
	s_addc_u32 s39, s13, s39
	s_load_dwordx4 s[44:47], s[38:39], 0x0
	v_mov_b64_e32 v[8:9], 0
	v_mov_b64_e32 v[6:7], 0
	s_waitcnt lgkmcnt(0)
	s_sub_u32 s40, s46, s24
	v_lshl_add_u64 v[12:13], s[44:45], 0, v[10:11]
	s_subb_u32 s41, s47, 0
	v_cmp_gt_i64_e32 vcc, s[40:41], v[12:13]
	s_and_saveexec_b64 s[38:39], vcc
	s_cbranch_execz .LBB39_10
; %bb.7:                                ;   in Loop: Header=BB39_6 Depth=1
	v_mov_b64_e32 v[8:9], 0
	v_lshl_add_u64 v[14:15], v[12:13], 2, s[14:15]
	v_lshl_add_u64 v[16:17], v[12:13], 4, s[0:1]
	s_mov_b64 s[42:43], 0
	v_mov_b64_e32 v[6:7], v[8:9]
.LBB39_8:                               ;   Parent Loop BB39_6 Depth=1
                                        ; =>  This Inner Loop Header: Depth=2
	global_load_dword v24, v[14:15], off
	global_load_dwordx4 v[20:23], v[16:17], off offset:-8
	v_lshl_add_u64 v[12:13], v[12:13], 0, s[28:29]
	v_cmp_le_i64_e32 vcc, s[40:41], v[12:13]
	v_lshl_add_u64 v[14:15], v[14:15], 0, s[30:31]
	v_lshl_add_u64 v[16:17], v[16:17], 0, s[34:35]
	s_or_b64 s[42:43], vcc, s[42:43]
	s_waitcnt vmcnt(1)
	v_subrev_u32_e32 v24, s24, v24
	v_ashrrev_i32_e32 v25, 31, v24
	v_lshl_add_u64 v[24:25], v[24:25], 4, s[18:19]
	global_load_dwordx4 v[24:27], v[24:25], off
	s_waitcnt vmcnt(1)
	v_xor_b32_e32 v28, 0x80000000, v23
	v_cndmask_b32_e64 v23, v23, v28, s[10:11]
	s_waitcnt vmcnt(0)
	v_fmac_f64_e32 v[6:7], v[20:21], v[24:25]
	v_fmac_f64_e32 v[8:9], v[22:23], v[24:25]
	v_fma_f64 v[6:7], -v[22:23], v[26:27], v[6:7]
	v_fmac_f64_e32 v[8:9], v[20:21], v[26:27]
	s_andn2_b64 exec, exec, s[42:43]
	s_cbranch_execnz .LBB39_8
; %bb.9:                                ;   in Loop: Header=BB39_6 Depth=1
	s_or_b64 exec, exec, s[42:43]
.LBB39_10:                              ;   in Loop: Header=BB39_6 Depth=1
	s_or_b64 exec, exec, s[38:39]
	ds_write_b128 v18, v[6:9]
	s_waitcnt lgkmcnt(0)
	s_barrier
	ds_read_b128 v[6:9], v18 offset:4096
	ds_read_b128 v[12:15], v18 offset:8192
	;; [unrolled: 1-line block ×3, first 2 shown]
	ds_read_b128 v[24:27], v18
	s_waitcnt lgkmcnt(2)
	v_add_f64 v[6:7], v[12:13], v[6:7]
	v_add_f64 v[8:9], v[14:15], v[8:9]
	s_waitcnt lgkmcnt(1)
	v_add_f64 v[6:7], v[6:7], v[20:21]
	v_add_f64 v[8:9], v[8:9], v[22:23]
	;; [unrolled: 3-line block ×3, first 2 shown]
	ds_write_b128 v18, v[6:9]
	s_waitcnt lgkmcnt(0)
	s_barrier
	s_and_saveexec_b64 s[38:39], s[2:3]
	s_cbranch_execz .LBB39_12
; %bb.11:                               ;   in Loop: Header=BB39_6 Depth=1
	ds_read_b128 v[6:9], v18 offset:1024
	ds_read_b128 v[12:15], v18 offset:2048
	ds_read_b128 v[20:23], v18 offset:3072
	ds_read_b128 v[24:27], v18
	s_waitcnt lgkmcnt(2)
	v_add_f64 v[6:7], v[12:13], v[6:7]
	v_add_f64 v[8:9], v[14:15], v[8:9]
	s_waitcnt lgkmcnt(1)
	v_add_f64 v[6:7], v[6:7], v[20:21]
	v_add_f64 v[8:9], v[8:9], v[22:23]
	s_waitcnt lgkmcnt(0)
	v_add_f64 v[6:7], v[6:7], v[24:25]
	v_add_f64 v[8:9], v[8:9], v[26:27]
	ds_write_b128 v18, v[6:9]
.LBB39_12:                              ;   in Loop: Header=BB39_6 Depth=1
	s_or_b64 exec, exec, s[38:39]
	s_waitcnt lgkmcnt(0)
	s_barrier
	s_and_saveexec_b64 s[38:39], s[4:5]
	s_cbranch_execz .LBB39_14
; %bb.13:                               ;   in Loop: Header=BB39_6 Depth=1
	ds_read_b128 v[6:9], v18 offset:256
	ds_read_b128 v[12:15], v18 offset:512
	ds_read_b128 v[20:23], v18 offset:768
	ds_read_b128 v[24:27], v18
	s_waitcnt lgkmcnt(2)
	v_add_f64 v[6:7], v[12:13], v[6:7]
	v_add_f64 v[8:9], v[14:15], v[8:9]
	s_waitcnt lgkmcnt(1)
	v_add_f64 v[6:7], v[6:7], v[20:21]
	v_add_f64 v[8:9], v[8:9], v[22:23]
	s_waitcnt lgkmcnt(0)
	v_add_f64 v[6:7], v[6:7], v[24:25]
	v_add_f64 v[8:9], v[8:9], v[26:27]
	ds_write_b128 v18, v[6:9]
.LBB39_14:                              ;   in Loop: Header=BB39_6 Depth=1
	s_or_b64 exec, exec, s[38:39]
	;; [unrolled: 21-line block ×4, first 2 shown]
	s_waitcnt lgkmcnt(0)
	s_barrier
	s_and_saveexec_b64 s[38:39], s[8:9]
	s_cbranch_execz .LBB39_5
; %bb.19:                               ;   in Loop: Header=BB39_6 Depth=1
	ds_read_b128 v[6:9], v19
	v_mov_b32_e32 v12, 0
	s_mov_b64 s[40:41], exec
	v_bfrev_b32_e32 v13, 1
	s_waitcnt lgkmcnt(0)
	v_mul_f64 v[14:15], v[8:9], -v[4:5]
	v_fmac_f64_e32 v[14:15], v[2:3], v[6:7]
.LBB39_20:                              ;   Parent Loop BB39_6 Depth=1
                                        ; =>  This Inner Loop Header: Depth=2
	s_ff1_i32_b64 s25, s[40:41]
	s_lshl_b64 s[44:45], 1, s25
	v_readlane_b32 s43, v15, s25
	v_readlane_b32 s42, v14, s25
	s_andn2_b64 s[40:41], s[40:41], s[44:45]
	s_cmp_lg_u64 s[40:41], 0
	v_add_f64 v[12:13], v[12:13], s[42:43]
	s_cbranch_scc1 .LBB39_20
; %bb.21:                               ;   in Loop: Header=BB39_6 Depth=1
	s_lshl_b64 s[40:41], s[36:37], 4
	v_mbcnt_lo_u32_b32 v14, exec_lo, 0
	s_add_u32 s40, s26, s40
	v_mbcnt_hi_u32_b32 v14, exec_hi, v14
	s_addc_u32 s41, s27, s41
	v_cmp_eq_u32_e32 vcc, 0, v14
	s_and_saveexec_b64 s[42:43], vcc
	s_xor_b64 s[42:43], exec, s[42:43]
	s_cbranch_execz .LBB39_23
; %bb.22:                               ;   in Loop: Header=BB39_6 Depth=1
	global_atomic_add_f64 v19, v[12:13], s[40:41]
.LBB39_23:                              ;   in Loop: Header=BB39_6 Depth=1
	s_or_b64 exec, exec, s[42:43]
	v_mul_f64 v[8:9], v[2:3], v[8:9]
	v_fmac_f64_e32 v[8:9], v[4:5], v[6:7]
	v_mov_b32_e32 v6, 0
	s_mov_b64 s[42:43], exec
	v_bfrev_b32_e32 v7, 1
.LBB39_24:                              ;   Parent Loop BB39_6 Depth=1
                                        ; =>  This Inner Loop Header: Depth=2
	s_ff1_i32_b64 s25, s[42:43]
	s_lshl_b64 s[46:47], 1, s25
	v_readlane_b32 s45, v9, s25
	v_readlane_b32 s44, v8, s25
	s_andn2_b64 s[42:43], s[42:43], s[46:47]
	s_cmp_lg_u64 s[42:43], 0
	v_add_f64 v[6:7], v[6:7], s[44:45]
	s_cbranch_scc1 .LBB39_24
; %bb.25:                               ;   in Loop: Header=BB39_6 Depth=1
	v_mbcnt_lo_u32_b32 v8, exec_lo, 0
	v_mbcnt_hi_u32_b32 v8, exec_hi, v8
	v_cmp_eq_u32_e32 vcc, 0, v8
	s_and_saveexec_b64 s[42:43], vcc
	s_xor_b64 s[42:43], exec, s[42:43]
	s_cbranch_execz .LBB39_5
; %bb.26:                               ;   in Loop: Header=BB39_6 Depth=1
	global_atomic_add_f64 v19, v[6:7], s[40:41] offset:8
	s_branch .LBB39_5
.LBB39_27:
	s_lshl_b64 s[0:1], s[20:21], 3
	s_add_u32 s0, s12, s0
	s_addc_u32 s1, s13, s1
	s_lshl_b64 s[2:3], s[22:23], 3
	s_add_u32 s2, s12, s2
	s_addc_u32 s3, s13, s3
	s_load_dwordx2 s[4:5], s[2:3], 0x0
	s_load_dwordx2 s[6:7], s[0:1], 0x0
	s_waitcnt lgkmcnt(0)
	s_sub_u32 s4, s4, s24
	s_subb_u32 s5, s5, 0
	v_lshl_add_u64 v[0:1], s[6:7], 0, v[10:11]
	v_cmp_gt_i64_e32 vcc, s[4:5], v[0:1]
	s_and_b64 exec, exec, vcc
	s_cbranch_execz .LBB39_36
; %bb.28:
	s_add_u32 s6, s22, -1
	s_addc_u32 s7, s23, -1
	s_add_u32 s0, s22, -2
	s_addc_u32 s1, s23, -1
	v_mov_b64_e32 v[6:7], s[6:7]
	s_cmp_lg_u64 s[20:21], s[0:1]
	v_cmp_lt_i64_e32 vcc, s[20:21], v[6:7]
	s_cselect_b64 s[0:1], -1, 0
	s_and_b64 s[0:1], vcc, s[0:1]
	v_cndmask_b32_e64 v6, 0, 1, s[0:1]
	s_mov_b64 s[8:9], 0
	v_cmp_ne_u32_e64 s[2:3], 1, v6
	v_mov_b32_e32 v7, 0
	s_mov_b64 s[22:23], 0x100
	s_branch .LBB39_30
.LBB39_29:                              ;   in Loop: Header=BB39_30 Depth=1
	s_or_b64 exec, exec, s[0:1]
	v_lshl_add_u64 v[0:1], v[0:1], 0, s[22:23]
	v_cmp_le_i64_e32 vcc, s[4:5], v[0:1]
	s_or_b64 s[8:9], vcc, s[8:9]
	s_andn2_b64 exec, exec, s[8:9]
	s_cbranch_execz .LBB39_36
.LBB39_30:                              ; =>This Loop Header: Depth=1
                                        ;     Child Loop BB39_32 Depth 2
	s_and_b64 vcc, exec, s[2:3]
	v_mov_b64_e32 v[8:9], s[20:21]
	v_mov_b64_e32 v[10:11], s[6:7]
	s_cbranch_vccnz .LBB39_34
; %bb.31:                               ;   in Loop: Header=BB39_30 Depth=1
	s_mov_b64 s[28:29], 0
	v_mov_b64_e32 v[8:9], s[20:21]
	v_mov_b64_e32 v[10:11], s[6:7]
.LBB39_32:                              ;   Parent Loop BB39_30 Depth=1
                                        ; =>  This Inner Loop Header: Depth=2
	v_lshl_add_u64 v[12:13], v[10:11], 0, v[8:9]
	v_lshrrev_b32_e32 v6, 31, v13
	v_lshl_add_u64 v[12:13], v[12:13], 0, v[6:7]
	v_ashrrev_i64 v[12:13], 1, v[12:13]
	v_lshl_add_u64 v[14:15], v[12:13], 3, s[12:13]
	global_load_dwordx2 v[14:15], v[14:15], off
	s_waitcnt vmcnt(0)
	v_subrev_co_u32_e32 v14, vcc, s24, v14
	s_nop 1
	v_subbrev_co_u32_e32 v15, vcc, 0, v15, vcc
	v_cmp_lt_i64_e32 vcc, v[0:1], v[14:15]
	s_nop 1
	v_cndmask_b32_e32 v11, v11, v13, vcc
	v_cndmask_b32_e32 v10, v10, v12, vcc
	;; [unrolled: 1-line block ×4, first 2 shown]
	v_lshl_add_u64 v[12:13], v[10:11], 0, -1
	v_cmp_ge_i64_e32 vcc, v[8:9], v[10:11]
	v_cmp_eq_u64_e64 s[0:1], v[8:9], v[12:13]
	s_or_b64 s[0:1], vcc, s[0:1]
	s_and_b64 s[0:1], exec, s[0:1]
	s_or_b64 s[28:29], s[0:1], s[28:29]
	s_andn2_b64 exec, exec, s[28:29]
	s_cbranch_execnz .LBB39_32
; %bb.33:                               ;   in Loop: Header=BB39_30 Depth=1
	s_or_b64 exec, exec, s[28:29]
.LBB39_34:                              ;   in Loop: Header=BB39_30 Depth=1
	v_lshl_add_u64 v[12:13], v[10:11], 3, s[12:13]
	global_load_dwordx2 v[12:13], v[12:13], off
	v_lshl_add_u64 v[14:15], v[0:1], 2, s[14:15]
	global_load_dword v6, v[14:15], off
	s_waitcnt vmcnt(1)
	v_subrev_co_u32_e32 v14, vcc, s24, v12
	s_nop 1
	v_subbrev_co_u32_e32 v15, vcc, 0, v13, vcc
	s_waitcnt vmcnt(0)
	v_subrev_u32_e32 v12, s24, v6
	v_cmp_lt_i64_e32 vcc, v[0:1], v[14:15]
	v_ashrrev_i32_e32 v13, 31, v12
	s_nop 0
	v_cndmask_b32_e32 v9, v11, v9, vcc
	v_cndmask_b32_e32 v8, v10, v8, vcc
	v_cmp_ne_u64_e32 vcc, v[8:9], v[12:13]
	s_and_saveexec_b64 s[0:1], vcc
	s_cbranch_execz .LBB39_29
; %bb.35:                               ;   in Loop: Header=BB39_30 Depth=1
	v_lshl_add_u64 v[10:11], v[0:1], 4, s[16:17]
	global_load_dwordx4 v[14:17], v[10:11], off
	v_lshl_add_u64 v[8:9], v[8:9], 4, s[18:19]
	global_load_dwordx4 v[8:11], v[8:9], off
	v_lshl_add_u64 v[12:13], v[12:13], 4, s[26:27]
	s_waitcnt vmcnt(1)
	v_xor_b32_e32 v6, 0x80000000, v17
	v_cndmask_b32_e64 v17, v17, v6, s[10:11]
	v_mul_f64 v[18:19], v[16:17], -v[4:5]
	v_mul_f64 v[16:17], v[2:3], v[16:17]
	v_fmac_f64_e32 v[16:17], v[4:5], v[14:15]
	v_fmac_f64_e32 v[18:19], v[2:3], v[14:15]
	s_waitcnt vmcnt(0)
	v_mul_f64 v[14:15], v[10:11], -v[16:17]
	v_mul_f64 v[10:11], v[10:11], v[18:19]
	v_fmac_f64_e32 v[14:15], v[18:19], v[8:9]
	v_fmac_f64_e32 v[10:11], v[16:17], v[8:9]
	global_atomic_add_f64 v[12:13], v[14:15], off
	global_atomic_add_f64 v[12:13], v[10:11], off offset:8
	s_branch .LBB39_29
.LBB39_36:
	s_endpgm
	.section	.rodata,"a",@progbits
	.p2align	6, 0x0
	.amdhsa_kernel _ZL33csrmvn_symm_large_adaptive_kernelIli21rocsparse_complex_numIdES1_S1_S1_EvbT_PKS2_N9rocsparse24const_host_device_scalarIT4_EES4_PKT0_PKT1_PKT2_S8_PT3_21rocsparse_index_base_b
		.amdhsa_group_segment_fixed_size 16384
		.amdhsa_private_segment_fixed_size 0
		.amdhsa_kernarg_size 104
		.amdhsa_user_sgpr_count 2
		.amdhsa_user_sgpr_dispatch_ptr 0
		.amdhsa_user_sgpr_queue_ptr 0
		.amdhsa_user_sgpr_kernarg_segment_ptr 1
		.amdhsa_user_sgpr_dispatch_id 0
		.amdhsa_user_sgpr_kernarg_preload_length 0
		.amdhsa_user_sgpr_kernarg_preload_offset 0
		.amdhsa_user_sgpr_private_segment_size 0
		.amdhsa_uses_dynamic_stack 0
		.amdhsa_enable_private_segment 0
		.amdhsa_system_sgpr_workgroup_id_x 1
		.amdhsa_system_sgpr_workgroup_id_y 0
		.amdhsa_system_sgpr_workgroup_id_z 0
		.amdhsa_system_sgpr_workgroup_info 0
		.amdhsa_system_vgpr_workitem_id 0
		.amdhsa_next_free_vgpr 29
		.amdhsa_next_free_sgpr 48
		.amdhsa_accum_offset 32
		.amdhsa_reserve_vcc 1
		.amdhsa_float_round_mode_32 0
		.amdhsa_float_round_mode_16_64 0
		.amdhsa_float_denorm_mode_32 3
		.amdhsa_float_denorm_mode_16_64 3
		.amdhsa_dx10_clamp 1
		.amdhsa_ieee_mode 1
		.amdhsa_fp16_overflow 0
		.amdhsa_tg_split 0
		.amdhsa_exception_fp_ieee_invalid_op 0
		.amdhsa_exception_fp_denorm_src 0
		.amdhsa_exception_fp_ieee_div_zero 0
		.amdhsa_exception_fp_ieee_overflow 0
		.amdhsa_exception_fp_ieee_underflow 0
		.amdhsa_exception_fp_ieee_inexact 0
		.amdhsa_exception_int_div_zero 0
	.end_amdhsa_kernel
	.section	.text._ZL33csrmvn_symm_large_adaptive_kernelIli21rocsparse_complex_numIdES1_S1_S1_EvbT_PKS2_N9rocsparse24const_host_device_scalarIT4_EES4_PKT0_PKT1_PKT2_S8_PT3_21rocsparse_index_base_b,"axG",@progbits,_ZL33csrmvn_symm_large_adaptive_kernelIli21rocsparse_complex_numIdES1_S1_S1_EvbT_PKS2_N9rocsparse24const_host_device_scalarIT4_EES4_PKT0_PKT1_PKT2_S8_PT3_21rocsparse_index_base_b,comdat
.Lfunc_end39:
	.size	_ZL33csrmvn_symm_large_adaptive_kernelIli21rocsparse_complex_numIdES1_S1_S1_EvbT_PKS2_N9rocsparse24const_host_device_scalarIT4_EES4_PKT0_PKT1_PKT2_S8_PT3_21rocsparse_index_base_b, .Lfunc_end39-_ZL33csrmvn_symm_large_adaptive_kernelIli21rocsparse_complex_numIdES1_S1_S1_EvbT_PKS2_N9rocsparse24const_host_device_scalarIT4_EES4_PKT0_PKT1_PKT2_S8_PT3_21rocsparse_index_base_b
                                        ; -- End function
	.set _ZL33csrmvn_symm_large_adaptive_kernelIli21rocsparse_complex_numIdES1_S1_S1_EvbT_PKS2_N9rocsparse24const_host_device_scalarIT4_EES4_PKT0_PKT1_PKT2_S8_PT3_21rocsparse_index_base_b.num_vgpr, 29
	.set _ZL33csrmvn_symm_large_adaptive_kernelIli21rocsparse_complex_numIdES1_S1_S1_EvbT_PKS2_N9rocsparse24const_host_device_scalarIT4_EES4_PKT0_PKT1_PKT2_S8_PT3_21rocsparse_index_base_b.num_agpr, 0
	.set _ZL33csrmvn_symm_large_adaptive_kernelIli21rocsparse_complex_numIdES1_S1_S1_EvbT_PKS2_N9rocsparse24const_host_device_scalarIT4_EES4_PKT0_PKT1_PKT2_S8_PT3_21rocsparse_index_base_b.numbered_sgpr, 48
	.set _ZL33csrmvn_symm_large_adaptive_kernelIli21rocsparse_complex_numIdES1_S1_S1_EvbT_PKS2_N9rocsparse24const_host_device_scalarIT4_EES4_PKT0_PKT1_PKT2_S8_PT3_21rocsparse_index_base_b.num_named_barrier, 0
	.set _ZL33csrmvn_symm_large_adaptive_kernelIli21rocsparse_complex_numIdES1_S1_S1_EvbT_PKS2_N9rocsparse24const_host_device_scalarIT4_EES4_PKT0_PKT1_PKT2_S8_PT3_21rocsparse_index_base_b.private_seg_size, 0
	.set _ZL33csrmvn_symm_large_adaptive_kernelIli21rocsparse_complex_numIdES1_S1_S1_EvbT_PKS2_N9rocsparse24const_host_device_scalarIT4_EES4_PKT0_PKT1_PKT2_S8_PT3_21rocsparse_index_base_b.uses_vcc, 1
	.set _ZL33csrmvn_symm_large_adaptive_kernelIli21rocsparse_complex_numIdES1_S1_S1_EvbT_PKS2_N9rocsparse24const_host_device_scalarIT4_EES4_PKT0_PKT1_PKT2_S8_PT3_21rocsparse_index_base_b.uses_flat_scratch, 0
	.set _ZL33csrmvn_symm_large_adaptive_kernelIli21rocsparse_complex_numIdES1_S1_S1_EvbT_PKS2_N9rocsparse24const_host_device_scalarIT4_EES4_PKT0_PKT1_PKT2_S8_PT3_21rocsparse_index_base_b.has_dyn_sized_stack, 0
	.set _ZL33csrmvn_symm_large_adaptive_kernelIli21rocsparse_complex_numIdES1_S1_S1_EvbT_PKS2_N9rocsparse24const_host_device_scalarIT4_EES4_PKT0_PKT1_PKT2_S8_PT3_21rocsparse_index_base_b.has_recursion, 0
	.set _ZL33csrmvn_symm_large_adaptive_kernelIli21rocsparse_complex_numIdES1_S1_S1_EvbT_PKS2_N9rocsparse24const_host_device_scalarIT4_EES4_PKT0_PKT1_PKT2_S8_PT3_21rocsparse_index_base_b.has_indirect_call, 0
	.section	.AMDGPU.csdata,"",@progbits
; Kernel info:
; codeLenInByte = 2088
; TotalNumSgprs: 54
; NumVgprs: 29
; NumAgprs: 0
; TotalNumVgprs: 29
; ScratchSize: 0
; MemoryBound: 0
; FloatMode: 240
; IeeeMode: 1
; LDSByteSize: 16384 bytes/workgroup (compile time only)
; SGPRBlocks: 6
; VGPRBlocks: 3
; NumSGPRsForWavesPerEU: 54
; NumVGPRsForWavesPerEU: 29
; AccumOffset: 32
; Occupancy: 8
; WaveLimiterHint : 1
; COMPUTE_PGM_RSRC2:SCRATCH_EN: 0
; COMPUTE_PGM_RSRC2:USER_SGPR: 2
; COMPUTE_PGM_RSRC2:TRAP_HANDLER: 0
; COMPUTE_PGM_RSRC2:TGID_X_EN: 1
; COMPUTE_PGM_RSRC2:TGID_Y_EN: 0
; COMPUTE_PGM_RSRC2:TGID_Z_EN: 0
; COMPUTE_PGM_RSRC2:TIDIG_COMP_CNT: 0
; COMPUTE_PGM_RSRC3_GFX90A:ACCUM_OFFSET: 7
; COMPUTE_PGM_RSRC3_GFX90A:TG_SPLIT: 0
	.section	.text._ZN9rocsparseL22csrmvn_adaptive_kernelIll21rocsparse_complex_numIdES2_S2_S2_EEvbT_PKS3_PjPKT0_NS_24const_host_device_scalarIT4_EES5_S9_PKT1_PKT2_SC_PT3_21rocsparse_index_base_b,"axG",@progbits,_ZN9rocsparseL22csrmvn_adaptive_kernelIll21rocsparse_complex_numIdES2_S2_S2_EEvbT_PKS3_PjPKT0_NS_24const_host_device_scalarIT4_EES5_S9_PKT1_PKT2_SC_PT3_21rocsparse_index_base_b,comdat
	.globl	_ZN9rocsparseL22csrmvn_adaptive_kernelIll21rocsparse_complex_numIdES2_S2_S2_EEvbT_PKS3_PjPKT0_NS_24const_host_device_scalarIT4_EES5_S9_PKT1_PKT2_SC_PT3_21rocsparse_index_base_b ; -- Begin function _ZN9rocsparseL22csrmvn_adaptive_kernelIll21rocsparse_complex_numIdES2_S2_S2_EEvbT_PKS3_PjPKT0_NS_24const_host_device_scalarIT4_EES5_S9_PKT1_PKT2_SC_PT3_21rocsparse_index_base_b
	.p2align	8
	.type	_ZN9rocsparseL22csrmvn_adaptive_kernelIll21rocsparse_complex_numIdES2_S2_S2_EEvbT_PKS3_PjPKT0_NS_24const_host_device_scalarIT4_EES5_S9_PKT1_PKT2_SC_PT3_21rocsparse_index_base_b,@function
_ZN9rocsparseL22csrmvn_adaptive_kernelIll21rocsparse_complex_numIdES2_S2_S2_EEvbT_PKS3_PjPKT0_NS_24const_host_device_scalarIT4_EES5_S9_PKT1_PKT2_SC_PT3_21rocsparse_index_base_b: ; @_ZN9rocsparseL22csrmvn_adaptive_kernelIll21rocsparse_complex_numIdES2_S2_S2_EEvbT_PKS3_PjPKT0_NS_24const_host_device_scalarIT4_EES5_S9_PKT1_PKT2_SC_PT3_21rocsparse_index_base_b
; %bb.0:
	s_load_dwordx2 s[4:5], s[0:1], 0x28
	s_load_dwordx2 s[46:47], s[0:1], 0x70
	s_add_u32 s3, s0, 40
	s_addc_u32 s8, s1, 0
	s_add_u32 s9, s0, 0x58
	s_load_dwordx2 s[6:7], s[0:1], 0x58
	s_addc_u32 s10, s1, 0
	s_waitcnt lgkmcnt(0)
	s_bitcmp1_b32 s47, 0
	s_cselect_b32 s5, s8, s5
	s_cselect_b32 s3, s3, s4
	v_mov_b32_e32 v2, s3
	v_mov_b32_e32 v3, s5
	flat_load_dwordx4 v[6:9], v[2:3]
	s_cselect_b32 s3, s10, s7
	s_cselect_b32 s4, s9, s6
	v_mov_b32_e32 v2, s4
	v_mov_b32_e32 v3, s3
	flat_load_dwordx4 v[2:5], v[2:3]
	s_waitcnt vmcnt(0) lgkmcnt(0)
	v_cmp_eq_f64_e32 vcc, 0, v[6:7]
	v_cmp_eq_f64_e64 s[4:5], 0, v[8:9]
	s_and_b64 s[8:9], vcc, s[4:5]
	s_mov_b64 s[4:5], -1
	s_and_saveexec_b64 s[6:7], s[8:9]
; %bb.1:
	v_cmp_neq_f64_e32 vcc, 1.0, v[2:3]
	v_cmp_neq_f64_e64 s[4:5], 0, v[4:5]
	s_or_b64 s[4:5], vcc, s[4:5]
	s_orn2_b64 s[4:5], s[4:5], exec
; %bb.2:
	s_or_b64 exec, exec, s[6:7]
	s_and_saveexec_b64 s[6:7], s[4:5]
	s_cbranch_execz .LBB40_114
; %bb.3:
	s_load_dwordx2 s[8:9], s[0:1], 0x20
	s_load_dword s3, s[0:1], 0x0
	s_load_dwordx2 s[6:7], s[0:1], 0x10
	s_waitcnt lgkmcnt(0)
	s_bitcmp1_b32 s3, 0
	s_cselect_b64 s[4:5], -1, 0
	s_ashr_i32 s3, s2, 31
	s_lshl_b64 s[10:11], s[2:3], 3
	s_add_u32 s6, s6, s10
	s_addc_u32 s7, s7, s11
	s_load_dwordx4 s[36:39], s[6:7], 0x0
	s_load_dwordx2 s[34:35], s[0:1], 0x68
	s_load_dwordx8 s[24:31], s[0:1], 0x38
	s_waitcnt lgkmcnt(0)
	s_sub_u32 s6, s38, s36
	s_subb_u32 s7, s39, s37
	s_add_u32 s8, s8, s10
	s_addc_u32 s9, s9, s11
	s_lshl_b64 s[10:11], s[36:37], 3
	s_add_u32 s44, s24, s10
	s_addc_u32 s45, s25, s11
	s_load_dwordx2 s[40:41], s[8:9], 0x0
	s_load_dwordx2 s[42:43], s[44:45], 0x0
	v_cmp_lt_i64_e64 s[10:11], s[6:7], 2
	s_mov_b64 s[8:9], -1
	s_and_b64 vcc, exec, s[10:11]
	s_cbranch_vccz .LBB40_70
; %bb.4:
	s_cmp_lg_u64 s[6:7], 1
	s_cselect_b64 s[6:7], -1, 0
	s_waitcnt lgkmcnt(0)
	s_cmp_lg_u64 s[40:41], 0
	s_cselect_b64 s[8:9], -1, 0
	s_or_b64 s[6:7], s[6:7], s[8:9]
	s_mov_b64 s[20:21], -1
	s_and_b64 vcc, exec, s[6:7]
	v_cmp_gt_u32_e64 s[6:7], 64, v0
	v_cmp_gt_u32_e64 s[8:9], 32, v0
	;; [unrolled: 1-line block ×6, first 2 shown]
	v_cmp_eq_u32_e64 s[18:19], 0, v0
	s_cbranch_vccnz .LBB40_32
; %bb.5:
	v_subrev_co_u32_e32 v14, vcc, s46, v0
	v_cmp_neq_f64_e64 s[22:23], 0, v[4:5]
	s_nop 0
	v_subb_co_u32_e64 v15, s[20:21], 0, 0, vcc
	v_cmp_neq_f64_e32 vcc, 0, v[2:3]
	s_or_b64 s[22:23], vcc, s[22:23]
	s_movk_i32 s20, 0x80
	s_add_u32 s48, s28, 8
	v_mov_b32_e32 v1, 0
	v_lshlrev_b32_e32 v24, 4, v0
	v_cmp_gt_u32_e64 s[20:21], s20, v0
	s_addc_u32 s49, s29, 0
	s_mov_b64 s[50:51], 0x100
	s_mov_b64 s[52:53], 0x1000
	;; [unrolled: 1-line block ×3, first 2 shown]
	v_mov_b64_e32 v[16:17], s[38:39]
	s_mov_b64 s[56:57], s[36:37]
	s_branch .LBB40_8
.LBB40_6:                               ;   in Loop: Header=BB40_8 Depth=1
	s_or_b64 exec, exec, s[60:61]
	s_lshl_b64 s[60:61], s[56:57], 4
	s_add_u32 s60, s34, s60
	s_addc_u32 s61, s35, s61
	s_waitcnt lgkmcnt(0)
	global_store_dwordx4 v1, v[10:13], s[60:61]
.LBB40_7:                               ;   in Loop: Header=BB40_8 Depth=1
	s_or_b64 exec, exec, s[58:59]
	s_add_u32 s56, s56, 1
	s_addc_u32 s57, s57, 0
	v_cmp_ge_i64_e32 vcc, s[56:57], v[16:17]
	s_cbranch_vccnz .LBB40_31
.LBB40_8:                               ; =>This Loop Header: Depth=1
                                        ;     Child Loop BB40_10 Depth 2
	s_lshl_b64 s[58:59], s[56:57], 3
	s_add_u32 s58, s24, s58
	s_addc_u32 s59, s25, s59
	s_load_dwordx4 s[64:67], s[58:59], 0x0
	v_mov_b64_e32 v[12:13], 0
	v_mov_b64_e32 v[10:11], 0
	s_waitcnt lgkmcnt(0)
	s_sub_u32 s60, s66, s46
	v_lshl_add_u64 v[18:19], s[64:65], 0, v[14:15]
	s_subb_u32 s61, s67, 0
	v_cmp_gt_i64_e32 vcc, s[60:61], v[18:19]
	s_and_saveexec_b64 s[58:59], vcc
	s_cbranch_execz .LBB40_12
; %bb.9:                                ;   in Loop: Header=BB40_8 Depth=1
	v_mov_b64_e32 v[12:13], 0
	v_lshl_add_u64 v[20:21], v[18:19], 4, s[48:49]
	v_lshl_add_u64 v[22:23], v[18:19], 3, s[26:27]
	s_mov_b64 s[62:63], 0
	v_mov_b64_e32 v[10:11], v[12:13]
.LBB40_10:                              ;   Parent Loop BB40_8 Depth=1
                                        ; =>  This Inner Loop Header: Depth=2
	global_load_dwordx2 v[30:31], v[22:23], off
	global_load_dwordx4 v[26:29], v[20:21], off offset:-8
	v_lshl_add_u64 v[18:19], v[18:19], 0, s[50:51]
	v_lshl_add_u64 v[20:21], v[20:21], 0, s[52:53]
	;; [unrolled: 1-line block ×3, first 2 shown]
	s_waitcnt vmcnt(1)
	v_subrev_co_u32_e32 v30, vcc, s46, v30
	s_nop 1
	v_subbrev_co_u32_e32 v31, vcc, 0, v31, vcc
	v_lshl_add_u64 v[30:31], v[30:31], 4, s[30:31]
	global_load_dwordx4 v[30:33], v[30:31], off
	s_waitcnt vmcnt(1)
	v_xor_b32_e32 v25, 0x80000000, v29
	v_cndmask_b32_e64 v29, v29, v25, s[4:5]
	v_mul_f64 v[34:35], v[28:29], -v[8:9]
	v_mul_f64 v[28:29], v[6:7], v[28:29]
	v_fmac_f64_e32 v[34:35], v[6:7], v[26:27]
	v_fmac_f64_e32 v[28:29], v[8:9], v[26:27]
	v_cmp_le_i64_e32 vcc, s[60:61], v[18:19]
	s_or_b64 s[62:63], vcc, s[62:63]
	s_waitcnt vmcnt(0)
	v_fmac_f64_e32 v[10:11], v[34:35], v[30:31]
	v_fmac_f64_e32 v[12:13], v[28:29], v[30:31]
	v_fma_f64 v[10:11], -v[28:29], v[32:33], v[10:11]
	v_fmac_f64_e32 v[12:13], v[34:35], v[32:33]
	s_andn2_b64 exec, exec, s[62:63]
	s_cbranch_execnz .LBB40_10
; %bb.11:                               ;   in Loop: Header=BB40_8 Depth=1
	s_or_b64 exec, exec, s[62:63]
.LBB40_12:                              ;   in Loop: Header=BB40_8 Depth=1
	s_or_b64 exec, exec, s[58:59]
	ds_write_b128 v24, v[10:13]
	s_waitcnt lgkmcnt(0)
	s_barrier
	s_and_saveexec_b64 s[58:59], s[20:21]
	s_cbranch_execz .LBB40_14
; %bb.13:                               ;   in Loop: Header=BB40_8 Depth=1
	ds_read_b128 v[10:13], v24 offset:2048
	ds_read_b128 v[18:21], v24
	s_waitcnt lgkmcnt(0)
	v_add_f64 v[10:11], v[10:11], v[18:19]
	v_add_f64 v[12:13], v[12:13], v[20:21]
	ds_write_b128 v24, v[10:13]
.LBB40_14:                              ;   in Loop: Header=BB40_8 Depth=1
	s_or_b64 exec, exec, s[58:59]
	s_waitcnt lgkmcnt(0)
	s_barrier
	s_and_saveexec_b64 s[58:59], s[6:7]
	s_cbranch_execz .LBB40_16
; %bb.15:                               ;   in Loop: Header=BB40_8 Depth=1
	ds_read_b128 v[10:13], v24 offset:1024
	ds_read_b128 v[18:21], v24
	s_waitcnt lgkmcnt(0)
	v_add_f64 v[10:11], v[10:11], v[18:19]
	v_add_f64 v[12:13], v[12:13], v[20:21]
	ds_write_b128 v24, v[10:13]
.LBB40_16:                              ;   in Loop: Header=BB40_8 Depth=1
	s_or_b64 exec, exec, s[58:59]
	;; [unrolled: 13-line block ×6, first 2 shown]
	s_waitcnt lgkmcnt(0)
	s_barrier
	s_and_saveexec_b64 s[58:59], s[16:17]
	s_cbranch_execz .LBB40_26
; %bb.25:                               ;   in Loop: Header=BB40_8 Depth=1
	ds_read_b128 v[10:13], v24
	ds_read_b128 v[18:21], v24 offset:32
	s_waitcnt lgkmcnt(0)
	v_add_f64 v[10:11], v[18:19], v[10:11]
	v_add_f64 v[12:13], v[20:21], v[12:13]
	ds_write_b128 v24, v[10:13]
.LBB40_26:                              ;   in Loop: Header=BB40_8 Depth=1
	s_or_b64 exec, exec, s[58:59]
	s_waitcnt lgkmcnt(0)
	s_barrier
	s_and_saveexec_b64 s[58:59], s[18:19]
	s_cbranch_execz .LBB40_28
; %bb.27:                               ;   in Loop: Header=BB40_8 Depth=1
	ds_read_b128 v[10:13], v1
	ds_read_b128 v[18:21], v1 offset:16
	s_waitcnt lgkmcnt(0)
	v_add_f64 v[10:11], v[18:19], v[10:11]
	v_add_f64 v[12:13], v[20:21], v[12:13]
	ds_write_b128 v1, v[10:13]
.LBB40_28:                              ;   in Loop: Header=BB40_8 Depth=1
	s_or_b64 exec, exec, s[58:59]
	s_waitcnt lgkmcnt(0)
	s_barrier
	s_and_saveexec_b64 s[58:59], s[18:19]
	s_cbranch_execz .LBB40_7
; %bb.29:                               ;   in Loop: Header=BB40_8 Depth=1
	ds_read_b128 v[10:13], v1
	s_and_saveexec_b64 s[60:61], s[22:23]
	s_cbranch_execz .LBB40_6
; %bb.30:                               ;   in Loop: Header=BB40_8 Depth=1
	s_lshl_b64 s[62:63], s[56:57], 4
	s_add_u32 s62, s34, s62
	s_addc_u32 s63, s35, s63
	global_load_dwordx4 v[18:21], v1, s[62:63]
	s_waitcnt vmcnt(0) lgkmcnt(0)
	v_fmac_f64_e32 v[10:11], v[2:3], v[18:19]
	v_fmac_f64_e32 v[12:13], v[4:5], v[18:19]
	v_fma_f64 v[10:11], -v[4:5], v[20:21], v[10:11]
	v_fmac_f64_e32 v[12:13], v[2:3], v[20:21]
	s_branch .LBB40_6
.LBB40_31:
	s_mov_b64 s[20:21], 0
.LBB40_32:
	s_and_b64 vcc, exec, s[20:21]
	s_cbranch_vccz .LBB40_69
; %bb.33:
	s_load_dwordx2 s[8:9], s[0:1], 0x18
	s_sub_u32 s10, s2, s40
	s_subb_u32 s11, s3, s41
	s_lshl_b64 s[2:3], s[2:3], 2
	v_mov_b32_e32 v1, 0
	s_waitcnt lgkmcnt(0)
	s_add_u32 s6, s8, s2
	s_addc_u32 s7, s9, s3
	global_load_dword v20, v1, s[6:7]
	s_cmp_lg_u64 s[40:41], 0
	s_cselect_b64 s[12:13], -1, 0
	s_cmp_eq_u64 s[40:41], 0
	s_cselect_b64 s[2:3], -1, 0
	v_cmp_eq_u32_e32 vcc, 0, v0
	s_and_b64 s[2:3], vcc, s[2:3]
	v_mov_b64_e32 v[10:11], 0
	v_mov_b64_e32 v[12:13], 0
	s_and_saveexec_b64 s[14:15], s[2:3]
	s_cbranch_execz .LBB40_37
; %bb.34:
	s_lshl_b64 s[2:3], s[36:37], 4
	s_add_u32 s2, s34, s2
	s_addc_u32 s3, s35, s3
	global_load_dwordx4 v[14:17], v1, s[2:3]
	s_mov_b64 s[16:17], exec
	v_mbcnt_lo_u32_b32 v10, s16, 0
	v_add_f64 v[18:19], v[2:3], -1.0
	v_mbcnt_hi_u32_b32 v21, s17, v10
	v_cmp_eq_u32_e64 s[2:3], 0, v21
	s_waitcnt vmcnt(0) expcnt(0) lgkmcnt(0)
	v_mul_f64 v[10:11], v[16:17], -v[4:5]
	v_mul_f64 v[12:13], v[18:19], v[16:17]
	s_and_saveexec_b64 s[18:19], s[2:3]
	s_cbranch_execz .LBB40_36
; %bb.35:
	s_lshl_b64 s[2:3], s[10:11], 2
	s_add_u32 s2, s8, s2
	s_addc_u32 s3, s9, s3
	s_bcnt1_i32_b64 s16, s[16:17]
	s_and_b32 s16, s16, 1
	v_mov_b32_e32 v16, 0
	v_mov_b32_e32 v17, s16
	global_atomic_xor v16, v17, s[2:3]
.LBB40_36:
	s_or_b64 exec, exec, s[18:19]
	v_fmac_f64_e32 v[10:11], v[18:19], v[14:15]
	v_fmac_f64_e32 v[12:13], v[4:5], v[14:15]
.LBB40_37:
	s_or_b64 exec, exec, s[14:15]
	s_mul_i32 s2, s41, 0xc00
	s_mul_hi_u32 s3, s40, 0xc00
	s_add_i32 s14, s3, s2
	s_load_dwordx2 s[2:3], s[44:45], 0x8
	s_sub_u32 s16, s42, s46
	s_mul_i32 s15, s40, 0xc00
	s_subb_u32 s17, s43, 0
	s_add_u32 s18, s16, s15
	s_addc_u32 s19, s17, s14
	s_waitcnt lgkmcnt(0)
	s_sub_u32 s16, s2, s46
	s_subb_u32 s17, s3, 0
	v_lshl_add_u64 v[14:15], s[18:19], 0, v[0:1]
	v_cmp_gt_i64_e64 s[2:3], s[16:17], v[14:15]
	s_and_saveexec_b64 s[14:15], s[2:3]
	s_cbranch_execz .LBB40_41
; %bb.38:
	s_add_u32 s18, s18, 0xc00
	s_addc_u32 s19, s19, 0
	v_mov_b64_e32 v[16:17], s[16:17]
	v_cmp_lt_i64_e64 s[2:3], s[18:19], v[16:17]
	s_and_b64 s[2:3], s[2:3], exec
	v_lshl_add_u64 v[16:17], v[14:15], 4, s[28:29]
	s_cselect_b32 s17, s19, s17
	s_cselect_b32 s16, s18, s16
	v_lshl_add_u64 v[16:17], v[16:17], 0, 8
	v_lshl_add_u64 v[18:19], v[14:15], 3, s[26:27]
	s_mov_b64 s[18:19], 0
	s_mov_b64 s[20:21], 0x100
	;; [unrolled: 1-line block ×4, first 2 shown]
.LBB40_39:                              ; =>This Inner Loop Header: Depth=1
	global_load_dwordx2 v[26:27], v[18:19], off
	global_load_dwordx4 v[22:25], v[16:17], off offset:-8
	v_lshl_add_u64 v[14:15], v[14:15], 0, s[20:21]
	v_lshl_add_u64 v[16:17], v[16:17], 0, s[22:23]
	;; [unrolled: 1-line block ×3, first 2 shown]
	s_waitcnt vmcnt(1)
	v_subrev_co_u32_e64 v26, s[2:3], s46, v26
	s_nop 1
	v_subbrev_co_u32_e64 v27, s[2:3], 0, v27, s[2:3]
	v_lshl_add_u64 v[26:27], v[26:27], 4, s[30:31]
	global_load_dwordx4 v[26:29], v[26:27], off
	s_waitcnt vmcnt(1)
	v_xor_b32_e32 v1, 0x80000000, v25
	v_cndmask_b32_e64 v25, v25, v1, s[4:5]
	v_mul_f64 v[30:31], v[24:25], -v[8:9]
	v_mul_f64 v[24:25], v[6:7], v[24:25]
	v_fmac_f64_e32 v[30:31], v[6:7], v[22:23]
	v_fmac_f64_e32 v[24:25], v[8:9], v[22:23]
	v_cmp_le_i64_e64 s[2:3], s[16:17], v[14:15]
	s_or_b64 s[18:19], s[2:3], s[18:19]
	s_waitcnt vmcnt(0)
	v_fmac_f64_e32 v[10:11], v[30:31], v[26:27]
	v_fmac_f64_e32 v[12:13], v[24:25], v[26:27]
	v_fma_f64 v[10:11], -v[24:25], v[28:29], v[10:11]
	v_fmac_f64_e32 v[12:13], v[30:31], v[28:29]
	s_andn2_b64 exec, exec, s[18:19]
	s_cbranch_execnz .LBB40_39
; %bb.40:
	s_or_b64 exec, exec, s[18:19]
.LBB40_41:
	s_or_b64 exec, exec, s[14:15]
	s_movk_i32 s2, 0x80
	v_lshlrev_b32_e32 v1, 4, v0
	v_cmp_gt_u32_e64 s[2:3], s2, v0
	ds_write_b128 v1, v[10:13]
	s_waitcnt lgkmcnt(0)
	s_barrier
	s_and_saveexec_b64 s[14:15], s[2:3]
	s_cbranch_execz .LBB40_43
; %bb.42:
	ds_read_b128 v[10:13], v1 offset:2048
	ds_read_b128 v[14:17], v1
	s_waitcnt lgkmcnt(0)
	v_add_f64 v[10:11], v[10:11], v[14:15]
	v_add_f64 v[12:13], v[12:13], v[16:17]
	ds_write_b128 v1, v[10:13]
.LBB40_43:
	s_or_b64 exec, exec, s[14:15]
	v_cmp_gt_u32_e64 s[2:3], 64, v0
	s_waitcnt lgkmcnt(0)
	s_barrier
	s_and_saveexec_b64 s[14:15], s[2:3]
	s_cbranch_execz .LBB40_45
; %bb.44:
	ds_read_b128 v[10:13], v1 offset:1024
	ds_read_b128 v[14:17], v1
	s_waitcnt lgkmcnt(0)
	v_add_f64 v[10:11], v[10:11], v[14:15]
	v_add_f64 v[12:13], v[12:13], v[16:17]
	ds_write_b128 v1, v[10:13]
.LBB40_45:
	s_or_b64 exec, exec, s[14:15]
	v_cmp_gt_u32_e64 s[2:3], 32, v0
	;; [unrolled: 14-line block ×6, first 2 shown]
	s_waitcnt lgkmcnt(0)
	s_barrier
	s_and_saveexec_b64 s[14:15], s[2:3]
	s_cbranch_execz .LBB40_55
; %bb.54:
	ds_read_b128 v[10:13], v1
	ds_read_b128 v[14:17], v1 offset:32
	s_waitcnt lgkmcnt(0)
	v_add_f64 v[10:11], v[14:15], v[10:11]
	v_add_f64 v[12:13], v[16:17], v[12:13]
	ds_write_b128 v1, v[10:13]
.LBB40_55:
	s_or_b64 exec, exec, s[14:15]
	s_waitcnt lgkmcnt(0)
	s_barrier
	s_and_saveexec_b64 s[2:3], vcc
	s_cbranch_execz .LBB40_57
; %bb.56:
	v_mov_b32_e32 v1, 0
	ds_read_b128 v[10:13], v1
	ds_read_b128 v[14:17], v1 offset:16
	s_waitcnt lgkmcnt(0)
	v_add_f64 v[10:11], v[14:15], v[10:11]
	v_add_f64 v[12:13], v[16:17], v[12:13]
	ds_write_b128 v1, v[10:13]
.LBB40_57:
	s_or_b64 exec, exec, s[2:3]
	s_waitcnt lgkmcnt(0)
	s_barrier
	s_and_saveexec_b64 s[2:3], vcc
	s_cbranch_execz .LBB40_68
; %bb.58:
	s_andn2_b64 vcc, exec, s[12:13]
	s_cbranch_vccnz .LBB40_64
; %bb.59:
	s_lshl_b64 s[10:11], s[10:11], 2
	s_add_u32 s8, s8, s10
	s_addc_u32 s9, s9, s11
	v_mov_b32_e32 v1, 0
	s_branch .LBB40_61
.LBB40_60:                              ;   in Loop: Header=BB40_61 Depth=1
	s_or_b64 exec, exec, s[10:11]
	s_waitcnt vmcnt(0)
	v_readfirstlane_b32 s10, v10
	s_nop 1
	v_cmp_eq_u32_e32 vcc, s10, v20
	s_cbranch_vccz .LBB40_63
.LBB40_61:                              ; =>This Inner Loop Header: Depth=1
	v_mbcnt_lo_u32_b32 v10, exec_lo, 0
	v_mbcnt_hi_u32_b32 v10, exec_hi, v10
	v_cmp_eq_u32_e32 vcc, 0, v10
                                        ; implicit-def: $vgpr10
	s_and_saveexec_b64 s[10:11], vcc
	s_cbranch_execz .LBB40_60
; %bb.62:                               ;   in Loop: Header=BB40_61 Depth=1
	global_load_dword v10, v1, s[8:9] sc1
	s_branch .LBB40_60
.LBB40_63:
	v_mov_b32_e32 v1, 0
	global_load_ushort v10, v1, s[6:7]
	s_waitcnt vmcnt(0)
	v_xor_b32_e32 v10, 1, v10
	global_store_short v1, v10, s[6:7]
.LBB40_64:
	v_mov_b32_e32 v1, 0
	ds_read_b128 v[10:13], v1
	s_mov_b64 s[8:9], exec
	s_lshl_b64 s[6:7], s[36:37], 4
	v_mbcnt_lo_u32_b32 v14, s8, 0
	s_add_u32 s6, s34, s6
	v_mbcnt_hi_u32_b32 v14, s9, v14
	s_addc_u32 s7, s35, s7
	v_cmp_eq_u32_e32 vcc, 0, v14
	s_and_saveexec_b64 s[10:11], vcc
	s_cbranch_execz .LBB40_66
; %bb.65:
	s_bcnt1_i32_b64 s8, s[8:9]
	v_cvt_f64_u32_e32 v[14:15], s8
	s_waitcnt lgkmcnt(0)
	v_mul_f64 v[10:11], v[10:11], v[14:15]
	global_atomic_add_f64 v1, v[10:11], s[6:7]
.LBB40_66:
	s_or_b64 exec, exec, s[10:11]
	s_mov_b64 s[8:9], exec
	v_mbcnt_lo_u32_b32 v1, s8, 0
	v_mbcnt_hi_u32_b32 v1, s9, v1
	v_cmp_eq_u32_e32 vcc, 0, v1
	s_and_b64 s[10:11], exec, vcc
	s_mov_b64 exec, s[10:11]
	s_cbranch_execz .LBB40_68
; %bb.67:
	s_bcnt1_i32_b64 s8, s[8:9]
	s_waitcnt lgkmcnt(0)
	v_cvt_f64_u32_e32 v[10:11], s8
	v_mul_f64 v[10:11], v[12:13], v[10:11]
	v_mov_b32_e32 v1, 0
	global_atomic_add_f64 v1, v[10:11], s[6:7] offset:8
.LBB40_68:
	s_or_b64 exec, exec, s[2:3]
.LBB40_69:
	s_mov_b64 s[8:9], 0
.LBB40_70:
	s_andn2_b64 vcc, exec, s[8:9]
	s_cbranch_vccnz .LBB40_114
; %bb.71:
	s_load_dwordx2 s[0:1], s[0:1], 0x8
	s_waitcnt lgkmcnt(0)
	v_subrev_co_u32_e32 v10, vcc, s46, v0
	v_mov_b32_e32 v1, 0
	s_nop 0
	v_subb_co_u32_e64 v11, s[2:3], 0, 0, vcc
	v_lshl_add_u64 v[10:11], s[42:43], 0, v[10:11]
	s_mov_b64 s[2:3], 0x300
	v_lshl_add_u64 v[12:13], v[10:11], 0, s[2:3]
	v_cmp_le_i64_e32 vcc, s[0:1], v[12:13]
	s_and_saveexec_b64 s[0:1], vcc
	s_xor_b64 s[0:1], exec, s[0:1]
	s_cbranch_execz .LBB40_76
; %bb.72:
	s_lshl_b64 s[2:3], s[38:39], 3
	s_add_u32 s2, s24, s2
	s_addc_u32 s3, s25, s3
	s_load_dwordx2 s[2:3], s[2:3], 0x0
	s_waitcnt lgkmcnt(0)
	s_sub_u32 s2, s2, s46
	s_subb_u32 s3, s3, 0
	v_cmp_gt_i64_e32 vcc, s[2:3], v[10:11]
	s_and_saveexec_b64 s[6:7], vcc
	s_cbranch_execz .LBB40_75
; %bb.73:
	v_lshl_add_u64 v[12:13], v[10:11], 4, s[28:29]
	v_lshlrev_b32_e32 v16, 4, v0
	v_lshl_add_u64 v[12:13], v[12:13], 0, 8
	v_lshl_add_u64 v[14:15], v[10:11], 3, s[26:27]
	s_mov_b64 s[8:9], 0
	s_mov_b64 s[10:11], 0x100
	;; [unrolled: 1-line block ×4, first 2 shown]
.LBB40_74:                              ; =>This Inner Loop Header: Depth=1
	global_load_dwordx2 v[22:23], v[14:15], off
	global_load_dwordx4 v[18:21], v[12:13], off offset:-8
	v_lshl_add_u64 v[10:11], v[10:11], 0, s[10:11]
	v_lshl_add_u64 v[12:13], v[12:13], 0, s[12:13]
	;; [unrolled: 1-line block ×3, first 2 shown]
	s_waitcnt vmcnt(1)
	v_subrev_co_u32_e32 v22, vcc, s46, v22
	s_nop 1
	v_subbrev_co_u32_e32 v23, vcc, 0, v23, vcc
	v_lshl_add_u64 v[22:23], v[22:23], 4, s[30:31]
	global_load_dwordx4 v[22:25], v[22:23], off
	s_waitcnt vmcnt(1)
	v_xor_b32_e32 v17, 0x80000000, v21
	v_cndmask_b32_e64 v21, v21, v17, s[4:5]
	v_mul_f64 v[26:27], v[20:21], -v[8:9]
	v_mul_f64 v[28:29], v[6:7], v[20:21]
	v_fmac_f64_e32 v[26:27], v[6:7], v[18:19]
	v_fmac_f64_e32 v[28:29], v[8:9], v[18:19]
	v_cmp_le_i64_e32 vcc, s[2:3], v[10:11]
	s_or_b64 s[8:9], vcc, s[8:9]
	s_waitcnt vmcnt(0)
	v_mul_f64 v[18:19], v[24:25], -v[28:29]
	v_mul_f64 v[20:21], v[24:25], v[26:27]
	v_fmac_f64_e32 v[18:19], v[26:27], v[22:23]
	v_fmac_f64_e32 v[20:21], v[28:29], v[22:23]
	ds_write_b128 v16, v[18:21]
	v_add_u32_e32 v16, 0x1000, v16
	s_andn2_b64 exec, exec, s[8:9]
	s_cbranch_execnz .LBB40_74
.LBB40_75:
	s_or_b64 exec, exec, s[6:7]
                                        ; implicit-def: $vgpr10_vgpr11
                                        ; implicit-def: $vgpr8_vgpr9
.LBB40_76:
	s_or_saveexec_b64 s[0:1], s[0:1]
	v_lshlrev_b32_e32 v18, 4, v0
	s_xor_b64 exec, exec, s[0:1]
	s_cbranch_execz .LBB40_78
; %bb.77:
	v_lshl_add_u64 v[12:13], v[10:11], 3, s[26:27]
	global_load_dwordx2 v[28:29], v[12:13], off
	global_load_dwordx2 v[30:31], v[12:13], off offset:2048
	s_movk_i32 s2, 0x1000
	v_add_co_u32_e32 v12, vcc, s2, v12
	v_lshl_add_u64 v[14:15], v[10:11], 4, s[28:29]
	s_nop 0
	v_addc_co_u32_e32 v13, vcc, 0, v13, vcc
	global_load_dwordx2 v[32:33], v[12:13], off
	global_load_dwordx2 v[36:37], v[12:13], off offset:2048
	s_movk_i32 s2, 0x2000
	v_add_co_u32_e32 v34, vcc, s2, v14
	s_movk_i32 s3, 0x3000
	s_nop 0
	v_addc_co_u32_e32 v35, vcc, 0, v15, vcc
	v_add_co_u32_e32 v38, vcc, s3, v14
	global_load_dwordx4 v[10:13], v[14:15], off
	s_nop 0
	v_addc_co_u32_e32 v39, vcc, 0, v15, vcc
	global_load_dwordx4 v[14:17], v[34:35], off offset:-4096
	global_load_dwordx4 v[20:23], v[34:35], off
	global_load_dwordx4 v[24:27], v[38:39], off
	s_waitcnt vmcnt(7)
	v_subrev_co_u32_e32 v28, vcc, s46, v28
	s_nop 1
	v_subbrev_co_u32_e32 v29, vcc, 0, v29, vcc
	s_waitcnt vmcnt(6)
	v_subrev_co_u32_e32 v30, vcc, s46, v30
	v_lshl_add_u64 v[28:29], v[28:29], 4, s[30:31]
	s_nop 0
	v_subbrev_co_u32_e32 v31, vcc, 0, v31, vcc
	s_waitcnt vmcnt(5)
	v_subrev_co_u32_e32 v38, vcc, s46, v32
	v_lshl_add_u64 v[34:35], v[30:31], 4, s[30:31]
	s_nop 0
	v_subbrev_co_u32_e32 v39, vcc, 0, v33, vcc
	s_waitcnt vmcnt(4)
	v_subrev_co_u32_e32 v40, vcc, s46, v36
	global_load_dwordx4 v[28:31], v[28:29], off
	s_nop 0
	v_subbrev_co_u32_e32 v41, vcc, 0, v37, vcc
	global_load_dwordx4 v[32:35], v[34:35], off
	v_lshl_add_u64 v[36:37], v[38:39], 4, s[30:31]
	global_load_dwordx4 v[36:39], v[36:37], off
	v_lshl_add_u64 v[40:41], v[40:41], 4, s[30:31]
	global_load_dwordx4 v[40:43], v[40:41], off
	s_waitcnt vmcnt(7)
	v_xor_b32_e32 v19, 0x80000000, v13
	v_cndmask_b32_e64 v13, v13, v19, s[4:5]
	s_waitcnt vmcnt(6)
	v_xor_b32_e32 v19, 0x80000000, v17
	s_waitcnt vmcnt(5)
	v_xor_b32_e32 v48, 0x80000000, v23
	;; [unrolled: 2-line block ×3, first 2 shown]
	v_cndmask_b32_e64 v17, v17, v19, s[4:5]
	v_cndmask_b32_e64 v23, v23, v48, s[4:5]
	;; [unrolled: 1-line block ×3, first 2 shown]
	v_mul_f64 v[48:49], v[16:17], -v[8:9]
	v_mul_f64 v[44:45], v[12:13], -v[8:9]
	v_mul_f64 v[46:47], v[6:7], v[12:13]
	v_mul_f64 v[16:17], v[6:7], v[16:17]
	v_mul_f64 v[50:51], v[22:23], -v[8:9]
	v_mul_f64 v[52:53], v[6:7], v[22:23]
	v_fmac_f64_e32 v[48:49], v[6:7], v[14:15]
	v_fmac_f64_e32 v[44:45], v[6:7], v[10:11]
	;; [unrolled: 1-line block ×3, first 2 shown]
	v_mul_f64 v[54:55], v[26:27], -v[8:9]
	v_mul_f64 v[26:27], v[6:7], v[26:27]
	v_fmac_f64_e32 v[16:17], v[8:9], v[14:15]
	v_fmac_f64_e32 v[50:51], v[6:7], v[20:21]
	;; [unrolled: 1-line block ×5, first 2 shown]
	s_waitcnt vmcnt(3)
	v_mul_f64 v[6:7], v[30:31], -v[46:47]
	v_mul_f64 v[8:9], v[30:31], v[44:45]
	v_fmac_f64_e32 v[6:7], v[44:45], v[28:29]
	s_waitcnt vmcnt(2)
	v_mul_f64 v[12:13], v[34:35], v[48:49]
	v_mul_f64 v[10:11], v[34:35], -v[16:17]
	v_fmac_f64_e32 v[12:13], v[16:17], v[32:33]
	s_waitcnt vmcnt(1)
	v_mul_f64 v[14:15], v[38:39], -v[52:53]
	v_mul_f64 v[16:17], v[38:39], v[50:51]
	v_fmac_f64_e32 v[8:9], v[46:47], v[28:29]
	s_waitcnt vmcnt(0)
	v_mul_f64 v[20:21], v[42:43], -v[26:27]
	v_mul_f64 v[22:23], v[42:43], v[54:55]
	v_fmac_f64_e32 v[14:15], v[50:51], v[36:37]
	v_fmac_f64_e32 v[16:17], v[52:53], v[36:37]
	;; [unrolled: 1-line block ×3, first 2 shown]
	ds_write_b128 v18, v[6:9]
	ds_write_b128 v18, v[10:13] offset:4096
	v_fmac_f64_e32 v[20:21], v[54:55], v[40:41]
	v_fmac_f64_e32 v[22:23], v[26:27], v[40:41]
	ds_write_b128 v18, v[14:17] offset:8192
	ds_write_b128 v18, v[20:23] offset:12288
.LBB40_78:
	s_or_b64 exec, exec, s[0:1]
	v_cmp_lt_i64_e64 s[2:3], s[40:41], 2
	s_mov_b64 s[0:1], -1
	s_and_b64 vcc, exec, s[2:3]
	s_waitcnt lgkmcnt(0)
	s_barrier
	s_cbranch_vccz .LBB40_89
; %bb.79:
	v_lshl_add_u64 v[14:15], s[36:37], 0, v[0:1]
	v_cmp_gt_i64_e32 vcc, s[38:39], v[14:15]
	s_and_saveexec_b64 s[2:3], vcc
	s_cbranch_execz .LBB40_88
; %bb.80:
	v_cmp_neq_f64_e32 vcc, 0, v[2:3]
	v_cmp_neq_f64_e64 s[0:1], 0, v[4:5]
	s_lshl_b32 s6, s42, 4
	s_mov_b64 s[4:5], 0
	s_or_b64 s[0:1], vcc, s[0:1]
	s_sub_i32 s12, 0, s6
	s_mov_b64 s[6:7], 0x100
	s_branch .LBB40_82
.LBB40_81:                              ;   in Loop: Header=BB40_82 Depth=1
	s_or_b64 exec, exec, s[8:9]
	v_lshl_add_u64 v[14:15], v[14:15], 0, s[6:7]
	v_cmp_le_i64_e32 vcc, s[38:39], v[14:15]
	s_or_b64 s[4:5], vcc, s[4:5]
	global_store_dwordx4 v[10:11], v[6:9], off
	s_andn2_b64 exec, exec, s[4:5]
	s_cbranch_execz .LBB40_88
.LBB40_82:                              ; =>This Loop Header: Depth=1
                                        ;     Child Loop BB40_84 Depth 2
	v_lshl_add_u64 v[6:7], v[14:15], 3, s[24:25]
	global_load_dwordx4 v[10:13], v[6:7], off
	v_mov_b64_e32 v[8:9], 0
	v_mov_b64_e32 v[6:7], 0
	s_waitcnt vmcnt(0)
	v_cmp_lt_i64_e32 vcc, v[10:11], v[12:13]
	s_and_saveexec_b64 s[8:9], vcc
	s_cbranch_execz .LBB40_86
; %bb.83:                               ;   in Loop: Header=BB40_82 Depth=1
	v_mov_b32_e32 v1, s43
	v_subrev_co_u32_e32 v12, vcc, s42, v12
	v_mov_b64_e32 v[8:9], 0
	s_nop 0
	v_subb_co_u32_e32 v13, vcc, v13, v1, vcc
	v_subrev_co_u32_e32 v16, vcc, s42, v10
	s_mov_b64 s[10:11], 0
	s_nop 0
	v_subb_co_u32_e32 v17, vcc, v11, v1, vcc
	v_lshl_add_u32 v1, v10, 4, s12
	v_mov_b64_e32 v[6:7], v[8:9]
.LBB40_84:                              ;   Parent Loop BB40_82 Depth=1
                                        ; =>  This Inner Loop Header: Depth=2
	ds_read_b128 v[20:23], v1
	v_lshl_add_u64 v[16:17], v[16:17], 0, 1
	v_cmp_ge_i64_e32 vcc, v[16:17], v[12:13]
	v_add_u32_e32 v1, 16, v1
	s_or_b64 s[10:11], vcc, s[10:11]
	s_waitcnt lgkmcnt(0)
	v_add_f64 v[6:7], v[6:7], v[20:21]
	v_add_f64 v[8:9], v[8:9], v[22:23]
	s_andn2_b64 exec, exec, s[10:11]
	s_cbranch_execnz .LBB40_84
; %bb.85:                               ;   in Loop: Header=BB40_82 Depth=1
	s_or_b64 exec, exec, s[10:11]
.LBB40_86:                              ;   in Loop: Header=BB40_82 Depth=1
	s_or_b64 exec, exec, s[8:9]
	v_lshl_add_u64 v[10:11], v[14:15], 4, s[34:35]
	s_and_saveexec_b64 s[8:9], s[0:1]
	s_cbranch_execz .LBB40_81
; %bb.87:                               ;   in Loop: Header=BB40_82 Depth=1
	global_load_dwordx4 v[20:23], v[10:11], off
	s_waitcnt vmcnt(0)
	v_fmac_f64_e32 v[6:7], v[2:3], v[20:21]
	v_fmac_f64_e32 v[8:9], v[4:5], v[20:21]
	v_fma_f64 v[6:7], -v[4:5], v[22:23], v[6:7]
	v_fmac_f64_e32 v[8:9], v[2:3], v[22:23]
	s_branch .LBB40_81
.LBB40_88:
	s_or_b64 exec, exec, s[2:3]
	s_mov_b64 s[0:1], 0
.LBB40_89:
	s_andn2_b64 vcc, exec, s[0:1]
	s_cbranch_vccnz .LBB40_114
; %bb.90:
	s_flbit_i32_b32 s0, s40
	s_min_u32 s0, s0, 32
	s_sub_i32 s0, 31, s0
	v_lshrrev_b32_e32 v12, s0, v0
	v_mov_b32_e32 v13, 0
	v_lshl_add_u64 v[10:11], s[36:37], 0, v[12:13]
	s_add_i32 s0, s40, -1
	v_mov_b64_e32 v[6:7], 0
	v_and_b32_e32 v0, s0, v0
	v_mov_b32_e32 v1, v13
	v_cmp_le_i64_e64 s[0:1], s[38:39], v[10:11]
	v_cmp_gt_i64_e32 vcc, s[38:39], v[10:11]
	v_mov_b64_e32 v[8:9], v[6:7]
	s_and_saveexec_b64 s[2:3], vcc
	s_cbranch_execz .LBB40_96
; %bb.91:
	v_lshlrev_b32_e32 v6, 3, v12
	global_load_dwordx4 v[14:17], v6, s[44:45]
	v_mov_b32_e32 v7, s43
	v_subrev_co_u32_e32 v6, vcc, s42, v0
	v_mov_b32_e32 v13, s43
	s_nop 0
	v_subb_co_u32_e32 v7, vcc, 0, v7, vcc
	v_mov_b64_e32 v[8:9], 0
	s_waitcnt vmcnt(0)
	v_subrev_co_u32_e32 v12, vcc, s42, v16
	s_nop 1
	v_subb_co_u32_e32 v13, vcc, v17, v13, vcc
	v_lshl_add_u64 v[14:15], v[14:15], 0, v[6:7]
	v_cmp_lt_i64_e32 vcc, v[14:15], v[12:13]
	v_mov_b64_e32 v[6:7], 0
	s_and_saveexec_b64 s[4:5], vcc
	s_cbranch_execz .LBB40_95
; %bb.92:
	v_mov_b64_e32 v[8:9], 0
	v_lshlrev_b32_e32 v16, 4, v14
	s_lshl_b32 s8, s40, 4
	s_mov_b64 s[6:7], 0
	v_mov_b64_e32 v[6:7], v[8:9]
.LBB40_93:                              ; =>This Inner Loop Header: Depth=1
	ds_read_b128 v[20:23], v16
	v_lshl_add_u64 v[14:15], v[14:15], 0, s[40:41]
	v_cmp_ge_i64_e32 vcc, v[14:15], v[12:13]
	v_add_u32_e32 v16, s8, v16
	s_or_b64 s[6:7], vcc, s[6:7]
	s_waitcnt lgkmcnt(0)
	v_add_f64 v[6:7], v[6:7], v[20:21]
	v_add_f64 v[8:9], v[8:9], v[22:23]
	s_andn2_b64 exec, exec, s[6:7]
	s_cbranch_execnz .LBB40_93
; %bb.94:
	s_or_b64 exec, exec, s[6:7]
.LBB40_95:
	s_or_b64 exec, exec, s[4:5]
.LBB40_96:
	s_or_b64 exec, exec, s[2:3]
	v_mov_b64_e32 v[12:13], 0x81
	v_cmp_lt_u64_e32 vcc, s[40:41], v[12:13]
	s_and_b64 vcc, exec, vcc
	s_barrier
	ds_write_b128 v18, v[6:9]
	s_waitcnt lgkmcnt(0)
	s_barrier
	s_cbranch_vccnz .LBB40_98
; %bb.97:
	ds_read_b128 v[12:15], v18 offset:2048
	s_waitcnt lgkmcnt(0)
	s_barrier
	v_add_f64 v[6:7], v[6:7], v[12:13]
	v_add_f64 v[8:9], v[8:9], v[14:15]
	ds_write_b128 v18, v[6:9]
.LBB40_98:
	v_mov_b64_e32 v[12:13], 0x41
	v_cmp_lt_u64_e32 vcc, s[40:41], v[12:13]
	s_waitcnt lgkmcnt(0)
	s_barrier
	s_cbranch_vccnz .LBB40_100
; %bb.99:
	ds_read_b128 v[12:15], v18 offset:1024
	s_waitcnt lgkmcnt(0)
	s_barrier
	v_add_f64 v[6:7], v[6:7], v[12:13]
	v_add_f64 v[8:9], v[8:9], v[14:15]
	ds_write_b128 v18, v[6:9]
.LBB40_100:
	v_cmp_lt_u64_e64 s[2:3], s[40:41], 33
	s_and_b64 vcc, exec, s[2:3]
	s_waitcnt lgkmcnt(0)
	s_barrier
	s_cbranch_vccnz .LBB40_102
; %bb.101:
	ds_read_b128 v[12:15], v18 offset:512
	s_waitcnt lgkmcnt(0)
	s_barrier
	v_add_f64 v[6:7], v[6:7], v[12:13]
	v_add_f64 v[8:9], v[8:9], v[14:15]
	ds_write_b128 v18, v[6:9]
.LBB40_102:
	v_cmp_lt_u64_e64 s[2:3], s[40:41], 17
	s_and_b64 vcc, exec, s[2:3]
	;; [unrolled: 13-line block ×4, first 2 shown]
	s_waitcnt lgkmcnt(0)
	s_barrier
	s_cbranch_vccnz .LBB40_108
; %bb.107:
	ds_read_b128 v[12:15], v18 offset:64
	s_waitcnt lgkmcnt(0)
	s_barrier
	v_add_f64 v[6:7], v[6:7], v[12:13]
	v_add_f64 v[8:9], v[8:9], v[14:15]
	ds_write_b128 v18, v[6:9]
.LBB40_108:
	s_cmp_eq_u64 s[40:41], 2
	s_waitcnt lgkmcnt(0)
	s_barrier
	s_cbranch_scc1 .LBB40_110
; %bb.109:
	ds_read_b128 v[12:15], v18 offset:32
	s_waitcnt lgkmcnt(0)
	s_barrier
	v_add_f64 v[6:7], v[6:7], v[12:13]
	v_add_f64 v[8:9], v[8:9], v[14:15]
	ds_write_b128 v18, v[6:9]
.LBB40_110:
	s_waitcnt lgkmcnt(0)
	s_barrier
	ds_read_b128 v[12:15], v18 offset:16
	v_cmp_eq_u64_e32 vcc, 0, v[0:1]
	s_xor_b64 s[0:1], s[0:1], -1
	s_and_b64 s[0:1], vcc, s[0:1]
	s_waitcnt lgkmcnt(0)
	v_add_f64 v[6:7], v[6:7], v[12:13]
	v_add_f64 v[8:9], v[8:9], v[14:15]
	s_barrier
	ds_write_b128 v18, v[6:9]
	s_and_b64 exec, exec, s[0:1]
	s_cbranch_execz .LBB40_114
; %bb.111:
	v_cmp_neq_f64_e32 vcc, 0, v[2:3]
	v_cmp_neq_f64_e64 s[0:1], 0, v[4:5]
	s_or_b64 s[2:3], vcc, s[0:1]
	v_lshl_add_u64 v[0:1], v[10:11], 4, s[34:35]
	s_and_saveexec_b64 s[0:1], s[2:3]
	s_cbranch_execz .LBB40_113
; %bb.112:
	global_load_dwordx4 v[10:13], v[0:1], off
	s_waitcnt vmcnt(0)
	v_fmac_f64_e32 v[6:7], v[2:3], v[10:11]
	v_fmac_f64_e32 v[8:9], v[4:5], v[10:11]
	v_fma_f64 v[6:7], -v[4:5], v[12:13], v[6:7]
	v_fmac_f64_e32 v[8:9], v[2:3], v[12:13]
.LBB40_113:
	s_or_b64 exec, exec, s[0:1]
	global_store_dwordx4 v[0:1], v[6:9], off
.LBB40_114:
	s_endpgm
	.section	.rodata,"a",@progbits
	.p2align	6, 0x0
	.amdhsa_kernel _ZN9rocsparseL22csrmvn_adaptive_kernelIll21rocsparse_complex_numIdES2_S2_S2_EEvbT_PKS3_PjPKT0_NS_24const_host_device_scalarIT4_EES5_S9_PKT1_PKT2_SC_PT3_21rocsparse_index_base_b
		.amdhsa_group_segment_fixed_size 16384
		.amdhsa_private_segment_fixed_size 0
		.amdhsa_kernarg_size 120
		.amdhsa_user_sgpr_count 2
		.amdhsa_user_sgpr_dispatch_ptr 0
		.amdhsa_user_sgpr_queue_ptr 0
		.amdhsa_user_sgpr_kernarg_segment_ptr 1
		.amdhsa_user_sgpr_dispatch_id 0
		.amdhsa_user_sgpr_kernarg_preload_length 0
		.amdhsa_user_sgpr_kernarg_preload_offset 0
		.amdhsa_user_sgpr_private_segment_size 0
		.amdhsa_uses_dynamic_stack 0
		.amdhsa_enable_private_segment 0
		.amdhsa_system_sgpr_workgroup_id_x 1
		.amdhsa_system_sgpr_workgroup_id_y 0
		.amdhsa_system_sgpr_workgroup_id_z 0
		.amdhsa_system_sgpr_workgroup_info 0
		.amdhsa_system_vgpr_workitem_id 0
		.amdhsa_next_free_vgpr 56
		.amdhsa_next_free_sgpr 68
		.amdhsa_accum_offset 56
		.amdhsa_reserve_vcc 1
		.amdhsa_float_round_mode_32 0
		.amdhsa_float_round_mode_16_64 0
		.amdhsa_float_denorm_mode_32 3
		.amdhsa_float_denorm_mode_16_64 3
		.amdhsa_dx10_clamp 1
		.amdhsa_ieee_mode 1
		.amdhsa_fp16_overflow 0
		.amdhsa_tg_split 0
		.amdhsa_exception_fp_ieee_invalid_op 0
		.amdhsa_exception_fp_denorm_src 0
		.amdhsa_exception_fp_ieee_div_zero 0
		.amdhsa_exception_fp_ieee_overflow 0
		.amdhsa_exception_fp_ieee_underflow 0
		.amdhsa_exception_fp_ieee_inexact 0
		.amdhsa_exception_int_div_zero 0
	.end_amdhsa_kernel
	.section	.text._ZN9rocsparseL22csrmvn_adaptive_kernelIll21rocsparse_complex_numIdES2_S2_S2_EEvbT_PKS3_PjPKT0_NS_24const_host_device_scalarIT4_EES5_S9_PKT1_PKT2_SC_PT3_21rocsparse_index_base_b,"axG",@progbits,_ZN9rocsparseL22csrmvn_adaptive_kernelIll21rocsparse_complex_numIdES2_S2_S2_EEvbT_PKS3_PjPKT0_NS_24const_host_device_scalarIT4_EES5_S9_PKT1_PKT2_SC_PT3_21rocsparse_index_base_b,comdat
.Lfunc_end40:
	.size	_ZN9rocsparseL22csrmvn_adaptive_kernelIll21rocsparse_complex_numIdES2_S2_S2_EEvbT_PKS3_PjPKT0_NS_24const_host_device_scalarIT4_EES5_S9_PKT1_PKT2_SC_PT3_21rocsparse_index_base_b, .Lfunc_end40-_ZN9rocsparseL22csrmvn_adaptive_kernelIll21rocsparse_complex_numIdES2_S2_S2_EEvbT_PKS3_PjPKT0_NS_24const_host_device_scalarIT4_EES5_S9_PKT1_PKT2_SC_PT3_21rocsparse_index_base_b
                                        ; -- End function
	.set _ZN9rocsparseL22csrmvn_adaptive_kernelIll21rocsparse_complex_numIdES2_S2_S2_EEvbT_PKS3_PjPKT0_NS_24const_host_device_scalarIT4_EES5_S9_PKT1_PKT2_SC_PT3_21rocsparse_index_base_b.num_vgpr, 56
	.set _ZN9rocsparseL22csrmvn_adaptive_kernelIll21rocsparse_complex_numIdES2_S2_S2_EEvbT_PKS3_PjPKT0_NS_24const_host_device_scalarIT4_EES5_S9_PKT1_PKT2_SC_PT3_21rocsparse_index_base_b.num_agpr, 0
	.set _ZN9rocsparseL22csrmvn_adaptive_kernelIll21rocsparse_complex_numIdES2_S2_S2_EEvbT_PKS3_PjPKT0_NS_24const_host_device_scalarIT4_EES5_S9_PKT1_PKT2_SC_PT3_21rocsparse_index_base_b.numbered_sgpr, 68
	.set _ZN9rocsparseL22csrmvn_adaptive_kernelIll21rocsparse_complex_numIdES2_S2_S2_EEvbT_PKS3_PjPKT0_NS_24const_host_device_scalarIT4_EES5_S9_PKT1_PKT2_SC_PT3_21rocsparse_index_base_b.num_named_barrier, 0
	.set _ZN9rocsparseL22csrmvn_adaptive_kernelIll21rocsparse_complex_numIdES2_S2_S2_EEvbT_PKS3_PjPKT0_NS_24const_host_device_scalarIT4_EES5_S9_PKT1_PKT2_SC_PT3_21rocsparse_index_base_b.private_seg_size, 0
	.set _ZN9rocsparseL22csrmvn_adaptive_kernelIll21rocsparse_complex_numIdES2_S2_S2_EEvbT_PKS3_PjPKT0_NS_24const_host_device_scalarIT4_EES5_S9_PKT1_PKT2_SC_PT3_21rocsparse_index_base_b.uses_vcc, 1
	.set _ZN9rocsparseL22csrmvn_adaptive_kernelIll21rocsparse_complex_numIdES2_S2_S2_EEvbT_PKS3_PjPKT0_NS_24const_host_device_scalarIT4_EES5_S9_PKT1_PKT2_SC_PT3_21rocsparse_index_base_b.uses_flat_scratch, 0
	.set _ZN9rocsparseL22csrmvn_adaptive_kernelIll21rocsparse_complex_numIdES2_S2_S2_EEvbT_PKS3_PjPKT0_NS_24const_host_device_scalarIT4_EES5_S9_PKT1_PKT2_SC_PT3_21rocsparse_index_base_b.has_dyn_sized_stack, 0
	.set _ZN9rocsparseL22csrmvn_adaptive_kernelIll21rocsparse_complex_numIdES2_S2_S2_EEvbT_PKS3_PjPKT0_NS_24const_host_device_scalarIT4_EES5_S9_PKT1_PKT2_SC_PT3_21rocsparse_index_base_b.has_recursion, 0
	.set _ZN9rocsparseL22csrmvn_adaptive_kernelIll21rocsparse_complex_numIdES2_S2_S2_EEvbT_PKS3_PjPKT0_NS_24const_host_device_scalarIT4_EES5_S9_PKT1_PKT2_SC_PT3_21rocsparse_index_base_b.has_indirect_call, 0
	.section	.AMDGPU.csdata,"",@progbits
; Kernel info:
; codeLenInByte = 5000
; TotalNumSgprs: 74
; NumVgprs: 56
; NumAgprs: 0
; TotalNumVgprs: 56
; ScratchSize: 0
; MemoryBound: 0
; FloatMode: 240
; IeeeMode: 1
; LDSByteSize: 16384 bytes/workgroup (compile time only)
; SGPRBlocks: 9
; VGPRBlocks: 6
; NumSGPRsForWavesPerEU: 74
; NumVGPRsForWavesPerEU: 56
; AccumOffset: 56
; Occupancy: 8
; WaveLimiterHint : 1
; COMPUTE_PGM_RSRC2:SCRATCH_EN: 0
; COMPUTE_PGM_RSRC2:USER_SGPR: 2
; COMPUTE_PGM_RSRC2:TRAP_HANDLER: 0
; COMPUTE_PGM_RSRC2:TGID_X_EN: 1
; COMPUTE_PGM_RSRC2:TGID_Y_EN: 0
; COMPUTE_PGM_RSRC2:TGID_Z_EN: 0
; COMPUTE_PGM_RSRC2:TIDIG_COMP_CNT: 0
; COMPUTE_PGM_RSRC3_GFX90A:ACCUM_OFFSET: 13
; COMPUTE_PGM_RSRC3_GFX90A:TG_SPLIT: 0
	.section	.text._ZN9rocsparseL22partial_scale_y_kernelIl21rocsparse_complex_numIdES2_EEvT_S3_S3_NS_24const_host_device_scalarIT1_EEPT0_b,"axG",@progbits,_ZN9rocsparseL22partial_scale_y_kernelIl21rocsparse_complex_numIdES2_EEvT_S3_S3_NS_24const_host_device_scalarIT1_EEPT0_b,comdat
	.globl	_ZN9rocsparseL22partial_scale_y_kernelIl21rocsparse_complex_numIdES2_EEvT_S3_S3_NS_24const_host_device_scalarIT1_EEPT0_b ; -- Begin function _ZN9rocsparseL22partial_scale_y_kernelIl21rocsparse_complex_numIdES2_EEvT_S3_S3_NS_24const_host_device_scalarIT1_EEPT0_b
	.p2align	8
	.type	_ZN9rocsparseL22partial_scale_y_kernelIl21rocsparse_complex_numIdES2_EEvT_S3_S3_NS_24const_host_device_scalarIT1_EEPT0_b,@function
_ZN9rocsparseL22partial_scale_y_kernelIl21rocsparse_complex_numIdES2_EEvT_S3_S3_NS_24const_host_device_scalarIT1_EEPT0_b: ; @_ZN9rocsparseL22partial_scale_y_kernelIl21rocsparse_complex_numIdES2_EEvT_S3_S3_NS_24const_host_device_scalarIT1_EEPT0_b
; %bb.0:
	s_load_dword s3, s[0:1], 0x30
	s_load_dwordx8 s[8:15], s[0:1], 0x0
	s_add_u32 s4, s0, 24
	s_addc_u32 s5, s1, 0
	s_waitcnt lgkmcnt(0)
	s_bitcmp1_b32 s3, 0
	s_cselect_b32 s3, s5, s15
	s_cselect_b32 s4, s4, s14
	v_mov_b32_e32 v2, s4
	v_mov_b32_e32 v3, s3
	flat_load_dwordx4 v[2:5], v[2:3]
	s_waitcnt vmcnt(0) lgkmcnt(0)
	v_cmp_neq_f64_e32 vcc, 1.0, v[2:3]
	v_cmp_neq_f64_e64 s[4:5], 0, v[4:5]
	s_or_b64 s[4:5], vcc, s[4:5]
	s_and_saveexec_b64 s[6:7], s[4:5]
	s_cbranch_execz .LBB41_13
; %bb.1:
	v_lshl_or_b32 v0, s2, 8, v0
	s_add_u32 s2, s10, s8
	s_addc_u32 s3, s11, s9
	s_sub_u32 s2, s2, s12
	v_mov_b32_e32 v1, 0
	s_subb_u32 s3, s3, s13
	v_cmp_gt_i64_e32 vcc, s[2:3], v[0:1]
	s_and_b64 exec, exec, vcc
	s_cbranch_execz .LBB41_13
; %bb.2:
	s_load_dwordx2 s[4:5], s[0:1], 0x28
	v_cmp_neq_f64_e64 s[0:1], 0, v[2:3]
	v_cmp_neq_f64_e64 s[2:3], 0, v[4:5]
	v_cmp_le_i64_e32 vcc, s[10:11], v[0:1]
	s_or_b64 s[0:1], s[0:1], s[2:3]
	s_and_saveexec_b64 s[2:3], vcc
	s_xor_b64 s[2:3], exec, s[2:3]
	s_cbranch_execz .LBB41_8
; %bb.3:
	s_lshl_b64 s[6:7], s[12:13], 4
	v_mov_b32_e32 v1, s11
	v_subrev_co_u32_e32 v0, vcc, s10, v0
	s_waitcnt lgkmcnt(0)
	s_add_u32 s6, s4, s6
	v_subb_co_u32_e32 v1, vcc, 0, v1, vcc
	s_addc_u32 s7, s5, s7
	v_lshl_add_u64 v[0:1], v[0:1], 4, s[6:7]
	s_and_saveexec_b64 s[6:7], s[0:1]
	s_xor_b64 s[6:7], exec, s[6:7]
	s_cbranch_execz .LBB41_5
; %bb.4:
	global_load_dwordx4 v[6:9], v[0:1], off
	s_waitcnt vmcnt(0)
	v_mul_f64 v[10:11], v[4:5], -v[8:9]
	v_mul_f64 v[12:13], v[4:5], v[6:7]
	v_fmac_f64_e32 v[10:11], v[6:7], v[2:3]
	v_fmac_f64_e32 v[12:13], v[8:9], v[2:3]
	global_store_dwordx4 v[0:1], v[10:13], off
                                        ; implicit-def: $vgpr0_vgpr1
.LBB41_5:
	s_andn2_saveexec_b64 s[6:7], s[6:7]
	s_cbranch_execz .LBB41_7
; %bb.6:
	v_mov_b32_e32 v2, 0
	v_mov_b32_e32 v3, v2
	;; [unrolled: 1-line block ×4, first 2 shown]
	global_store_dwordx4 v[0:1], v[2:5], off
.LBB41_7:
	s_or_b64 exec, exec, s[6:7]
                                        ; implicit-def: $vgpr0_vgpr1
                                        ; implicit-def: $vgpr4_vgpr5
.LBB41_8:
	s_andn2_saveexec_b64 s[2:3], s[2:3]
	s_cbranch_execz .LBB41_13
; %bb.9:
	s_waitcnt lgkmcnt(0)
	v_lshl_add_u64 v[0:1], v[0:1], 4, s[4:5]
	s_and_saveexec_b64 s[2:3], s[0:1]
	s_xor_b64 s[0:1], exec, s[2:3]
	s_cbranch_execz .LBB41_11
; %bb.10:
	global_load_dwordx4 v[6:9], v[0:1], off
	s_waitcnt vmcnt(0)
	v_mul_f64 v[10:11], v[4:5], -v[8:9]
	v_mul_f64 v[12:13], v[4:5], v[6:7]
	v_fmac_f64_e32 v[10:11], v[6:7], v[2:3]
	v_fmac_f64_e32 v[12:13], v[8:9], v[2:3]
	global_store_dwordx4 v[0:1], v[10:13], off
                                        ; implicit-def: $vgpr0_vgpr1
.LBB41_11:
	s_andn2_saveexec_b64 s[0:1], s[0:1]
	s_cbranch_execz .LBB41_13
; %bb.12:
	v_mov_b32_e32 v2, 0
	v_mov_b32_e32 v3, v2
	;; [unrolled: 1-line block ×4, first 2 shown]
	global_store_dwordx4 v[0:1], v[2:5], off
.LBB41_13:
	s_endpgm
	.section	.rodata,"a",@progbits
	.p2align	6, 0x0
	.amdhsa_kernel _ZN9rocsparseL22partial_scale_y_kernelIl21rocsparse_complex_numIdES2_EEvT_S3_S3_NS_24const_host_device_scalarIT1_EEPT0_b
		.amdhsa_group_segment_fixed_size 0
		.amdhsa_private_segment_fixed_size 0
		.amdhsa_kernarg_size 52
		.amdhsa_user_sgpr_count 2
		.amdhsa_user_sgpr_dispatch_ptr 0
		.amdhsa_user_sgpr_queue_ptr 0
		.amdhsa_user_sgpr_kernarg_segment_ptr 1
		.amdhsa_user_sgpr_dispatch_id 0
		.amdhsa_user_sgpr_kernarg_preload_length 0
		.amdhsa_user_sgpr_kernarg_preload_offset 0
		.amdhsa_user_sgpr_private_segment_size 0
		.amdhsa_uses_dynamic_stack 0
		.amdhsa_enable_private_segment 0
		.amdhsa_system_sgpr_workgroup_id_x 1
		.amdhsa_system_sgpr_workgroup_id_y 0
		.amdhsa_system_sgpr_workgroup_id_z 0
		.amdhsa_system_sgpr_workgroup_info 0
		.amdhsa_system_vgpr_workitem_id 0
		.amdhsa_next_free_vgpr 14
		.amdhsa_next_free_sgpr 16
		.amdhsa_accum_offset 16
		.amdhsa_reserve_vcc 1
		.amdhsa_float_round_mode_32 0
		.amdhsa_float_round_mode_16_64 0
		.amdhsa_float_denorm_mode_32 3
		.amdhsa_float_denorm_mode_16_64 3
		.amdhsa_dx10_clamp 1
		.amdhsa_ieee_mode 1
		.amdhsa_fp16_overflow 0
		.amdhsa_tg_split 0
		.amdhsa_exception_fp_ieee_invalid_op 0
		.amdhsa_exception_fp_denorm_src 0
		.amdhsa_exception_fp_ieee_div_zero 0
		.amdhsa_exception_fp_ieee_overflow 0
		.amdhsa_exception_fp_ieee_underflow 0
		.amdhsa_exception_fp_ieee_inexact 0
		.amdhsa_exception_int_div_zero 0
	.end_amdhsa_kernel
	.section	.text._ZN9rocsparseL22partial_scale_y_kernelIl21rocsparse_complex_numIdES2_EEvT_S3_S3_NS_24const_host_device_scalarIT1_EEPT0_b,"axG",@progbits,_ZN9rocsparseL22partial_scale_y_kernelIl21rocsparse_complex_numIdES2_EEvT_S3_S3_NS_24const_host_device_scalarIT1_EEPT0_b,comdat
.Lfunc_end41:
	.size	_ZN9rocsparseL22partial_scale_y_kernelIl21rocsparse_complex_numIdES2_EEvT_S3_S3_NS_24const_host_device_scalarIT1_EEPT0_b, .Lfunc_end41-_ZN9rocsparseL22partial_scale_y_kernelIl21rocsparse_complex_numIdES2_EEvT_S3_S3_NS_24const_host_device_scalarIT1_EEPT0_b
                                        ; -- End function
	.set _ZN9rocsparseL22partial_scale_y_kernelIl21rocsparse_complex_numIdES2_EEvT_S3_S3_NS_24const_host_device_scalarIT1_EEPT0_b.num_vgpr, 14
	.set _ZN9rocsparseL22partial_scale_y_kernelIl21rocsparse_complex_numIdES2_EEvT_S3_S3_NS_24const_host_device_scalarIT1_EEPT0_b.num_agpr, 0
	.set _ZN9rocsparseL22partial_scale_y_kernelIl21rocsparse_complex_numIdES2_EEvT_S3_S3_NS_24const_host_device_scalarIT1_EEPT0_b.numbered_sgpr, 16
	.set _ZN9rocsparseL22partial_scale_y_kernelIl21rocsparse_complex_numIdES2_EEvT_S3_S3_NS_24const_host_device_scalarIT1_EEPT0_b.num_named_barrier, 0
	.set _ZN9rocsparseL22partial_scale_y_kernelIl21rocsparse_complex_numIdES2_EEvT_S3_S3_NS_24const_host_device_scalarIT1_EEPT0_b.private_seg_size, 0
	.set _ZN9rocsparseL22partial_scale_y_kernelIl21rocsparse_complex_numIdES2_EEvT_S3_S3_NS_24const_host_device_scalarIT1_EEPT0_b.uses_vcc, 1
	.set _ZN9rocsparseL22partial_scale_y_kernelIl21rocsparse_complex_numIdES2_EEvT_S3_S3_NS_24const_host_device_scalarIT1_EEPT0_b.uses_flat_scratch, 0
	.set _ZN9rocsparseL22partial_scale_y_kernelIl21rocsparse_complex_numIdES2_EEvT_S3_S3_NS_24const_host_device_scalarIT1_EEPT0_b.has_dyn_sized_stack, 0
	.set _ZN9rocsparseL22partial_scale_y_kernelIl21rocsparse_complex_numIdES2_EEvT_S3_S3_NS_24const_host_device_scalarIT1_EEPT0_b.has_recursion, 0
	.set _ZN9rocsparseL22partial_scale_y_kernelIl21rocsparse_complex_numIdES2_EEvT_S3_S3_NS_24const_host_device_scalarIT1_EEPT0_b.has_indirect_call, 0
	.section	.AMDGPU.csdata,"",@progbits
; Kernel info:
; codeLenInByte = 408
; TotalNumSgprs: 22
; NumVgprs: 14
; NumAgprs: 0
; TotalNumVgprs: 14
; ScratchSize: 0
; MemoryBound: 0
; FloatMode: 240
; IeeeMode: 1
; LDSByteSize: 0 bytes/workgroup (compile time only)
; SGPRBlocks: 2
; VGPRBlocks: 1
; NumSGPRsForWavesPerEU: 22
; NumVGPRsForWavesPerEU: 14
; AccumOffset: 16
; Occupancy: 8
; WaveLimiterHint : 0
; COMPUTE_PGM_RSRC2:SCRATCH_EN: 0
; COMPUTE_PGM_RSRC2:USER_SGPR: 2
; COMPUTE_PGM_RSRC2:TRAP_HANDLER: 0
; COMPUTE_PGM_RSRC2:TGID_X_EN: 1
; COMPUTE_PGM_RSRC2:TGID_Y_EN: 0
; COMPUTE_PGM_RSRC2:TGID_Z_EN: 0
; COMPUTE_PGM_RSRC2:TIDIG_COMP_CNT: 0
; COMPUTE_PGM_RSRC3_GFX90A:ACCUM_OFFSET: 3
; COMPUTE_PGM_RSRC3_GFX90A:TG_SPLIT: 0
	.section	.text._ZN9rocsparseL27csrmvn_symm_adaptive_kernelIll21rocsparse_complex_numIdES2_S2_S2_EEvbT_S3_PKS3_NS_24const_host_device_scalarIT4_EES5_PKT0_PKT1_PKT2_S8_PT3_21rocsparse_index_base_b,"axG",@progbits,_ZN9rocsparseL27csrmvn_symm_adaptive_kernelIll21rocsparse_complex_numIdES2_S2_S2_EEvbT_S3_PKS3_NS_24const_host_device_scalarIT4_EES5_PKT0_PKT1_PKT2_S8_PT3_21rocsparse_index_base_b,comdat
	.globl	_ZN9rocsparseL27csrmvn_symm_adaptive_kernelIll21rocsparse_complex_numIdES2_S2_S2_EEvbT_S3_PKS3_NS_24const_host_device_scalarIT4_EES5_PKT0_PKT1_PKT2_S8_PT3_21rocsparse_index_base_b ; -- Begin function _ZN9rocsparseL27csrmvn_symm_adaptive_kernelIll21rocsparse_complex_numIdES2_S2_S2_EEvbT_S3_PKS3_NS_24const_host_device_scalarIT4_EES5_PKT0_PKT1_PKT2_S8_PT3_21rocsparse_index_base_b
	.p2align	8
	.type	_ZN9rocsparseL27csrmvn_symm_adaptive_kernelIll21rocsparse_complex_numIdES2_S2_S2_EEvbT_S3_PKS3_NS_24const_host_device_scalarIT4_EES5_PKT0_PKT1_PKT2_S8_PT3_21rocsparse_index_base_b,@function
_ZN9rocsparseL27csrmvn_symm_adaptive_kernelIll21rocsparse_complex_numIdES2_S2_S2_EEvbT_S3_PKS3_NS_24const_host_device_scalarIT4_EES5_PKT0_PKT1_PKT2_S8_PT3_21rocsparse_index_base_b: ; @_ZN9rocsparseL27csrmvn_symm_adaptive_kernelIll21rocsparse_complex_numIdES2_S2_S2_EEvbT_S3_PKS3_NS_24const_host_device_scalarIT4_EES5_PKT0_PKT1_PKT2_S8_PT3_21rocsparse_index_base_b
; %bb.0:
	s_load_dwordx2 s[34:35], s[0:1], 0x68
	s_load_dwordx2 s[4:5], s[0:1], 0x20
	s_add_u32 s3, s0, 32
	s_addc_u32 s10, s1, 0
	s_waitcnt lgkmcnt(0)
	s_bitcmp1_b32 s35, 0
	s_cselect_b64 s[8:9], -1, 0
	s_and_b64 s[6:7], s[8:9], exec
	s_cselect_b32 s5, s10, s5
	s_cselect_b32 s3, s3, s4
	v_mov_b32_e32 v2, s3
	v_mov_b32_e32 v3, s5
	flat_load_dwordx4 v[2:5], v[2:3]
	s_waitcnt vmcnt(0) lgkmcnt(0)
	v_cmp_eq_f64_e32 vcc, 0, v[2:3]
	v_cmp_eq_f64_e64 s[4:5], 0, v[4:5]
	s_and_b64 s[10:11], vcc, s[4:5]
	s_mov_b64 s[4:5], -1
	s_and_saveexec_b64 s[6:7], s[10:11]
	s_cbranch_execz .LBB42_2
; %bb.1:
	s_load_dwordx2 s[4:5], s[0:1], 0x50
	s_add_u32 s3, s0, 0x50
	s_addc_u32 s10, s1, 0
	s_and_b64 s[8:9], s[8:9], exec
	s_waitcnt lgkmcnt(0)
	s_cselect_b32 s5, s10, s5
	s_cselect_b32 s3, s3, s4
	v_mov_b32_e32 v6, s3
	v_mov_b32_e32 v7, s5
	flat_load_dwordx4 v[6:9], v[6:7]
	s_waitcnt vmcnt(0) lgkmcnt(0)
	v_cmp_neq_f64_e32 vcc, 1.0, v[6:7]
	v_cmp_neq_f64_e64 s[4:5], 0, v[8:9]
	s_or_b64 s[4:5], vcc, s[4:5]
	s_orn2_b64 s[4:5], s[4:5], exec
.LBB42_2:
	s_or_b64 exec, exec, s[6:7]
	s_and_saveexec_b64 s[6:7], s[4:5]
	s_cbranch_execz .LBB42_141
; %bb.3:
	s_load_dword s3, s[0:1], 0x0
	s_load_dwordx2 s[8:9], s[0:1], 0x18
	s_mov_b32 s4, 0
	s_mov_b32 s6, s4
	;; [unrolled: 1-line block ×3, first 2 shown]
	s_waitcnt lgkmcnt(0)
	s_bitcmp1_b32 s3, 0
	s_cselect_b64 s[14:15], -1, 0
	s_ashr_i32 s3, s2, 31
	s_lshl_b64 s[2:3], s[2:3], 3
	s_mov_b32 s5, s4
	v_mov_b64_e32 v[8:9], s[6:7]
	s_add_u32 s2, s8, s2
	v_lshlrev_b32_e32 v20, 4, v0
	v_mov_b64_e32 v[6:7], s[4:5]
	s_addc_u32 s3, s9, s3
	ds_write_b128 v20, v[6:9]
	ds_write_b128 v20, v[6:9] offset:4096
	ds_write_b128 v20, v[6:9] offset:8192
	;; [unrolled: 1-line block ×3, first 2 shown]
	s_waitcnt lgkmcnt(0)
	s_barrier
	s_load_dwordx4 s[24:27], s[2:3], 0x0
	s_load_dwordx2 s[28:29], s[0:1], 0x60
	s_load_dwordx8 s[16:23], s[0:1], 0x30
	s_mov_b64 s[2:3], -1
	s_waitcnt lgkmcnt(0)
	s_sub_u32 s30, s26, s24
	s_subb_u32 s31, s27, s25
	v_cmp_gt_i64_e64 s[4:5], s[30:31], 2
	s_and_b64 vcc, exec, s[4:5]
	s_cbranch_vccnz .LBB42_40
; %bb.4:
	v_mov_b64_e32 v[6:7], s[24:25]
	v_cmp_le_i64_e32 vcc, s[26:27], v[6:7]
	v_subrev_co_u32_e64 v10, s[2:3], s34, v0
	v_mov_b32_e32 v1, 0
	s_nop 0
	v_subb_co_u32_e64 v11, s[2:3], 0, 0, s[2:3]
	s_cbranch_vccnz .LBB42_30
; %bb.5:
	s_movk_i32 s2, 0x100
	v_cmp_gt_u32_e64 s[4:5], s2, v0
	s_add_u32 s2, s20, 8
	v_cmp_gt_u32_e64 s[6:7], 64, v0
	v_cmp_gt_u32_e64 s[8:9], 16, v0
	;; [unrolled: 1-line block ×3, first 2 shown]
	v_cmp_eq_u32_e64 s[12:13], 0, v0
	s_addc_u32 s3, s21, 0
	s_mov_b64 s[36:37], 0x100
	s_mov_b64 s[38:39], 0x800
	s_mov_b64 s[40:41], 0x1000
	v_mov_b64_e32 v[12:13], s[26:27]
	s_mov_b64 s[42:43], s[24:25]
	s_branch .LBB42_7
.LBB42_6:                               ;   in Loop: Header=BB42_7 Depth=1
	s_or_b64 exec, exec, s[44:45]
	s_add_u32 s42, s42, 1
	s_addc_u32 s43, s43, 0
	v_cmp_ge_i64_e32 vcc, s[42:43], v[12:13]
	s_cbranch_vccnz .LBB42_30
.LBB42_7:                               ; =>This Loop Header: Depth=1
                                        ;     Child Loop BB42_9 Depth 2
                                        ;     Child Loop BB42_23 Depth 2
	;; [unrolled: 1-line block ×3, first 2 shown]
	s_lshl_b64 s[44:45], s[42:43], 3
	s_add_u32 s48, s16, s44
	s_addc_u32 s49, s17, s45
	s_load_dwordx4 s[44:47], s[48:49], 0x0
	v_mov_b64_e32 v[8:9], 0
	v_mov_b64_e32 v[6:7], 0
	s_waitcnt lgkmcnt(0)
	s_sub_u32 s46, s46, s34
	v_lshl_add_u64 v[14:15], s[44:45], 0, v[10:11]
	s_subb_u32 s47, s47, 0
	v_cmp_gt_i64_e32 vcc, s[46:47], v[14:15]
	s_and_saveexec_b64 s[44:45], vcc
	s_cbranch_execz .LBB42_11
; %bb.8:                                ;   in Loop: Header=BB42_7 Depth=1
	v_mov_b64_e32 v[8:9], 0
	v_lshl_add_u64 v[16:17], v[14:15], 3, s[18:19]
	v_lshl_add_u64 v[18:19], v[14:15], 4, s[2:3]
	s_mov_b64 s[48:49], 0
	v_mov_b64_e32 v[6:7], v[8:9]
.LBB42_9:                               ;   Parent Loop BB42_7 Depth=1
                                        ; =>  This Inner Loop Header: Depth=2
	global_load_dwordx2 v[26:27], v[16:17], off
	global_load_dwordx4 v[22:25], v[18:19], off offset:-8
	v_lshl_add_u64 v[14:15], v[14:15], 0, s[36:37]
	v_lshl_add_u64 v[16:17], v[16:17], 0, s[38:39]
	;; [unrolled: 1-line block ×3, first 2 shown]
	s_waitcnt vmcnt(1)
	v_subrev_co_u32_e32 v26, vcc, s34, v26
	s_nop 1
	v_subbrev_co_u32_e32 v27, vcc, 0, v27, vcc
	v_lshl_add_u64 v[26:27], v[26:27], 4, s[22:23]
	global_load_dwordx4 v[26:29], v[26:27], off
	s_waitcnt vmcnt(1)
	v_xor_b32_e32 v21, 0x80000000, v25
	v_cndmask_b32_e64 v25, v25, v21, s[14:15]
	v_cmp_le_i64_e32 vcc, s[46:47], v[14:15]
	s_or_b64 s[48:49], vcc, s[48:49]
	s_waitcnt vmcnt(0)
	v_fmac_f64_e32 v[6:7], v[22:23], v[26:27]
	v_fmac_f64_e32 v[8:9], v[24:25], v[26:27]
	v_fma_f64 v[6:7], -v[24:25], v[28:29], v[6:7]
	v_fmac_f64_e32 v[8:9], v[22:23], v[28:29]
	s_andn2_b64 exec, exec, s[48:49]
	s_cbranch_execnz .LBB42_9
; %bb.10:                               ;   in Loop: Header=BB42_7 Depth=1
	s_or_b64 exec, exec, s[48:49]
.LBB42_11:                              ;   in Loop: Header=BB42_7 Depth=1
	s_or_b64 exec, exec, s[44:45]
	ds_write_b128 v20, v[6:9]
	s_waitcnt lgkmcnt(0)
	s_barrier
	s_and_saveexec_b64 s[44:45], s[4:5]
	s_cbranch_execz .LBB42_13
; %bb.12:                               ;   in Loop: Header=BB42_7 Depth=1
	ds_read_b128 v[6:9], v20 offset:4096
	ds_read_b128 v[14:17], v20 offset:8192
	ds_read_b128 v[22:25], v20 offset:12288
	ds_read_b128 v[26:29], v20
	s_waitcnt lgkmcnt(2)
	v_add_f64 v[6:7], v[14:15], v[6:7]
	v_add_f64 v[8:9], v[16:17], v[8:9]
	s_waitcnt lgkmcnt(1)
	v_add_f64 v[6:7], v[6:7], v[22:23]
	v_add_f64 v[8:9], v[8:9], v[24:25]
	s_waitcnt lgkmcnt(0)
	v_add_f64 v[6:7], v[6:7], v[26:27]
	v_add_f64 v[8:9], v[8:9], v[28:29]
	ds_write_b128 v20, v[6:9]
.LBB42_13:                              ;   in Loop: Header=BB42_7 Depth=1
	s_or_b64 exec, exec, s[44:45]
	s_waitcnt lgkmcnt(0)
	s_barrier
	s_and_saveexec_b64 s[44:45], s[6:7]
	s_cbranch_execz .LBB42_15
; %bb.14:                               ;   in Loop: Header=BB42_7 Depth=1
	ds_read_b128 v[6:9], v20 offset:1024
	ds_read_b128 v[14:17], v20 offset:2048
	ds_read_b128 v[22:25], v20 offset:3072
	ds_read_b128 v[26:29], v20
	s_waitcnt lgkmcnt(2)
	v_add_f64 v[6:7], v[14:15], v[6:7]
	v_add_f64 v[8:9], v[16:17], v[8:9]
	s_waitcnt lgkmcnt(1)
	v_add_f64 v[6:7], v[6:7], v[22:23]
	v_add_f64 v[8:9], v[8:9], v[24:25]
	s_waitcnt lgkmcnt(0)
	v_add_f64 v[6:7], v[6:7], v[26:27]
	v_add_f64 v[8:9], v[8:9], v[28:29]
	ds_write_b128 v20, v[6:9]
.LBB42_15:                              ;   in Loop: Header=BB42_7 Depth=1
	s_or_b64 exec, exec, s[44:45]
	;; [unrolled: 21-line block ×5, first 2 shown]
	s_waitcnt lgkmcnt(0)
	s_barrier
	s_and_saveexec_b64 s[44:45], s[12:13]
	s_cbranch_execz .LBB42_6
; %bb.22:                               ;   in Loop: Header=BB42_7 Depth=1
	ds_read_b128 v[6:9], v1
	v_mov_b32_e32 v14, 0
	s_mov_b64 s[46:47], exec
	v_bfrev_b32_e32 v15, 1
	s_waitcnt lgkmcnt(0)
	v_mul_f64 v[16:17], v[8:9], -v[4:5]
	v_fmac_f64_e32 v[16:17], v[2:3], v[6:7]
.LBB42_23:                              ;   Parent Loop BB42_7 Depth=1
                                        ; =>  This Inner Loop Header: Depth=2
	s_ff1_i32_b64 s33, s[46:47]
	s_lshl_b64 s[50:51], 1, s33
	v_readlane_b32 s49, v17, s33
	v_readlane_b32 s48, v16, s33
	s_andn2_b64 s[46:47], s[46:47], s[50:51]
	s_cmp_lg_u64 s[46:47], 0
	v_add_f64 v[14:15], v[14:15], s[48:49]
	s_cbranch_scc1 .LBB42_23
; %bb.24:                               ;   in Loop: Header=BB42_7 Depth=1
	s_lshl_b64 s[46:47], s[42:43], 4
	v_mbcnt_lo_u32_b32 v16, exec_lo, 0
	s_add_u32 s46, s28, s46
	v_mbcnt_hi_u32_b32 v16, exec_hi, v16
	s_addc_u32 s47, s29, s47
	v_cmp_eq_u32_e32 vcc, 0, v16
	s_and_saveexec_b64 s[48:49], vcc
	s_xor_b64 s[48:49], exec, s[48:49]
	s_cbranch_execz .LBB42_26
; %bb.25:                               ;   in Loop: Header=BB42_7 Depth=1
	global_atomic_add_f64 v1, v[14:15], s[46:47]
.LBB42_26:                              ;   in Loop: Header=BB42_7 Depth=1
	s_or_b64 exec, exec, s[48:49]
	v_mul_f64 v[8:9], v[2:3], v[8:9]
	v_fmac_f64_e32 v[8:9], v[4:5], v[6:7]
	v_mov_b32_e32 v6, 0
	s_mov_b64 s[48:49], exec
	v_bfrev_b32_e32 v7, 1
.LBB42_27:                              ;   Parent Loop BB42_7 Depth=1
                                        ; =>  This Inner Loop Header: Depth=2
	s_ff1_i32_b64 s33, s[48:49]
	s_lshl_b64 s[52:53], 1, s33
	v_readlane_b32 s51, v9, s33
	v_readlane_b32 s50, v8, s33
	s_andn2_b64 s[48:49], s[48:49], s[52:53]
	s_cmp_lg_u64 s[48:49], 0
	v_add_f64 v[6:7], v[6:7], s[50:51]
	s_cbranch_scc1 .LBB42_27
; %bb.28:                               ;   in Loop: Header=BB42_7 Depth=1
	v_mbcnt_lo_u32_b32 v8, exec_lo, 0
	v_mbcnt_hi_u32_b32 v8, exec_hi, v8
	v_cmp_eq_u32_e32 vcc, 0, v8
	s_and_saveexec_b64 s[48:49], vcc
	s_xor_b64 s[48:49], exec, s[48:49]
	s_cbranch_execz .LBB42_6
; %bb.29:                               ;   in Loop: Header=BB42_7 Depth=1
	global_atomic_add_f64 v1, v[6:7], s[46:47] offset:8
	s_branch .LBB42_6
.LBB42_30:
	s_lshl_b64 s[2:3], s[24:25], 3
	s_add_u32 s2, s16, s2
	s_addc_u32 s3, s17, s3
	s_lshl_b64 s[4:5], s[26:27], 3
	s_add_u32 s4, s16, s4
	s_addc_u32 s5, s17, s5
	s_load_dwordx2 s[6:7], s[4:5], 0x0
	s_load_dwordx2 s[8:9], s[2:3], 0x0
	s_waitcnt lgkmcnt(0)
	s_sub_u32 s6, s6, s34
	s_subb_u32 s7, s7, 0
	v_lshl_add_u64 v[6:7], s[8:9], 0, v[10:11]
	v_cmp_gt_i64_e32 vcc, s[6:7], v[6:7]
	s_and_saveexec_b64 s[8:9], vcc
	s_cbranch_execz .LBB42_39
; %bb.31:
	s_add_u32 s10, s26, -1
	s_addc_u32 s11, s27, -1
	s_add_u32 s2, s26, -2
	s_addc_u32 s3, s27, -1
	v_mov_b64_e32 v[8:9], s[10:11]
	s_cmp_lg_u64 s[24:25], s[2:3]
	v_cmp_lt_i64_e32 vcc, s[24:25], v[8:9]
	s_cselect_b64 s[2:3], -1, 0
	s_and_b64 s[2:3], vcc, s[2:3]
	v_cndmask_b32_e64 v1, 0, 1, s[2:3]
	s_mov_b64 s[12:13], 0
	v_cmp_ne_u32_e64 s[4:5], 1, v1
	v_mov_b32_e32 v9, 0
	s_mov_b64 s[36:37], 0x100
	s_branch .LBB42_33
.LBB42_32:                              ;   in Loop: Header=BB42_33 Depth=1
	s_or_b64 exec, exec, s[2:3]
	v_lshl_add_u64 v[6:7], v[6:7], 0, s[36:37]
	v_cmp_le_i64_e32 vcc, s[6:7], v[6:7]
	s_or_b64 s[12:13], vcc, s[12:13]
	s_andn2_b64 exec, exec, s[12:13]
	s_cbranch_execz .LBB42_39
.LBB42_33:                              ; =>This Loop Header: Depth=1
                                        ;     Child Loop BB42_35 Depth 2
	s_and_b64 vcc, exec, s[4:5]
	v_mov_b64_e32 v[10:11], s[24:25]
	v_mov_b64_e32 v[12:13], s[10:11]
	s_cbranch_vccnz .LBB42_37
; %bb.34:                               ;   in Loop: Header=BB42_33 Depth=1
	s_mov_b64 s[38:39], 0
	v_mov_b64_e32 v[10:11], s[24:25]
	v_mov_b64_e32 v[12:13], s[10:11]
.LBB42_35:                              ;   Parent Loop BB42_33 Depth=1
                                        ; =>  This Inner Loop Header: Depth=2
	v_lshl_add_u64 v[14:15], v[12:13], 0, v[10:11]
	v_lshrrev_b32_e32 v8, 31, v15
	v_lshl_add_u64 v[14:15], v[14:15], 0, v[8:9]
	v_ashrrev_i64 v[14:15], 1, v[14:15]
	v_lshl_add_u64 v[16:17], v[14:15], 3, s[16:17]
	global_load_dwordx2 v[16:17], v[16:17], off
	s_waitcnt vmcnt(0)
	v_subrev_co_u32_e32 v16, vcc, s34, v16
	s_nop 1
	v_subbrev_co_u32_e32 v17, vcc, 0, v17, vcc
	v_cmp_lt_i64_e32 vcc, v[6:7], v[16:17]
	s_nop 1
	v_cndmask_b32_e32 v13, v13, v15, vcc
	v_cndmask_b32_e32 v12, v12, v14, vcc
	;; [unrolled: 1-line block ×4, first 2 shown]
	v_lshl_add_u64 v[14:15], v[12:13], 0, -1
	v_cmp_ge_i64_e32 vcc, v[10:11], v[12:13]
	v_cmp_eq_u64_e64 s[2:3], v[10:11], v[14:15]
	s_or_b64 s[2:3], vcc, s[2:3]
	s_and_b64 s[2:3], exec, s[2:3]
	s_or_b64 s[38:39], s[2:3], s[38:39]
	s_andn2_b64 exec, exec, s[38:39]
	s_cbranch_execnz .LBB42_35
; %bb.36:                               ;   in Loop: Header=BB42_33 Depth=1
	s_or_b64 exec, exec, s[38:39]
.LBB42_37:                              ;   in Loop: Header=BB42_33 Depth=1
	v_lshl_add_u64 v[14:15], v[12:13], 3, s[16:17]
	global_load_dwordx2 v[14:15], v[14:15], off
	v_lshl_add_u64 v[16:17], v[6:7], 3, s[18:19]
	global_load_dwordx2 v[16:17], v[16:17], off
	s_waitcnt vmcnt(1)
	v_subrev_co_u32_e32 v14, vcc, s34, v14
	s_nop 1
	v_subbrev_co_u32_e32 v15, vcc, 0, v15, vcc
	v_cmp_lt_i64_e32 vcc, v[6:7], v[14:15]
	s_nop 1
	v_cndmask_b32_e32 v13, v13, v11, vcc
	v_cndmask_b32_e32 v12, v12, v10, vcc
	s_waitcnt vmcnt(0)
	v_subrev_co_u32_e32 v10, vcc, s34, v16
	s_nop 1
	v_subbrev_co_u32_e32 v11, vcc, 0, v17, vcc
	v_cmp_ne_u64_e32 vcc, v[10:11], v[12:13]
	s_and_saveexec_b64 s[2:3], vcc
	s_cbranch_execz .LBB42_32
; %bb.38:                               ;   in Loop: Header=BB42_33 Depth=1
	v_lshl_add_u64 v[14:15], v[6:7], 4, s[20:21]
	global_load_dwordx4 v[14:17], v[14:15], off
	v_lshl_add_u64 v[12:13], v[12:13], 4, s[22:23]
	global_load_dwordx4 v[22:25], v[12:13], off
	v_lshl_add_u64 v[10:11], v[10:11], 4, s[28:29]
	s_waitcnt vmcnt(1)
	v_xor_b32_e32 v1, 0x80000000, v17
	v_cndmask_b32_e64 v17, v17, v1, s[14:15]
	v_mul_f64 v[12:13], v[16:17], -v[4:5]
	v_mul_f64 v[16:17], v[2:3], v[16:17]
	v_fmac_f64_e32 v[16:17], v[4:5], v[14:15]
	v_fmac_f64_e32 v[12:13], v[2:3], v[14:15]
	s_waitcnt vmcnt(0)
	v_mul_f64 v[14:15], v[24:25], -v[16:17]
	v_mul_f64 v[18:19], v[24:25], v[12:13]
	v_fmac_f64_e32 v[14:15], v[12:13], v[22:23]
	v_fmac_f64_e32 v[18:19], v[16:17], v[22:23]
	global_atomic_add_f64 v[10:11], v[14:15], off
	global_atomic_add_f64 v[10:11], v[18:19], off offset:8
	s_branch .LBB42_32
.LBB42_39:
	s_or_b64 exec, exec, s[8:9]
	s_mov_b64 s[2:3], 0
.LBB42_40:
	s_and_b64 vcc, exec, s[2:3]
	s_cbranch_vccz .LBB42_141
; %bb.41:
	s_load_dword s2, s[0:1], 0x7c
	s_mov_b32 s13, 0
	v_mov_b64_e32 v[6:7], s[30:31]
	s_mov_b64 s[36:37], 0
	s_waitcnt lgkmcnt(0)
	s_and_b32 s12, s2, 0xffff
	v_cmp_lt_u64_e32 vcc, s[12:13], v[6:7]
	s_cbranch_vccnz .LBB42_43
; %bb.42:
	v_cvt_f32_u32_e32 v1, s30
	s_sub_i32 s2, 0, s30
	v_rcp_iflag_f32_e32 v1, v1
	s_nop 0
	v_mul_f32_e32 v1, 0x4f7ffffe, v1
	v_cvt_u32_f32_e32 v1, v1
	s_nop 0
	v_readfirstlane_b32 s3, v1
	s_mul_i32 s2, s2, s3
	s_mul_hi_u32 s2, s3, s2
	s_add_i32 s3, s3, s2
	s_mul_hi_u32 s2, s12, s3
	s_mul_i32 s4, s2, s30
	s_sub_i32 s4, s12, s4
	s_add_i32 s3, s2, 1
	s_sub_i32 s5, s4, s30
	s_cmp_ge_u32 s4, s30
	s_cselect_b32 s2, s3, s2
	s_cselect_b32 s4, s5, s4
	s_add_i32 s3, s2, 1
	s_cmp_ge_u32 s4, s30
	s_cselect_b32 s36, s3, s2
.LBB42_43:
	s_load_dwordx4 s[4:7], s[0:1], 0x8
	s_lshl_b64 s[0:1], s[24:25], 3
	s_add_u32 s10, s16, s0
	s_addc_u32 s11, s17, s1
	s_load_dwordx2 s[8:9], s[10:11], 0x0
	v_subrev_co_u32_e32 v6, vcc, s34, v0
	v_mov_b32_e32 v1, 0
	s_nop 0
	v_subb_co_u32_e64 v7, s[0:1], 0, 0, vcc
	s_waitcnt lgkmcnt(0)
	v_lshl_add_u64 v[6:7], s[8:9], 0, v[6:7]
	s_mov_b64 s[0:1], 0x300
	v_lshl_add_u64 v[8:9], v[6:7], 0, s[0:1]
	v_cmp_le_i64_e64 s[0:1], s[4:5], v[8:9]
	s_and_saveexec_b64 s[2:3], s[0:1]
	s_xor_b64 s[2:3], exec, s[2:3]
	s_cbranch_execnz .LBB42_46
; %bb.44:
	s_andn2_saveexec_b64 s[4:5], s[2:3]
	s_cbranch_execnz .LBB42_50
.LBB42_45:
	s_or_b64 exec, exec, s[4:5]
	v_cmp_gt_i64_e32 vcc, s[6:7], v[0:1]
	s_and_saveexec_b64 s[2:3], vcc
	s_cbranch_execnz .LBB42_51
	s_branch .LBB42_53
.LBB42_46:
	s_lshl_b64 s[4:5], s[26:27], 3
	s_add_u32 s4, s16, s4
	s_addc_u32 s5, s17, s5
	s_load_dwordx2 s[4:5], s[4:5], 0x0
	s_waitcnt lgkmcnt(0)
	s_sub_u32 s4, s4, s8
	s_subb_u32 s5, s5, s9
	v_cmp_gt_i64_e32 vcc, s[4:5], v[0:1]
	s_and_saveexec_b64 s[38:39], vcc
	s_cbranch_execz .LBB42_49
; %bb.47:
	v_lshl_add_u64 v[10:11], v[6:7], 4, s[20:21]
	v_lshl_add_u64 v[10:11], v[10:11], 0, 8
	s_mov_b64 s[40:41], 0
	s_mov_b64 s[42:43], 0x1000
	;; [unrolled: 1-line block ×3, first 2 shown]
	v_mov_b32_e32 v14, v20
	v_mov_b64_e32 v[12:13], v[0:1]
.LBB42_48:                              ; =>This Inner Loop Header: Depth=1
	global_load_dwordx4 v[16:19], v[10:11], off offset:-8
	v_lshl_add_u64 v[12:13], v[12:13], 0, s[44:45]
	v_cmp_le_i64_e32 vcc, s[4:5], v[12:13]
	v_lshl_add_u64 v[10:11], v[10:11], 0, s[42:43]
	s_or_b64 s[40:41], vcc, s[40:41]
	s_waitcnt vmcnt(0)
	v_xor_b32_e32 v15, 0x80000000, v19
	v_cndmask_b32_e64 v19, v19, v15, s[14:15]
	v_mul_f64 v[22:23], v[18:19], -v[4:5]
	v_mul_f64 v[24:25], v[2:3], v[18:19]
	v_fmac_f64_e32 v[22:23], v[2:3], v[16:17]
	v_fmac_f64_e32 v[24:25], v[4:5], v[16:17]
	ds_write_b128 v14, v[22:25]
	v_add_u32_e32 v14, 0x1000, v14
	s_andn2_b64 exec, exec, s[40:41]
	s_cbranch_execnz .LBB42_48
.LBB42_49:
	s_or_b64 exec, exec, s[38:39]
                                        ; implicit-def: $vgpr4_vgpr5
	s_andn2_saveexec_b64 s[4:5], s[2:3]
	s_cbranch_execz .LBB42_45
.LBB42_50:
	v_lshl_add_u64 v[18:19], v[6:7], 4, s[20:21]
	s_movk_i32 s2, 0x3000
	global_load_dwordx4 v[10:13], v[18:19], off
	v_add_co_u32_e32 v26, vcc, 0x1000, v18
	v_add_co_u32_e64 v28, s[2:3], s2, v18
	s_nop 0
	v_addc_co_u32_e32 v27, vcc, 0, v19, vcc
	v_addc_co_u32_e64 v29, s[2:3], 0, v19, s[2:3]
	global_load_dwordx4 v[14:17], v[28:29], off offset:-4096
	global_load_dwordx4 v[22:25], v[28:29], off
	s_waitcnt vmcnt(2)
	v_xor_b32_e32 v18, 0x80000000, v13
	global_load_dwordx4 v[26:29], v[26:27], off
	v_cndmask_b32_e64 v13, v13, v18, s[14:15]
	v_mul_f64 v[30:31], v[12:13], -v[4:5]
	v_mul_f64 v[32:33], v[2:3], v[12:13]
	v_fmac_f64_e32 v[30:31], v[2:3], v[10:11]
	v_fmac_f64_e32 v[32:33], v[4:5], v[10:11]
	ds_write_b128 v20, v[30:33]
	s_waitcnt vmcnt(2)
	v_xor_b32_e32 v18, 0x80000000, v17
	s_waitcnt vmcnt(1)
	v_xor_b32_e32 v19, 0x80000000, v25
	v_cndmask_b32_e64 v17, v17, v18, s[14:15]
	v_cndmask_b32_e64 v25, v25, v19, s[14:15]
	v_mul_f64 v[10:11], v[16:17], -v[4:5]
	v_mul_f64 v[18:19], v[2:3], v[24:25]
	v_fmac_f64_e32 v[10:11], v[2:3], v[14:15]
	v_fmac_f64_e32 v[18:19], v[4:5], v[22:23]
	s_waitcnt vmcnt(0)
	v_xor_b32_e32 v12, 0x80000000, v29
	v_cndmask_b32_e64 v29, v29, v12, s[14:15]
	v_mul_f64 v[12:13], v[2:3], v[16:17]
	v_mul_f64 v[16:17], v[24:25], -v[4:5]
	v_mul_f64 v[30:31], v[28:29], -v[4:5]
	v_mul_f64 v[32:33], v[2:3], v[28:29]
	v_fmac_f64_e32 v[12:13], v[4:5], v[14:15]
	v_fmac_f64_e32 v[16:17], v[2:3], v[22:23]
	;; [unrolled: 1-line block ×4, first 2 shown]
	ds_write_b128 v20, v[10:13] offset:8192
	ds_write_b128 v20, v[30:33] offset:4096
	;; [unrolled: 1-line block ×3, first 2 shown]
	s_or_b64 exec, exec, s[4:5]
	v_cmp_gt_i64_e32 vcc, s[6:7], v[0:1]
	s_and_saveexec_b64 s[2:3], vcc
	s_cbranch_execz .LBB42_53
.LBB42_51:
	s_mov_b32 s14, 0
	v_mov_b32_e32 v2, 0x4000
	s_mov_b32 s15, s14
	s_mov_b32 s20, s14
	;; [unrolled: 1-line block ×3, first 2 shown]
	v_lshl_add_u32 v12, v0, 4, v2
	s_mov_b64 s[4:5], 0
	v_mov_b64_e32 v[2:3], s[14:15]
	v_mov_b64_e32 v[4:5], s[20:21]
	s_mov_b64 s[14:15], 0x100
	v_mov_b64_e32 v[10:11], v[0:1]
.LBB42_52:                              ; =>This Inner Loop Header: Depth=1
	v_lshl_add_u64 v[10:11], v[10:11], 0, s[14:15]
	v_cmp_le_i64_e32 vcc, s[6:7], v[10:11]
	ds_write2_b64 v12, v[2:3], v[4:5] offset1:1
	s_or_b64 s[4:5], vcc, s[4:5]
	v_add_u32_e32 v12, 0x1000, v12
	s_andn2_b64 exec, exec, s[4:5]
	s_cbranch_execnz .LBB42_52
.LBB42_53:
	s_or_b64 exec, exec, s[2:3]
	s_sub_u32 s4, s26, s6
	v_mov_b64_e32 v[2:3], s[6:7]
	s_subb_u32 s5, s27, s7
	v_cmp_ge_i64_e32 vcc, s[26:27], v[2:3]
	s_and_b64 s[2:3], vcc, exec
	s_cselect_b32 s5, s5, 0
	s_cselect_b32 s4, s4, 0
	s_waitcnt lgkmcnt(0)
	s_barrier
	s_and_saveexec_b64 s[2:3], s[0:1]
	s_xor_b64 s[14:15], exec, s[2:3]
	s_cbranch_execz .LBB42_70
; %bb.54:
	s_lshl_b64 s[0:1], s[26:27], 3
	s_add_u32 s0, s16, s0
	s_addc_u32 s1, s17, s1
	s_load_dwordx2 s[0:1], s[0:1], 0x0
	s_waitcnt lgkmcnt(0)
	s_sub_u32 s20, s0, s8
	s_subb_u32 s21, s1, s9
	v_cmp_gt_i64_e32 vcc, s[20:21], v[0:1]
	s_and_saveexec_b64 s[38:39], vcc
	s_cbranch_execz .LBB42_69
; %bb.55:
	s_add_u32 s40, s26, -1
	s_addc_u32 s41, s27, -1
	s_add_u32 s2, s26, -2
	s_addc_u32 s3, s27, -1
	s_cmp_lg_u64 s[24:25], s[2:3]
	s_cselect_b64 s[2:3], -1, 0
	s_sub_u32 s42, s0, s34
	v_cndmask_b32_e64 v2, 0, 1, s[2:3]
	s_subb_u32 s43, s1, 0
	s_mov_b64 s[44:45], 0
	v_cmp_ne_u32_e64 s[0:1], 1, v2
	v_mov_b32_e32 v9, 0
	v_mov_b32_e32 v18, 0x4000
	s_mov_b64 s[46:47], 0
	s_branch .LBB42_58
.LBB42_56:                              ;   in Loop: Header=BB42_58 Depth=1
	s_or_b64 exec, exec, s[2:3]
.LBB42_57:                              ;   in Loop: Header=BB42_58 Depth=1
	s_or_b64 exec, exec, s[48:49]
	v_lshl_add_u64 v[12:13], v[12:13], 4, s[22:23]
	global_load_dwordx4 v[22:25], v[12:13], off
	s_add_u32 s46, s46, 0x100
	s_addc_u32 s47, s47, 0
	v_lshlrev_b32_e32 v8, 4, v10
	v_lshl_add_u64 v[10:11], s[46:47], 0, v[0:1]
	v_cmp_le_i64_e32 vcc, s[20:21], v[10:11]
	s_or_b64 s[44:45], vcc, s[44:45]
	s_waitcnt vmcnt(0)
	v_mul_f64 v[10:11], v[24:25], v[14:15]
	v_mul_f64 v[12:13], v[24:25], v[2:3]
	v_fmac_f64_e32 v[10:11], v[2:3], v[22:23]
	v_fmac_f64_e32 v[12:13], v[4:5], v[22:23]
	ds_write_b128 v8, v[10:13]
	s_andn2_b64 exec, exec, s[44:45]
	s_cbranch_execz .LBB42_69
.LBB42_58:                              ; =>This Loop Header: Depth=1
                                        ;     Child Loop BB42_60 Depth 2
	v_lshl_add_u64 v[2:3], s[46:47], 0, v[6:7]
	s_and_b64 vcc, exec, s[0:1]
	v_mov_b64_e32 v[4:5], s[24:25]
	v_mov_b64_e32 v[14:15], s[40:41]
	s_cbranch_vccnz .LBB42_62
; %bb.59:                               ;   in Loop: Header=BB42_58 Depth=1
	s_mov_b64 s[48:49], 0
	v_mov_b64_e32 v[4:5], s[24:25]
	v_mov_b64_e32 v[14:15], s[40:41]
.LBB42_60:                              ;   Parent Loop BB42_58 Depth=1
                                        ; =>  This Inner Loop Header: Depth=2
	v_lshl_add_u64 v[10:11], v[14:15], 0, v[4:5]
	v_lshrrev_b32_e32 v8, 31, v11
	v_lshl_add_u64 v[10:11], v[10:11], 0, v[8:9]
	v_ashrrev_i64 v[10:11], 1, v[10:11]
	v_lshl_add_u64 v[12:13], v[10:11], 3, s[16:17]
	global_load_dwordx2 v[12:13], v[12:13], off
	s_waitcnt vmcnt(0)
	v_subrev_co_u32_e32 v12, vcc, s34, v12
	s_nop 1
	v_subbrev_co_u32_e32 v13, vcc, 0, v13, vcc
	v_cmp_lt_i64_e32 vcc, v[2:3], v[12:13]
	s_nop 1
	v_cndmask_b32_e32 v15, v15, v11, vcc
	v_cndmask_b32_e32 v14, v14, v10, vcc
	;; [unrolled: 1-line block ×4, first 2 shown]
	v_lshl_add_u64 v[10:11], v[14:15], 0, -1
	v_cmp_ge_i64_e32 vcc, v[4:5], v[14:15]
	v_cmp_eq_u64_e64 s[2:3], v[4:5], v[10:11]
	s_or_b64 s[2:3], vcc, s[2:3]
	s_and_b64 s[2:3], exec, s[2:3]
	s_or_b64 s[48:49], s[2:3], s[48:49]
	s_andn2_b64 exec, exec, s[48:49]
	s_cbranch_execnz .LBB42_60
; %bb.61:                               ;   in Loop: Header=BB42_58 Depth=1
	s_or_b64 exec, exec, s[48:49]
.LBB42_62:                              ;   in Loop: Header=BB42_58 Depth=1
	v_lshl_add_u64 v[10:11], v[14:15], 3, s[16:17]
	global_load_dwordx2 v[12:13], v[10:11], off
	v_lshl_add_u64 v[10:11], v[2:3], 3, s[18:19]
	global_load_dwordx2 v[16:17], v[10:11], off
	v_lshl_add_u64 v[10:11], s[46:47], 0, v[0:1]
	v_cmp_le_i64_e32 vcc, s[42:43], v[2:3]
	v_lshlrev_b32_e32 v8, 4, v10
	s_waitcnt vmcnt(1)
	v_subrev_co_u32_e64 v22, s[2:3], s34, v12
	s_nop 1
	v_subbrev_co_u32_e64 v23, s[2:3], 0, v13, s[2:3]
	s_waitcnt vmcnt(0)
	v_subrev_co_u32_e64 v12, s[2:3], s34, v16
	s_nop 1
	v_subbrev_co_u32_e64 v13, s[2:3], 0, v17, s[2:3]
	v_cmp_lt_i64_e64 s[2:3], v[2:3], v[22:23]
	s_nop 1
	v_cndmask_b32_e64 v17, v15, v5, s[2:3]
	v_cndmask_b32_e64 v16, v14, v4, s[2:3]
	v_cmp_eq_u64_e64 s[2:3], v[12:13], v[16:17]
	s_or_b64 s[2:3], s[2:3], vcc
                                        ; implicit-def: $vgpr2_vgpr3
                                        ; implicit-def: $vgpr14_vgpr15
	s_and_saveexec_b64 s[48:49], s[2:3]
	s_xor_b64 s[2:3], exec, s[48:49]
	s_cbranch_execz .LBB42_64
; %bb.63:                               ;   in Loop: Header=BB42_58 Depth=1
	ds_read_b128 v[2:5], v8
                                        ; implicit-def: $vgpr8
                                        ; implicit-def: $vgpr16_vgpr17
	s_waitcnt lgkmcnt(0)
	v_xor_b32_e32 v15, 0x80000000, v5
	v_mov_b32_e32 v14, v4
.LBB42_64:                              ;   in Loop: Header=BB42_58 Depth=1
	s_andn2_saveexec_b64 s[48:49], s[2:3]
	s_cbranch_execz .LBB42_57
; %bb.65:                               ;   in Loop: Header=BB42_58 Depth=1
	v_cmp_gt_i64_e32 vcc, s[4:5], v[12:13]
	v_cmp_le_i64_e64 s[2:3], s[26:27], v[12:13]
	s_or_b64 s[2:3], vcc, s[2:3]
	v_lshl_add_u64 v[16:17], v[16:17], 4, s[22:23]
                                        ; implicit-def: $vgpr2_vgpr3
                                        ; implicit-def: $vgpr14_vgpr15
	s_and_saveexec_b64 s[50:51], s[2:3]
	s_xor_b64 s[2:3], exec, s[50:51]
	s_cbranch_execz .LBB42_67
; %bb.66:                               ;   in Loop: Header=BB42_58 Depth=1
	global_load_dwordx4 v[14:17], v[16:17], off
	ds_read_b128 v[2:5], v8
	v_lshl_add_u64 v[22:23], v[12:13], 4, s[28:29]
                                        ; implicit-def: $vgpr8
	s_waitcnt vmcnt(0) lgkmcnt(0)
	v_mul_f64 v[24:25], v[16:17], -v[4:5]
	v_mul_f64 v[16:17], v[16:17], v[2:3]
	v_fmac_f64_e32 v[24:25], v[2:3], v[14:15]
	v_fmac_f64_e32 v[16:17], v[4:5], v[14:15]
	global_atomic_add_f64 v[22:23], v[24:25], off
	global_atomic_add_f64 v[22:23], v[16:17], off offset:8
	v_xor_b32_e32 v15, 0x80000000, v5
	v_mov_b32_e32 v14, v4
                                        ; implicit-def: $vgpr16_vgpr17
.LBB42_67:                              ;   in Loop: Header=BB42_58 Depth=1
	s_andn2_saveexec_b64 s[2:3], s[2:3]
	s_cbranch_execz .LBB42_56
; %bb.68:                               ;   in Loop: Header=BB42_58 Depth=1
	global_load_dwordx4 v[14:17], v[16:17], off
	ds_read_b128 v[2:5], v8
	v_subrev_u32_e32 v8, s4, v12
	v_lshl_add_u32 v8, v8, 4, v18
	s_waitcnt vmcnt(0) lgkmcnt(0)
	v_mul_f64 v[22:23], v[16:17], -v[4:5]
	v_mul_f64 v[16:17], v[16:17], v[2:3]
	v_fmac_f64_e32 v[22:23], v[2:3], v[14:15]
	v_fmac_f64_e32 v[16:17], v[4:5], v[14:15]
	ds_add_f64 v8, v[22:23]
	ds_add_f64 v8, v[16:17] offset:8
	v_xor_b32_e32 v15, 0x80000000, v5
	v_mov_b32_e32 v14, v4
	s_branch .LBB42_56
.LBB42_69:
	s_or_b64 exec, exec, s[38:39]
                                        ; implicit-def: $vgpr8_vgpr9
                                        ; implicit-def: $vgpr6_vgpr7
.LBB42_70:
	s_andn2_saveexec_b64 s[14:15], s[14:15]
	s_cbranch_execz .LBB42_112
; %bb.71:
	s_add_u32 s20, s26, -1
	s_addc_u32 s21, s27, -1
	s_add_u32 s0, s26, -2
	s_addc_u32 s1, s27, -1
	s_cmp_lg_u64 s[24:25], s[0:1]
	s_cselect_b64 s[2:3], -1, 0
	s_cmp_eq_u64 s[24:25], s[0:1]
	v_mov_b64_e32 v[4:5], s[24:25]
	v_mov_b64_e32 v[10:11], s[20:21]
	s_cbranch_scc1 .LBB42_75
; %bb.72:
	s_mov_b64 s[38:39], 0
	v_mov_b64_e32 v[4:5], s[24:25]
	v_mov_b64_e32 v[10:11], s[20:21]
	v_mov_b32_e32 v3, 0
.LBB42_73:                              ; =>This Inner Loop Header: Depth=1
	v_lshl_add_u64 v[12:13], v[10:11], 0, v[4:5]
	v_lshrrev_b32_e32 v2, 31, v13
	v_lshl_add_u64 v[12:13], v[12:13], 0, v[2:3]
	v_ashrrev_i64 v[12:13], 1, v[12:13]
	v_lshl_add_u64 v[14:15], v[12:13], 3, s[16:17]
	global_load_dwordx2 v[14:15], v[14:15], off
	s_waitcnt vmcnt(0)
	v_subrev_co_u32_e32 v14, vcc, s34, v14
	s_nop 1
	v_subbrev_co_u32_e32 v15, vcc, 0, v15, vcc
	v_cmp_lt_i64_e32 vcc, v[6:7], v[14:15]
	s_nop 1
	v_cndmask_b32_e32 v11, v11, v13, vcc
	v_cndmask_b32_e32 v10, v10, v12, vcc
	;; [unrolled: 1-line block ×4, first 2 shown]
	v_lshl_add_u64 v[12:13], v[10:11], 0, -1
	v_cmp_ge_i64_e32 vcc, v[4:5], v[10:11]
	v_cmp_eq_u64_e64 s[0:1], v[4:5], v[12:13]
	s_or_b64 s[0:1], vcc, s[0:1]
	s_and_b64 s[0:1], exec, s[0:1]
	s_or_b64 s[38:39], s[0:1], s[38:39]
	s_andn2_b64 exec, exec, s[38:39]
	s_cbranch_execnz .LBB42_73
; %bb.74:
	s_or_b64 exec, exec, s[38:39]
.LBB42_75:
	v_lshl_add_u64 v[2:3], v[10:11], 3, s[16:17]
	global_load_dwordx2 v[12:13], v[2:3], off
	v_lshl_add_u64 v[2:3], v[6:7], 3, s[18:19]
	global_load_dwordx2 v[14:15], v[2:3], off
	s_lshl_b64 s[0:1], s[26:27], 3
	s_add_u32 s18, s16, s0
	s_addc_u32 s19, s17, s1
	s_waitcnt vmcnt(1)
	v_subrev_co_u32_e32 v12, vcc, s34, v12
	s_nop 1
	v_subbrev_co_u32_e32 v13, vcc, 0, v13, vcc
	v_cmp_lt_i64_e32 vcc, v[6:7], v[12:13]
	s_nop 1
	v_cndmask_b32_e32 v11, v11, v5, vcc
	v_cndmask_b32_e32 v10, v10, v4, vcc
	s_waitcnt vmcnt(0)
	v_subrev_co_u32_e32 v4, vcc, s34, v14
	s_nop 1
	v_subbrev_co_u32_e32 v5, vcc, 0, v15, vcc
	v_cmp_ne_u64_e32 vcc, v[4:5], v[10:11]
	s_and_saveexec_b64 s[38:39], vcc
	s_cbranch_execz .LBB42_81
; %bb.76:
	s_load_dwordx2 s[0:1], s[18:19], 0x0
	s_waitcnt lgkmcnt(0)
	s_sub_u32 s0, s0, s34
	s_subb_u32 s1, s1, 0
	v_cmp_gt_i64_e32 vcc, s[0:1], v[6:7]
	s_and_b64 exec, exec, vcc
	s_cbranch_execz .LBB42_81
; %bb.77:
	v_cmp_gt_i64_e32 vcc, s[4:5], v[4:5]
	v_cmp_le_i64_e64 s[0:1], s[26:27], v[4:5]
	s_or_b64 s[0:1], vcc, s[0:1]
	v_lshl_add_u64 v[10:11], v[10:11], 4, s[22:23]
	s_and_saveexec_b64 s[40:41], s[0:1]
	s_xor_b64 s[0:1], exec, s[40:41]
	s_cbranch_execz .LBB42_79
; %bb.78:
	global_load_dwordx4 v[10:13], v[10:11], off
	ds_read_b128 v[14:17], v20
	v_lshl_add_u64 v[18:19], v[4:5], 4, s[28:29]
	s_waitcnt vmcnt(0) lgkmcnt(0)
	v_mul_f64 v[22:23], v[12:13], -v[16:17]
	v_mul_f64 v[12:13], v[12:13], v[14:15]
	v_fmac_f64_e32 v[22:23], v[14:15], v[10:11]
	v_fmac_f64_e32 v[12:13], v[16:17], v[10:11]
	global_atomic_add_f64 v[18:19], v[22:23], off
	global_atomic_add_f64 v[18:19], v[12:13], off offset:8
                                        ; implicit-def: $vgpr10_vgpr11
.LBB42_79:
	s_andn2_saveexec_b64 s[0:1], s[0:1]
	s_cbranch_execz .LBB42_81
; %bb.80:
	global_load_dwordx4 v[10:13], v[10:11], off
	ds_read_b128 v[14:17], v20
	v_subrev_u32_e32 v18, s4, v4
	v_mov_b32_e32 v19, 0x4000
	v_lshl_add_u32 v21, v18, 4, v19
	s_waitcnt vmcnt(0) lgkmcnt(0)
	v_mul_f64 v[18:19], v[12:13], -v[16:17]
	v_mul_f64 v[12:13], v[12:13], v[14:15]
	v_fmac_f64_e32 v[18:19], v[14:15], v[10:11]
	v_fmac_f64_e32 v[12:13], v[16:17], v[10:11]
	ds_add_f64 v21, v[18:19]
	ds_add_f64 v21, v[12:13] offset:8
.LBB42_81:
	s_or_b64 exec, exec, s[38:39]
	v_lshl_add_u64 v[4:5], v[4:5], 4, s[22:23]
	global_load_dwordx4 v[12:15], v[4:5], off
	ds_read_b128 v[16:19], v20
	s_mov_b64 s[0:1], 0x100
	v_cndmask_b32_e64 v21, 0, 1, s[2:3]
	v_mov_b64_e32 v[10:11], s[24:25]
	v_lshl_add_u64 v[4:5], v[6:7], 0, s[0:1]
	v_cmp_ne_u32_e64 s[0:1], 1, v21
	s_andn2_b64 vcc, exec, s[2:3]
	s_waitcnt vmcnt(0) lgkmcnt(0)
	v_mul_f64 v[22:23], v[14:15], -v[18:19]
	v_mul_f64 v[24:25], v[14:15], v[16:17]
	v_fmac_f64_e32 v[22:23], v[16:17], v[12:13]
	v_fmac_f64_e32 v[24:25], v[18:19], v[12:13]
	v_mov_b64_e32 v[12:13], s[20:21]
	ds_write_b128 v20, v[22:25]
	s_cbranch_vccnz .LBB42_85
; %bb.82:
	s_mov_b64 s[38:39], 0
	v_mov_b64_e32 v[10:11], s[24:25]
	v_mov_b64_e32 v[12:13], s[20:21]
	v_mov_b32_e32 v15, 0
.LBB42_83:                              ; =>This Inner Loop Header: Depth=1
	v_lshl_add_u64 v[16:17], v[12:13], 0, v[10:11]
	v_lshrrev_b32_e32 v14, 31, v17
	v_lshl_add_u64 v[16:17], v[16:17], 0, v[14:15]
	v_ashrrev_i64 v[16:17], 1, v[16:17]
	v_lshl_add_u64 v[18:19], v[16:17], 3, s[16:17]
	global_load_dwordx2 v[18:19], v[18:19], off
	s_waitcnt vmcnt(0)
	v_subrev_co_u32_e32 v18, vcc, s34, v18
	s_nop 1
	v_subbrev_co_u32_e32 v19, vcc, 0, v19, vcc
	v_cmp_lt_i64_e32 vcc, v[4:5], v[18:19]
	s_nop 1
	v_cndmask_b32_e32 v13, v13, v17, vcc
	v_cndmask_b32_e32 v12, v12, v16, vcc
	v_cndmask_b32_e32 v11, v17, v11, vcc
	v_cndmask_b32_e32 v10, v16, v10, vcc
	v_lshl_add_u64 v[16:17], v[12:13], 0, -1
	v_cmp_ge_i64_e32 vcc, v[10:11], v[12:13]
	v_cmp_eq_u64_e64 s[2:3], v[10:11], v[16:17]
	s_or_b64 s[2:3], vcc, s[2:3]
	s_and_b64 s[2:3], exec, s[2:3]
	s_or_b64 s[38:39], s[2:3], s[38:39]
	s_andn2_b64 exec, exec, s[38:39]
	s_cbranch_execnz .LBB42_83
; %bb.84:
	s_or_b64 exec, exec, s[38:39]
.LBB42_85:
	v_lshl_add_u64 v[14:15], v[12:13], 3, s[16:17]
	global_load_dwordx2 v[16:17], v[14:15], off
	global_load_dwordx2 v[18:19], v[2:3], off offset:2048
	s_waitcnt vmcnt(1)
	v_subrev_co_u32_e32 v14, vcc, s34, v16
	s_nop 1
	v_subbrev_co_u32_e32 v15, vcc, 0, v17, vcc
	v_cmp_lt_i64_e32 vcc, v[4:5], v[14:15]
	s_nop 1
	v_cndmask_b32_e32 v13, v13, v11, vcc
	v_cndmask_b32_e32 v12, v12, v10, vcc
	s_waitcnt vmcnt(0)
	v_subrev_co_u32_e32 v10, vcc, s34, v18
	s_nop 1
	v_subbrev_co_u32_e32 v11, vcc, 0, v19, vcc
	v_cmp_ne_u64_e32 vcc, v[10:11], v[12:13]
	s_and_saveexec_b64 s[38:39], vcc
	s_cbranch_execz .LBB42_91
; %bb.86:
	s_load_dwordx2 s[2:3], s[18:19], 0x0
	s_waitcnt lgkmcnt(0)
	s_sub_u32 s2, s2, s34
	s_subb_u32 s3, s3, 0
	v_cmp_gt_i64_e32 vcc, s[2:3], v[4:5]
	s_and_b64 exec, exec, vcc
	s_cbranch_execz .LBB42_91
; %bb.87:
	v_cmp_gt_i64_e32 vcc, s[4:5], v[10:11]
	v_cmp_le_i64_e64 s[2:3], s[26:27], v[10:11]
	s_or_b64 s[2:3], vcc, s[2:3]
	v_lshl_add_u64 v[4:5], v[12:13], 4, s[22:23]
	s_and_saveexec_b64 s[40:41], s[2:3]
	s_xor_b64 s[2:3], exec, s[40:41]
	s_cbranch_execz .LBB42_89
; %bb.88:
	global_load_dwordx4 v[12:15], v[4:5], off
	ds_read_b128 v[16:19], v20 offset:4096
	v_lshl_add_u64 v[4:5], v[10:11], 4, s[28:29]
	s_waitcnt vmcnt(0) lgkmcnt(0)
	v_mul_f64 v[22:23], v[14:15], -v[18:19]
	v_mul_f64 v[14:15], v[14:15], v[16:17]
	v_fmac_f64_e32 v[22:23], v[16:17], v[12:13]
	v_fmac_f64_e32 v[14:15], v[18:19], v[12:13]
	global_atomic_add_f64 v[4:5], v[22:23], off
	global_atomic_add_f64 v[4:5], v[14:15], off offset:8
                                        ; implicit-def: $vgpr4_vgpr5
.LBB42_89:
	s_andn2_saveexec_b64 s[2:3], s[2:3]
	s_cbranch_execz .LBB42_91
; %bb.90:
	global_load_dwordx4 v[12:15], v[4:5], off
	ds_read_b128 v[16:19], v20 offset:4096
	v_subrev_u32_e32 v4, s4, v10
	v_mov_b32_e32 v5, 0x4000
	v_lshl_add_u32 v21, v4, 4, v5
	s_waitcnt vmcnt(0) lgkmcnt(0)
	v_mul_f64 v[4:5], v[14:15], -v[18:19]
	v_mul_f64 v[14:15], v[14:15], v[16:17]
	v_fmac_f64_e32 v[4:5], v[16:17], v[12:13]
	v_fmac_f64_e32 v[14:15], v[18:19], v[12:13]
	ds_add_f64 v21, v[4:5]
	ds_add_f64 v21, v[14:15] offset:8
.LBB42_91:
	s_or_b64 exec, exec, s[38:39]
	v_lshl_add_u64 v[4:5], v[10:11], 4, s[22:23]
	global_load_dwordx4 v[12:15], v[4:5], off
	ds_read_b128 v[16:19], v20 offset:4096
	s_mov_b64 s[2:3], 0x200
	s_and_b64 vcc, exec, s[0:1]
	v_mov_b64_e32 v[10:11], s[24:25]
	v_lshl_add_u64 v[4:5], v[6:7], 0, s[2:3]
	v_mov_b64_e32 v[6:7], s[20:21]
	s_waitcnt vmcnt(0) lgkmcnt(0)
	v_mul_f64 v[22:23], v[14:15], -v[18:19]
	v_mul_f64 v[24:25], v[14:15], v[16:17]
	v_fmac_f64_e32 v[22:23], v[16:17], v[12:13]
	v_fmac_f64_e32 v[24:25], v[18:19], v[12:13]
	ds_write_b128 v20, v[22:25] offset:4096
	s_cbranch_vccnz .LBB42_95
; %bb.92:
	s_mov_b64 s[38:39], 0
	v_mov_b64_e32 v[10:11], s[24:25]
	v_mov_b64_e32 v[6:7], s[20:21]
	v_mov_b32_e32 v13, 0
.LBB42_93:                              ; =>This Inner Loop Header: Depth=1
	v_lshl_add_u64 v[14:15], v[6:7], 0, v[10:11]
	v_lshrrev_b32_e32 v12, 31, v15
	v_lshl_add_u64 v[14:15], v[14:15], 0, v[12:13]
	v_ashrrev_i64 v[14:15], 1, v[14:15]
	v_lshl_add_u64 v[16:17], v[14:15], 3, s[16:17]
	global_load_dwordx2 v[16:17], v[16:17], off
	s_waitcnt vmcnt(0)
	v_subrev_co_u32_e32 v16, vcc, s34, v16
	s_nop 1
	v_subbrev_co_u32_e32 v17, vcc, 0, v17, vcc
	v_cmp_lt_i64_e32 vcc, v[4:5], v[16:17]
	s_nop 1
	v_cndmask_b32_e32 v7, v7, v15, vcc
	v_cndmask_b32_e32 v6, v6, v14, vcc
	;; [unrolled: 1-line block ×4, first 2 shown]
	v_lshl_add_u64 v[14:15], v[6:7], 0, -1
	v_cmp_ge_i64_e32 vcc, v[10:11], v[6:7]
	v_cmp_eq_u64_e64 s[2:3], v[10:11], v[14:15]
	s_or_b64 s[2:3], vcc, s[2:3]
	s_and_b64 s[2:3], exec, s[2:3]
	s_or_b64 s[38:39], s[2:3], s[38:39]
	s_andn2_b64 exec, exec, s[38:39]
	s_cbranch_execnz .LBB42_93
; %bb.94:
	s_or_b64 exec, exec, s[38:39]
.LBB42_95:
	v_lshl_add_u64 v[12:13], v[6:7], 3, s[16:17]
	global_load_dwordx2 v[12:13], v[12:13], off
	v_add_co_u32_e32 v14, vcc, 0x1000, v2
	s_nop 1
	v_addc_co_u32_e32 v15, vcc, 0, v3, vcc
	global_load_dwordx2 v[14:15], v[14:15], off
	s_waitcnt vmcnt(1)
	v_subrev_co_u32_e32 v12, vcc, s34, v12
	s_nop 1
	v_subbrev_co_u32_e32 v13, vcc, 0, v13, vcc
	v_cmp_lt_i64_e32 vcc, v[4:5], v[12:13]
	s_nop 1
	v_cndmask_b32_e32 v11, v7, v11, vcc
	v_cndmask_b32_e32 v10, v6, v10, vcc
	s_waitcnt vmcnt(0)
	v_subrev_co_u32_e32 v6, vcc, s34, v14
	s_nop 1
	v_subbrev_co_u32_e32 v7, vcc, 0, v15, vcc
	v_cmp_ne_u64_e32 vcc, v[6:7], v[10:11]
	s_and_saveexec_b64 s[38:39], vcc
	s_cbranch_execz .LBB42_101
; %bb.96:
	s_load_dwordx2 s[2:3], s[18:19], 0x0
	s_waitcnt lgkmcnt(0)
	s_sub_u32 s2, s2, s34
	s_subb_u32 s3, s3, 0
	v_cmp_gt_i64_e32 vcc, s[2:3], v[4:5]
	s_and_b64 exec, exec, vcc
	s_cbranch_execz .LBB42_101
; %bb.97:
	v_cmp_gt_i64_e32 vcc, s[4:5], v[6:7]
	v_cmp_le_i64_e64 s[2:3], s[26:27], v[6:7]
	s_or_b64 s[2:3], vcc, s[2:3]
	v_lshl_add_u64 v[4:5], v[10:11], 4, s[22:23]
	s_and_saveexec_b64 s[40:41], s[2:3]
	s_xor_b64 s[2:3], exec, s[40:41]
	s_cbranch_execz .LBB42_99
; %bb.98:
	global_load_dwordx4 v[10:13], v[4:5], off
	ds_read_b128 v[14:17], v20 offset:8192
	v_lshl_add_u64 v[4:5], v[6:7], 4, s[28:29]
	s_waitcnt vmcnt(0) lgkmcnt(0)
	v_mul_f64 v[18:19], v[12:13], -v[16:17]
	v_mul_f64 v[12:13], v[12:13], v[14:15]
	v_fmac_f64_e32 v[18:19], v[14:15], v[10:11]
	v_fmac_f64_e32 v[12:13], v[16:17], v[10:11]
	global_atomic_add_f64 v[4:5], v[18:19], off
	global_atomic_add_f64 v[4:5], v[12:13], off offset:8
                                        ; implicit-def: $vgpr4_vgpr5
.LBB42_99:
	s_andn2_saveexec_b64 s[2:3], s[2:3]
	s_cbranch_execz .LBB42_101
; %bb.100:
	global_load_dwordx4 v[10:13], v[4:5], off
	ds_read_b128 v[14:17], v20 offset:8192
	v_subrev_u32_e32 v4, s4, v6
	v_mov_b32_e32 v5, 0x4000
	v_lshl_add_u32 v18, v4, 4, v5
	s_waitcnt vmcnt(0) lgkmcnt(0)
	v_mul_f64 v[4:5], v[12:13], -v[16:17]
	v_mul_f64 v[12:13], v[12:13], v[14:15]
	v_fmac_f64_e32 v[4:5], v[14:15], v[10:11]
	v_fmac_f64_e32 v[12:13], v[16:17], v[10:11]
	ds_add_f64 v18, v[4:5]
	ds_add_f64 v18, v[12:13] offset:8
.LBB42_101:
	s_or_b64 exec, exec, s[38:39]
	v_lshl_add_u64 v[4:5], v[6:7], 4, s[22:23]
	global_load_dwordx4 v[10:13], v[4:5], off
	ds_read_b128 v[14:17], v20 offset:8192
	s_and_b64 vcc, exec, s[0:1]
	v_mov_b64_e32 v[4:5], s[24:25]
	v_mov_b64_e32 v[6:7], s[20:21]
	s_waitcnt vmcnt(0) lgkmcnt(0)
	v_mul_f64 v[22:23], v[12:13], -v[16:17]
	v_mul_f64 v[24:25], v[12:13], v[14:15]
	v_fmac_f64_e32 v[22:23], v[14:15], v[10:11]
	v_fmac_f64_e32 v[24:25], v[16:17], v[10:11]
	ds_write_b128 v20, v[22:25] offset:8192
	s_cbranch_vccnz .LBB42_105
; %bb.102:
	s_mov_b64 s[2:3], 0
	v_mov_b64_e32 v[4:5], s[24:25]
	v_mov_b64_e32 v[6:7], s[20:21]
	v_mov_b32_e32 v11, 0
.LBB42_103:                             ; =>This Inner Loop Header: Depth=1
	v_lshl_add_u64 v[12:13], v[6:7], 0, v[4:5]
	v_lshrrev_b32_e32 v10, 31, v13
	v_lshl_add_u64 v[12:13], v[12:13], 0, v[10:11]
	v_ashrrev_i64 v[12:13], 1, v[12:13]
	v_lshl_add_u64 v[14:15], v[12:13], 3, s[16:17]
	global_load_dwordx2 v[14:15], v[14:15], off
	s_waitcnt vmcnt(0)
	v_subrev_co_u32_e32 v14, vcc, s34, v14
	s_nop 1
	v_subbrev_co_u32_e32 v15, vcc, 0, v15, vcc
	v_cmp_lt_i64_e32 vcc, v[8:9], v[14:15]
	s_nop 1
	v_cndmask_b32_e32 v7, v7, v13, vcc
	v_cndmask_b32_e32 v6, v6, v12, vcc
	v_cndmask_b32_e32 v5, v13, v5, vcc
	v_cndmask_b32_e32 v4, v12, v4, vcc
	v_lshl_add_u64 v[12:13], v[6:7], 0, -1
	v_cmp_ge_i64_e32 vcc, v[4:5], v[6:7]
	v_cmp_eq_u64_e64 s[0:1], v[4:5], v[12:13]
	s_or_b64 s[0:1], vcc, s[0:1]
	s_and_b64 s[0:1], exec, s[0:1]
	s_or_b64 s[2:3], s[0:1], s[2:3]
	s_andn2_b64 exec, exec, s[2:3]
	s_cbranch_execnz .LBB42_103
; %bb.104:
	s_or_b64 exec, exec, s[2:3]
.LBB42_105:
	v_lshl_add_u64 v[10:11], v[6:7], 3, s[16:17]
	global_load_dwordx2 v[10:11], v[10:11], off
	v_add_co_u32_e32 v2, vcc, 0x1000, v2
	s_nop 1
	v_addc_co_u32_e32 v3, vcc, 0, v3, vcc
	global_load_dwordx2 v[2:3], v[2:3], off offset:2048
	s_waitcnt vmcnt(1)
	v_subrev_co_u32_e32 v10, vcc, s34, v10
	s_nop 1
	v_subbrev_co_u32_e32 v11, vcc, 0, v11, vcc
	v_cmp_lt_i64_e32 vcc, v[8:9], v[10:11]
	s_nop 1
	v_cndmask_b32_e32 v5, v7, v5, vcc
	v_cndmask_b32_e32 v4, v6, v4, vcc
	s_waitcnt vmcnt(0)
	v_subrev_co_u32_e32 v2, vcc, s34, v2
	s_nop 1
	v_subbrev_co_u32_e32 v3, vcc, 0, v3, vcc
	v_cmp_ne_u64_e32 vcc, v[2:3], v[4:5]
	s_and_saveexec_b64 s[2:3], vcc
	s_cbranch_execz .LBB42_111
; %bb.106:
	s_load_dwordx2 s[0:1], s[18:19], 0x0
	s_waitcnt lgkmcnt(0)
	s_sub_u32 s0, s0, s34
	s_subb_u32 s1, s1, 0
	v_cmp_gt_i64_e32 vcc, s[0:1], v[8:9]
	s_and_b64 exec, exec, vcc
	s_cbranch_execz .LBB42_111
; %bb.107:
	v_cmp_gt_i64_e32 vcc, s[4:5], v[2:3]
	v_cmp_le_i64_e64 s[0:1], s[26:27], v[2:3]
	s_or_b64 s[0:1], vcc, s[0:1]
	v_lshl_add_u64 v[4:5], v[4:5], 4, s[22:23]
	s_and_saveexec_b64 s[18:19], s[0:1]
	s_xor_b64 s[0:1], exec, s[18:19]
	s_cbranch_execz .LBB42_109
; %bb.108:
	global_load_dwordx4 v[4:7], v[4:5], off
	ds_read_b128 v[8:11], v20 offset:12288
	v_lshl_add_u64 v[12:13], v[2:3], 4, s[28:29]
	s_waitcnt vmcnt(0) lgkmcnt(0)
	v_mul_f64 v[14:15], v[6:7], -v[10:11]
	v_mul_f64 v[6:7], v[6:7], v[8:9]
	v_fmac_f64_e32 v[14:15], v[8:9], v[4:5]
	v_fmac_f64_e32 v[6:7], v[10:11], v[4:5]
	global_atomic_add_f64 v[12:13], v[14:15], off
	global_atomic_add_f64 v[12:13], v[6:7], off offset:8
                                        ; implicit-def: $vgpr4_vgpr5
.LBB42_109:
	s_andn2_saveexec_b64 s[0:1], s[0:1]
	s_cbranch_execz .LBB42_111
; %bb.110:
	global_load_dwordx4 v[4:7], v[4:5], off
	ds_read_b128 v[8:11], v20 offset:12288
	v_subrev_u32_e32 v12, s4, v2
	v_mov_b32_e32 v13, 0x4000
	v_lshl_add_u32 v14, v12, 4, v13
	s_waitcnt vmcnt(0) lgkmcnt(0)
	v_mul_f64 v[12:13], v[6:7], -v[10:11]
	v_mul_f64 v[6:7], v[6:7], v[8:9]
	v_fmac_f64_e32 v[12:13], v[8:9], v[4:5]
	v_fmac_f64_e32 v[6:7], v[10:11], v[4:5]
	ds_add_f64 v14, v[12:13]
	ds_add_f64 v14, v[6:7] offset:8
.LBB42_111:
	s_or_b64 exec, exec, s[2:3]
	v_lshl_add_u64 v[2:3], v[2:3], 4, s[22:23]
	global_load_dwordx4 v[2:5], v[2:3], off
	ds_read_b128 v[6:9], v20 offset:12288
	s_waitcnt vmcnt(0) lgkmcnt(0)
	v_mul_f64 v[10:11], v[4:5], -v[8:9]
	v_mul_f64 v[12:13], v[4:5], v[6:7]
	v_fmac_f64_e32 v[10:11], v[6:7], v[2:3]
	v_fmac_f64_e32 v[12:13], v[8:9], v[2:3]
	ds_write_b128 v20, v[10:13] offset:12288
.LBB42_112:
	s_or_b64 exec, exec, s[14:15]
	v_mov_b64_e32 v[2:3], s[6:7]
	v_cmp_lt_i64_e32 vcc, s[26:27], v[2:3]
	s_and_b64 s[0:1], vcc, exec
	s_cselect_b32 s18, s26, s6
	s_cselect_b32 s0, s27, s7
	s_sub_u32 s2, s18, s30
	s_subb_u32 s3, s0, s31
	v_cmp_gt_i64_e32 vcc, s[2:3], v[0:1]
	s_waitcnt lgkmcnt(0)
	s_barrier
	s_and_saveexec_b64 s[0:1], vcc
	s_cbranch_execz .LBB42_115
; %bb.113:
	v_mov_b64_e32 v[2:3], s[6:7]
	v_cmp_gt_i64_e32 vcc, s[26:27], v[2:3]
	s_and_b64 s[4:5], vcc, exec
	s_cselect_b32 s5, s27, s7
	s_cselect_b32 s4, s26, s6
	v_lshlrev_b32_e32 v2, 4, v0
	v_mov_b32_e32 v3, 0
	v_lshl_add_u64 v[2:3], s[4:5], 4, v[2:3]
	s_lshl_b64 s[4:5], s[6:7], 4
	v_mov_b32_e32 v4, s5
	v_subrev_co_u32_e32 v2, vcc, s4, v2
	v_or_b32_e32 v2, 8, v2
	s_nop 0
	v_subb_co_u32_e32 v3, vcc, v3, v4, vcc
	v_mov_b32_e32 v4, 0x4000
	v_lshl_add_u64 v[2:3], s[28:29], 0, v[2:3]
	v_lshl_add_u32 v6, v0, 4, v4
	s_mov_b64 s[4:5], 0
	s_mov_b64 s[6:7], 0x100
	;; [unrolled: 1-line block ×3, first 2 shown]
	v_mov_b64_e32 v[4:5], v[0:1]
.LBB42_114:                             ; =>This Inner Loop Header: Depth=1
	ds_read2_b64 v[8:11], v6 offset1:1
	v_lshl_add_u64 v[4:5], v[4:5], 0, s[6:7]
	v_cmp_le_i64_e32 vcc, s[2:3], v[4:5]
	v_add_u32_e32 v6, 0x1000, v6
	s_or_b64 s[4:5], vcc, s[4:5]
	s_waitcnt lgkmcnt(0)
	global_atomic_add_f64 v[2:3], v[8:9], off offset:-8
	global_atomic_add_f64 v[2:3], v[10:11], off
	v_lshl_add_u64 v[2:3], v[2:3], 0, s[14:15]
	s_andn2_b64 exec, exec, s[4:5]
	s_cbranch_execnz .LBB42_114
.LBB42_115:
	s_or_b64 exec, exec, s[0:1]
	s_add_i32 s0, s36, -1
	s_ashr_i32 s1, s0, 1
	s_or_b32 s0, s1, s0
	s_ashr_i32 s1, s0, 2
	s_or_b32 s0, s1, s0
	;; [unrolled: 2-line block ×5, first 2 shown]
	s_add_i32 s0, s0, 1
	s_ashr_i32 s3, s0, 1
	v_lshl_add_u64 v[6:7], s[24:25], 0, v[0:1]
	s_cmp_gt_i32 s3, 1
	s_mov_b64 s[0:1], -1
	s_barrier
	s_cbranch_scc1 .LBB42_124
; %bb.116:
	v_cmp_gt_i64_e32 vcc, s[26:27], v[6:7]
	s_and_saveexec_b64 s[0:1], vcc
	s_cbranch_execz .LBB42_123
; %bb.117:
	s_sub_i32 s4, s18, s26
	s_lshl_b32 s4, s4, 4
	s_add_i32 s18, s4, 0x4000
	s_lshl_b32 s4, s8, 4
	s_sub_i32 s19, 0, s4
	s_mov_b64 s[4:5], 0
	v_mov_b64_e32 v[8:9], v[6:7]
	s_branch .LBB42_119
.LBB42_118:                             ;   in Loop: Header=BB42_119 Depth=1
	s_or_b64 exec, exec, s[6:7]
	v_lshl_add_u32 v2, v8, 4, s18
	ds_read2_b64 v[2:5], v2 offset1:1
	s_waitcnt lgkmcnt(0)
	v_add_f64 v[2:3], v[12:13], v[2:3]
	v_add_f64 v[4:5], v[10:11], v[4:5]
	v_lshl_add_u64 v[10:11], v[8:9], 4, s[28:29]
	global_atomic_add_f64 v[10:11], v[2:3], off
	global_atomic_add_f64 v[10:11], v[4:5], off offset:8
	v_lshl_add_u64 v[8:9], v[8:9], 0, s[12:13]
	v_cmp_le_i64_e32 vcc, s[26:27], v[8:9]
	s_or_b64 s[4:5], vcc, s[4:5]
	s_andn2_b64 exec, exec, s[4:5]
	s_cbranch_execz .LBB42_123
.LBB42_119:                             ; =>This Loop Header: Depth=1
                                        ;     Child Loop BB42_121 Depth 2
	v_lshl_add_u64 v[2:3], v[8:9], 3, s[16:17]
	global_load_dwordx4 v[2:5], v[2:3], off
	v_mov_b64_e32 v[10:11], 0
	v_mov_b64_e32 v[12:13], 0
	s_waitcnt vmcnt(0)
	v_cmp_lt_i64_e32 vcc, v[2:3], v[4:5]
	s_and_saveexec_b64 s[6:7], vcc
	s_cbranch_execz .LBB42_118
; %bb.120:                              ;   in Loop: Header=BB42_119 Depth=1
	v_mov_b32_e32 v10, s9
	v_subrev_co_u32_e32 v4, vcc, s8, v4
	s_mov_b64 s[14:15], 0
	s_nop 0
	v_subb_co_u32_e32 v5, vcc, v5, v10, vcc
	v_subrev_co_u32_e32 v14, vcc, s8, v2
	v_lshl_add_u32 v2, v2, 4, s19
	s_nop 0
	v_subb_co_u32_e32 v15, vcc, v3, v10, vcc
	v_mov_b64_e32 v[10:11], 0
	v_mov_b64_e32 v[12:13], 0
.LBB42_121:                             ;   Parent Loop BB42_119 Depth=1
                                        ; =>  This Inner Loop Header: Depth=2
	ds_read_b128 v[16:19], v2
	v_lshl_add_u64 v[14:15], v[14:15], 0, 1
	v_cmp_ge_i64_e32 vcc, v[14:15], v[4:5]
	v_add_u32_e32 v2, 16, v2
	s_or_b64 s[14:15], vcc, s[14:15]
	s_waitcnt lgkmcnt(0)
	v_add_f64 v[12:13], v[12:13], v[16:17]
	v_add_f64 v[10:11], v[10:11], v[18:19]
	s_andn2_b64 exec, exec, s[14:15]
	s_cbranch_execnz .LBB42_121
; %bb.122:                              ;   in Loop: Header=BB42_119 Depth=1
	s_or_b64 exec, exec, s[14:15]
	s_branch .LBB42_118
.LBB42_123:
	s_or_b64 exec, exec, s[0:1]
	s_mov_b64 s[0:1], 0
.LBB42_124:
	s_andn2_b64 vcc, exec, s[0:1]
	s_cbranch_vccnz .LBB42_141
; %bb.125:
	v_cvt_f32_u32_e32 v2, s3
	s_sub_i32 s12, 0, s3
	v_mov_b32_e32 v3, 0
	v_rcp_iflag_f32_e32 v2, v2
	s_nop 0
	v_mul_f32_e32 v2, 0x4f7ffffe, v2
	v_cvt_u32_f32_e32 v2, v2
	v_mul_lo_u32 v4, s12, v2
	v_mul_hi_u32 v4, v2, v4
	v_add_u32_e32 v2, v2, v4
	v_mul_hi_u32 v2, v0, v2
	v_mul_lo_u32 v4, v2, s3
	v_sub_u32_e32 v4, v0, v4
	v_add_u32_e32 v5, 1, v2
	v_cmp_le_u32_e32 vcc, s3, v4
	s_nop 1
	v_cndmask_b32_e32 v2, v2, v5, vcc
	v_subrev_u32_e32 v5, s3, v4
	v_cndmask_b32_e32 v4, v4, v5, vcc
	v_add_u32_e32 v5, 1, v2
	v_cmp_le_u32_e32 vcc, s3, v4
	s_nop 1
	v_cndmask_b32_e32 v2, v2, v5, vcc
	v_lshl_add_u64 v[4:5], v[2:3], 3, s[10:11]
	global_load_dwordx4 v[8:11], v[4:5], off
	v_mov_b32_e32 v4, s9
	v_mov_b32_e32 v5, s9
	s_waitcnt vmcnt(0)
	v_subrev_co_u32_e32 v8, vcc, s8, v8
	s_nop 1
	v_subb_co_u32_e32 v9, vcc, v9, v4, vcc
	v_subrev_co_u32_e32 v16, vcc, s8, v10
	v_mov_b32_e32 v10, v3
	s_nop 0
	v_subb_co_u32_e32 v17, vcc, v11, v5, vcc
	v_sub_co_u32_e32 v4, vcc, v16, v8
	s_nop 1
	v_subb_co_u32_e32 v5, vcc, v17, v9, vcc
	v_mov_b32_e32 v11, v5
	v_cmp_ne_u64_e32 vcc, 0, v[10:11]
                                        ; implicit-def: $vgpr10_vgpr11
	s_and_saveexec_b64 s[0:1], vcc
	s_xor_b64 s[4:5], exec, s[0:1]
	s_cbranch_execz .LBB42_127
; %bb.126:
	s_add_u32 s0, s3, 0
	s_addc_u32 s1, 0, 0
	s_xor_b64 s[6:7], s[0:1], 0
	v_cvt_f32_u32_e32 v10, s6
	v_cvt_f32_u32_e32 v11, s7
	s_sub_u32 s8, 0, s6
	s_subb_u32 s9, 0, s7
	v_ashrrev_i32_e32 v12, 31, v5
	v_fmamk_f32 v10, v11, 0x4f800000, v10
	v_rcp_f32_e32 v10, v10
	v_mov_b32_e32 v13, v12
	v_lshl_add_u64 v[4:5], v[4:5], 0, v[12:13]
	v_xor_b32_e32 v18, v4, v12
	v_mul_f32_e32 v10, 0x5f7ffffc, v10
	v_mul_f32_e32 v11, 0x2f800000, v10
	v_trunc_f32_e32 v11, v11
	v_fmamk_f32 v10, v11, 0xcf800000, v10
	v_cvt_u32_f32_e32 v11, v11
	v_cvt_u32_f32_e32 v10, v10
	v_xor_b32_e32 v13, v5, v12
	v_readfirstlane_b32 s10, v11
	v_readfirstlane_b32 s0, v10
	s_mul_i32 s1, s8, s10
	s_mul_hi_u32 s13, s8, s0
	s_mul_i32 s11, s9, s0
	s_add_i32 s1, s13, s1
	s_mul_i32 s14, s8, s0
	s_add_i32 s1, s1, s11
	s_mul_i32 s13, s0, s1
	s_mul_hi_u32 s15, s0, s14
	s_mul_hi_u32 s11, s0, s1
	s_add_u32 s13, s15, s13
	s_addc_u32 s11, 0, s11
	s_mul_hi_u32 s16, s10, s14
	s_mul_i32 s14, s10, s14
	s_add_u32 s13, s13, s14
	s_mul_hi_u32 s15, s10, s1
	s_addc_u32 s11, s11, s16
	s_addc_u32 s13, s15, 0
	s_mul_i32 s1, s10, s1
	s_add_u32 s1, s11, s1
	s_addc_u32 s11, 0, s13
	s_add_u32 s13, s0, s1
	s_cselect_b64 s[0:1], -1, 0
	s_cmp_lg_u64 s[0:1], 0
	s_addc_u32 s10, s10, s11
	s_mul_i32 s0, s8, s10
	s_mul_hi_u32 s1, s8, s13
	s_add_i32 s0, s1, s0
	s_mul_i32 s9, s9, s13
	s_add_i32 s0, s0, s9
	s_mul_i32 s8, s8, s13
	s_mul_hi_u32 s9, s10, s8
	s_mul_i32 s11, s10, s8
	s_mul_i32 s15, s13, s0
	s_mul_hi_u32 s8, s13, s8
	s_mul_hi_u32 s14, s13, s0
	s_add_u32 s8, s8, s15
	s_addc_u32 s14, 0, s14
	s_add_u32 s8, s8, s11
	s_mul_hi_u32 s1, s10, s0
	s_addc_u32 s8, s14, s9
	s_addc_u32 s1, s1, 0
	s_mul_i32 s0, s10, s0
	s_add_u32 s0, s8, s0
	s_addc_u32 s8, 0, s1
	s_add_u32 s9, s13, s0
	s_cselect_b64 s[0:1], -1, 0
	s_cmp_lg_u64 s[0:1], 0
	s_addc_u32 s8, s10, s8
	v_mad_u64_u32 v[4:5], s[0:1], v18, s8, 0
	v_mul_hi_u32 v10, v18, s9
	v_mov_b32_e32 v11, v3
	v_lshl_add_u64 v[4:5], v[10:11], 0, v[4:5]
	v_mad_u64_u32 v[14:15], s[0:1], v13, s9, 0
	v_add_co_u32_e32 v4, vcc, v4, v14
	v_mad_u64_u32 v[10:11], s[0:1], v13, s8, 0
	s_nop 0
	v_addc_co_u32_e32 v4, vcc, v5, v15, vcc
	v_mov_b32_e32 v5, v3
	s_nop 0
	v_addc_co_u32_e32 v11, vcc, 0, v11, vcc
	v_lshl_add_u64 v[4:5], v[4:5], 0, v[10:11]
	v_mul_lo_u32 v14, s7, v4
	v_mul_lo_u32 v15, s6, v5
	v_mad_u64_u32 v[10:11], s[0:1], s6, v4, 0
	v_add3_u32 v19, v11, v15, v14
	v_sub_u32_e32 v11, v13, v19
	v_mov_b32_e32 v14, s7
	v_sub_co_u32_e32 v18, vcc, v18, v10
	s_nop 1
	v_subb_co_u32_e64 v10, s[0:1], v11, v14, vcc
	v_subrev_co_u32_e64 v11, s[0:1], s6, v18
	v_subb_co_u32_e32 v13, vcc, v13, v19, vcc
	s_nop 0
	v_subbrev_co_u32_e64 v10, s[0:1], 0, v10, s[0:1]
	v_cmp_le_u32_e64 s[0:1], s7, v10
	v_cmp_le_u32_e32 vcc, s7, v13
	s_nop 0
	v_cndmask_b32_e64 v14, 0, -1, s[0:1]
	v_cmp_le_u32_e64 s[0:1], s6, v11
	s_nop 1
	v_cndmask_b32_e64 v11, 0, -1, s[0:1]
	v_cmp_eq_u32_e64 s[0:1], s7, v10
	s_nop 1
	v_cndmask_b32_e64 v21, v14, v11, s[0:1]
	v_lshl_add_u64 v[10:11], v[4:5], 0, 2
	v_lshl_add_u64 v[14:15], v[4:5], 0, 1
	v_cmp_ne_u32_e64 s[0:1], 0, v21
	s_nop 1
	v_cndmask_b32_e64 v11, v15, v11, s[0:1]
	v_cndmask_b32_e64 v15, 0, -1, vcc
	v_cmp_le_u32_e32 vcc, s6, v18
	v_cndmask_b32_e64 v10, v14, v10, s[0:1]
	s_nop 0
	v_cndmask_b32_e64 v18, 0, -1, vcc
	v_cmp_eq_u32_e32 vcc, s7, v13
	s_nop 1
	v_cndmask_b32_e32 v13, v15, v18, vcc
	v_cmp_ne_u32_e32 vcc, 0, v13
	s_nop 1
	v_cndmask_b32_e32 v4, v4, v10, vcc
	v_cndmask_b32_e32 v5, v5, v11, vcc
	v_xor_b32_e32 v4, v4, v12
	v_xor_b32_e32 v5, v5, v12
	v_sub_co_u32_e32 v10, vcc, v4, v12
                                        ; implicit-def: $vgpr4
	s_nop 1
	v_subb_co_u32_e32 v11, vcc, v5, v12, vcc
.LBB42_127:
	s_andn2_saveexec_b64 s[0:1], s[4:5]
	s_cbranch_execz .LBB42_129
; %bb.128:
	v_cvt_f32_u32_e32 v5, s3
	v_rcp_iflag_f32_e32 v5, v5
	s_nop 0
	v_mul_f32_e32 v5, 0x4f7ffffe, v5
	v_cvt_u32_f32_e32 v5, v5
	v_mul_lo_u32 v10, s12, v5
	v_mul_hi_u32 v10, v5, v10
	v_add_u32_e32 v5, v5, v10
	v_mul_hi_u32 v5, v4, v5
	v_mul_lo_u32 v10, v5, s3
	v_sub_u32_e32 v4, v4, v10
	v_add_u32_e32 v11, 1, v5
	v_subrev_u32_e32 v10, s3, v4
	v_cmp_le_u32_e32 vcc, s3, v4
	s_nop 1
	v_cndmask_b32_e32 v4, v4, v10, vcc
	v_cndmask_b32_e32 v5, v5, v11, vcc
	v_add_u32_e32 v10, 1, v5
	v_cmp_le_u32_e32 vcc, s3, v4
	v_mov_b32_e32 v11, 0
	s_nop 0
	v_cndmask_b32_e32 v10, v5, v10, vcc
.LBB42_129:
	s_or_b64 exec, exec, s[0:1]
	v_cmp_gt_i64_e32 vcc, s[30:31], v[2:3]
	v_mov_b64_e32 v[4:5], 0
	v_mov_b64_e32 v[2:3], 0
	s_and_saveexec_b64 s[0:1], vcc
	s_cbranch_execz .LBB42_137
; %bb.130:
	s_add_i32 s4, s3, -1
	v_and_b32_e32 v12, s4, v0
	s_mov_b64 s[4:5], 0
	v_cmp_lt_i64_e32 vcc, 0, v[10:11]
	v_mov_b64_e32 v[4:5], 0
	v_lshlrev_b32_e32 v18, 4, v12
	v_mov_b64_e32 v[2:3], 0
	s_and_saveexec_b64 s[6:7], vcc
	s_cbranch_execz .LBB42_134
; %bb.131:
	v_mov_b64_e32 v[4:5], 0
	v_lshl_add_u32 v13, v8, 4, v18
	s_lshl_b32 s8, s3, 4
	v_mov_b64_e32 v[14:15], v[10:11]
	v_mov_b64_e32 v[2:3], v[4:5]
.LBB42_132:                             ; =>This Inner Loop Header: Depth=1
	ds_read_b128 v[22:25], v13
	v_lshl_add_u64 v[14:15], v[14:15], 0, -1
	v_cmp_eq_u64_e32 vcc, 0, v[14:15]
	v_add_u32_e32 v13, s8, v13
	s_or_b64 s[4:5], vcc, s[4:5]
	s_waitcnt lgkmcnt(0)
	v_add_f64 v[2:3], v[2:3], v[22:23]
	v_add_f64 v[4:5], v[4:5], v[24:25]
	s_andn2_b64 exec, exec, s[4:5]
	s_cbranch_execnz .LBB42_132
; %bb.133:
	s_or_b64 exec, exec, s[4:5]
.LBB42_134:
	s_or_b64 exec, exec, s[6:7]
	v_mad_u64_u32 v[8:9], s[4:5], v10, s3, v[8:9]
	v_mov_b32_e32 v10, v9
	v_mad_u64_u32 v[10:11], s[4:5], v11, s3, v[10:11]
	v_sub_co_u32_e32 v14, vcc, v16, v8
	v_mov_b32_e32 v13, 0
	s_nop 0
	v_subb_co_u32_e32 v15, vcc, v17, v10, vcc
	v_cmp_gt_i64_e32 vcc, v[14:15], v[12:13]
	s_and_saveexec_b64 s[4:5], vcc
	s_cbranch_execz .LBB42_136
; %bb.135:
	v_lshl_add_u32 v8, v8, 4, v18
	ds_read_b128 v[8:11], v8
	s_waitcnt lgkmcnt(0)
	v_add_f64 v[2:3], v[2:3], v[8:9]
	v_add_f64 v[4:5], v[4:5], v[10:11]
.LBB42_136:
	s_or_b64 exec, exec, s[4:5]
.LBB42_137:
	s_or_b64 exec, exec, s[0:1]
	v_cmp_gt_i64_e32 vcc, s[30:31], v[0:1]
	s_barrier
	ds_write_b128 v20, v[2:5]
	s_waitcnt lgkmcnt(0)
	s_barrier
	s_and_b64 exec, exec, vcc
	s_cbranch_execz .LBB42_141
; %bb.138:
	v_mul_lo_u32 v1, s3, v0
	v_lshlrev_b32_e32 v1, 4, v1
	v_mov_b64_e32 v[2:3], 0
	v_mov_b64_e32 v[4:5], 0
.LBB42_139:                             ; =>This Inner Loop Header: Depth=1
	ds_read_b128 v[8:11], v1
	s_add_i32 s3, s3, -1
	v_add_u32_e32 v1, 16, v1
	s_cmp_eq_u32 s3, 0
	s_waitcnt lgkmcnt(0)
	v_add_f64 v[4:5], v[4:5], v[8:9]
	v_add_f64 v[2:3], v[2:3], v[10:11]
	s_cbranch_scc0 .LBB42_139
; %bb.140:
	s_lshl_b32 s0, s2, 4
	s_addk_i32 s0, 0x4000
	v_lshl_add_u32 v0, v0, 4, s0
	ds_read2_b64 v[8:11], v0 offset1:1
	s_waitcnt lgkmcnt(0)
	v_add_f64 v[0:1], v[4:5], v[8:9]
	v_lshl_add_u64 v[4:5], v[6:7], 4, s[28:29]
	v_add_f64 v[2:3], v[2:3], v[10:11]
	global_atomic_add_f64 v[4:5], v[0:1], off
	global_atomic_add_f64 v[4:5], v[2:3], off offset:8
.LBB42_141:
	s_endpgm
	.section	.rodata,"a",@progbits
	.p2align	6, 0x0
	.amdhsa_kernel _ZN9rocsparseL27csrmvn_symm_adaptive_kernelIll21rocsparse_complex_numIdES2_S2_S2_EEvbT_S3_PKS3_NS_24const_host_device_scalarIT4_EES5_PKT0_PKT1_PKT2_S8_PT3_21rocsparse_index_base_b
		.amdhsa_group_segment_fixed_size 16384
		.amdhsa_private_segment_fixed_size 0
		.amdhsa_kernarg_size 368
		.amdhsa_user_sgpr_count 2
		.amdhsa_user_sgpr_dispatch_ptr 0
		.amdhsa_user_sgpr_queue_ptr 0
		.amdhsa_user_sgpr_kernarg_segment_ptr 1
		.amdhsa_user_sgpr_dispatch_id 0
		.amdhsa_user_sgpr_kernarg_preload_length 0
		.amdhsa_user_sgpr_kernarg_preload_offset 0
		.amdhsa_user_sgpr_private_segment_size 0
		.amdhsa_uses_dynamic_stack 0
		.amdhsa_enable_private_segment 0
		.amdhsa_system_sgpr_workgroup_id_x 1
		.amdhsa_system_sgpr_workgroup_id_y 0
		.amdhsa_system_sgpr_workgroup_id_z 0
		.amdhsa_system_sgpr_workgroup_info 0
		.amdhsa_system_vgpr_workitem_id 0
		.amdhsa_next_free_vgpr 34
		.amdhsa_next_free_sgpr 54
		.amdhsa_accum_offset 36
		.amdhsa_reserve_vcc 1
		.amdhsa_float_round_mode_32 0
		.amdhsa_float_round_mode_16_64 0
		.amdhsa_float_denorm_mode_32 3
		.amdhsa_float_denorm_mode_16_64 3
		.amdhsa_dx10_clamp 1
		.amdhsa_ieee_mode 1
		.amdhsa_fp16_overflow 0
		.amdhsa_tg_split 0
		.amdhsa_exception_fp_ieee_invalid_op 0
		.amdhsa_exception_fp_denorm_src 0
		.amdhsa_exception_fp_ieee_div_zero 0
		.amdhsa_exception_fp_ieee_overflow 0
		.amdhsa_exception_fp_ieee_underflow 0
		.amdhsa_exception_fp_ieee_inexact 0
		.amdhsa_exception_int_div_zero 0
	.end_amdhsa_kernel
	.section	.text._ZN9rocsparseL27csrmvn_symm_adaptive_kernelIll21rocsparse_complex_numIdES2_S2_S2_EEvbT_S3_PKS3_NS_24const_host_device_scalarIT4_EES5_PKT0_PKT1_PKT2_S8_PT3_21rocsparse_index_base_b,"axG",@progbits,_ZN9rocsparseL27csrmvn_symm_adaptive_kernelIll21rocsparse_complex_numIdES2_S2_S2_EEvbT_S3_PKS3_NS_24const_host_device_scalarIT4_EES5_PKT0_PKT1_PKT2_S8_PT3_21rocsparse_index_base_b,comdat
.Lfunc_end42:
	.size	_ZN9rocsparseL27csrmvn_symm_adaptive_kernelIll21rocsparse_complex_numIdES2_S2_S2_EEvbT_S3_PKS3_NS_24const_host_device_scalarIT4_EES5_PKT0_PKT1_PKT2_S8_PT3_21rocsparse_index_base_b, .Lfunc_end42-_ZN9rocsparseL27csrmvn_symm_adaptive_kernelIll21rocsparse_complex_numIdES2_S2_S2_EEvbT_S3_PKS3_NS_24const_host_device_scalarIT4_EES5_PKT0_PKT1_PKT2_S8_PT3_21rocsparse_index_base_b
                                        ; -- End function
	.set _ZN9rocsparseL27csrmvn_symm_adaptive_kernelIll21rocsparse_complex_numIdES2_S2_S2_EEvbT_S3_PKS3_NS_24const_host_device_scalarIT4_EES5_PKT0_PKT1_PKT2_S8_PT3_21rocsparse_index_base_b.num_vgpr, 34
	.set _ZN9rocsparseL27csrmvn_symm_adaptive_kernelIll21rocsparse_complex_numIdES2_S2_S2_EEvbT_S3_PKS3_NS_24const_host_device_scalarIT4_EES5_PKT0_PKT1_PKT2_S8_PT3_21rocsparse_index_base_b.num_agpr, 0
	.set _ZN9rocsparseL27csrmvn_symm_adaptive_kernelIll21rocsparse_complex_numIdES2_S2_S2_EEvbT_S3_PKS3_NS_24const_host_device_scalarIT4_EES5_PKT0_PKT1_PKT2_S8_PT3_21rocsparse_index_base_b.numbered_sgpr, 54
	.set _ZN9rocsparseL27csrmvn_symm_adaptive_kernelIll21rocsparse_complex_numIdES2_S2_S2_EEvbT_S3_PKS3_NS_24const_host_device_scalarIT4_EES5_PKT0_PKT1_PKT2_S8_PT3_21rocsparse_index_base_b.num_named_barrier, 0
	.set _ZN9rocsparseL27csrmvn_symm_adaptive_kernelIll21rocsparse_complex_numIdES2_S2_S2_EEvbT_S3_PKS3_NS_24const_host_device_scalarIT4_EES5_PKT0_PKT1_PKT2_S8_PT3_21rocsparse_index_base_b.private_seg_size, 0
	.set _ZN9rocsparseL27csrmvn_symm_adaptive_kernelIll21rocsparse_complex_numIdES2_S2_S2_EEvbT_S3_PKS3_NS_24const_host_device_scalarIT4_EES5_PKT0_PKT1_PKT2_S8_PT3_21rocsparse_index_base_b.uses_vcc, 1
	.set _ZN9rocsparseL27csrmvn_symm_adaptive_kernelIll21rocsparse_complex_numIdES2_S2_S2_EEvbT_S3_PKS3_NS_24const_host_device_scalarIT4_EES5_PKT0_PKT1_PKT2_S8_PT3_21rocsparse_index_base_b.uses_flat_scratch, 0
	.set _ZN9rocsparseL27csrmvn_symm_adaptive_kernelIll21rocsparse_complex_numIdES2_S2_S2_EEvbT_S3_PKS3_NS_24const_host_device_scalarIT4_EES5_PKT0_PKT1_PKT2_S8_PT3_21rocsparse_index_base_b.has_dyn_sized_stack, 0
	.set _ZN9rocsparseL27csrmvn_symm_adaptive_kernelIll21rocsparse_complex_numIdES2_S2_S2_EEvbT_S3_PKS3_NS_24const_host_device_scalarIT4_EES5_PKT0_PKT1_PKT2_S8_PT3_21rocsparse_index_base_b.has_recursion, 0
	.set _ZN9rocsparseL27csrmvn_symm_adaptive_kernelIll21rocsparse_complex_numIdES2_S2_S2_EEvbT_S3_PKS3_NS_24const_host_device_scalarIT4_EES5_PKT0_PKT1_PKT2_S8_PT3_21rocsparse_index_base_b.has_indirect_call, 0
	.section	.AMDGPU.csdata,"",@progbits
; Kernel info:
; codeLenInByte = 8076
; TotalNumSgprs: 60
; NumVgprs: 34
; NumAgprs: 0
; TotalNumVgprs: 34
; ScratchSize: 0
; MemoryBound: 0
; FloatMode: 240
; IeeeMode: 1
; LDSByteSize: 16384 bytes/workgroup (compile time only)
; SGPRBlocks: 7
; VGPRBlocks: 4
; NumSGPRsForWavesPerEU: 60
; NumVGPRsForWavesPerEU: 34
; AccumOffset: 36
; Occupancy: 8
; WaveLimiterHint : 1
; COMPUTE_PGM_RSRC2:SCRATCH_EN: 0
; COMPUTE_PGM_RSRC2:USER_SGPR: 2
; COMPUTE_PGM_RSRC2:TRAP_HANDLER: 0
; COMPUTE_PGM_RSRC2:TGID_X_EN: 1
; COMPUTE_PGM_RSRC2:TGID_Y_EN: 0
; COMPUTE_PGM_RSRC2:TGID_Z_EN: 0
; COMPUTE_PGM_RSRC2:TIDIG_COMP_CNT: 0
; COMPUTE_PGM_RSRC3_GFX90A:ACCUM_OFFSET: 8
; COMPUTE_PGM_RSRC3_GFX90A:TG_SPLIT: 0
	.section	.text._ZL33csrmvn_symm_large_adaptive_kernelIll21rocsparse_complex_numIdES1_S1_S1_EvbT_PKS2_N9rocsparse24const_host_device_scalarIT4_EES4_PKT0_PKT1_PKT2_S8_PT3_21rocsparse_index_base_b,"axG",@progbits,_ZL33csrmvn_symm_large_adaptive_kernelIll21rocsparse_complex_numIdES1_S1_S1_EvbT_PKS2_N9rocsparse24const_host_device_scalarIT4_EES4_PKT0_PKT1_PKT2_S8_PT3_21rocsparse_index_base_b,comdat
	.globl	_ZL33csrmvn_symm_large_adaptive_kernelIll21rocsparse_complex_numIdES1_S1_S1_EvbT_PKS2_N9rocsparse24const_host_device_scalarIT4_EES4_PKT0_PKT1_PKT2_S8_PT3_21rocsparse_index_base_b ; -- Begin function _ZL33csrmvn_symm_large_adaptive_kernelIll21rocsparse_complex_numIdES1_S1_S1_EvbT_PKS2_N9rocsparse24const_host_device_scalarIT4_EES4_PKT0_PKT1_PKT2_S8_PT3_21rocsparse_index_base_b
	.p2align	8
	.type	_ZL33csrmvn_symm_large_adaptive_kernelIll21rocsparse_complex_numIdES1_S1_S1_EvbT_PKS2_N9rocsparse24const_host_device_scalarIT4_EES4_PKT0_PKT1_PKT2_S8_PT3_21rocsparse_index_base_b,@function
_ZL33csrmvn_symm_large_adaptive_kernelIll21rocsparse_complex_numIdES1_S1_S1_EvbT_PKS2_N9rocsparse24const_host_device_scalarIT4_EES4_PKT0_PKT1_PKT2_S8_PT3_21rocsparse_index_base_b: ; @_ZL33csrmvn_symm_large_adaptive_kernelIll21rocsparse_complex_numIdES1_S1_S1_EvbT_PKS2_N9rocsparse24const_host_device_scalarIT4_EES4_PKT0_PKT1_PKT2_S8_PT3_21rocsparse_index_base_b
; %bb.0:
	s_load_dwordx2 s[14:15], s[0:1], 0x60
	s_load_dwordx2 s[4:5], s[0:1], 0x18
	s_add_u32 s3, s0, 24
	s_addc_u32 s10, s1, 0
	s_waitcnt lgkmcnt(0)
	s_bitcmp1_b32 s15, 0
	s_cselect_b64 s[8:9], -1, 0
	s_and_b64 s[6:7], s[8:9], exec
	s_cselect_b32 s5, s10, s5
	s_cselect_b32 s3, s3, s4
	v_mov_b32_e32 v2, s3
	v_mov_b32_e32 v3, s5
	flat_load_dwordx4 v[2:5], v[2:3]
	s_waitcnt vmcnt(0) lgkmcnt(0)
	v_cmp_eq_f64_e32 vcc, 0, v[2:3]
	v_cmp_eq_f64_e64 s[4:5], 0, v[4:5]
	s_and_b64 s[10:11], vcc, s[4:5]
	s_mov_b64 s[4:5], -1
	s_and_saveexec_b64 s[6:7], s[10:11]
	s_cbranch_execz .LBB43_2
; %bb.1:
	s_load_dwordx2 s[4:5], s[0:1], 0x48
	s_add_u32 s3, s0, 0x48
	s_addc_u32 s10, s1, 0
	s_and_b64 s[8:9], s[8:9], exec
	s_waitcnt lgkmcnt(0)
	s_cselect_b32 s5, s10, s5
	s_cselect_b32 s3, s3, s4
	v_mov_b32_e32 v6, s3
	v_mov_b32_e32 v7, s5
	flat_load_dwordx4 v[6:9], v[6:7]
	s_waitcnt vmcnt(0) lgkmcnt(0)
	v_cmp_neq_f64_e32 vcc, 1.0, v[6:7]
	v_cmp_neq_f64_e64 s[4:5], 0, v[8:9]
	s_or_b64 s[4:5], vcc, s[4:5]
	s_orn2_b64 s[4:5], s[4:5], exec
.LBB43_2:
	s_or_b64 exec, exec, s[6:7]
	s_and_saveexec_b64 s[6:7], s[4:5]
	s_cbranch_execz .LBB43_38
; %bb.3:
	s_load_dword s3, s[0:1], 0x0
	s_load_dwordx2 s[8:9], s[0:1], 0x10
	s_mov_b32 s4, 0
	s_mov_b32 s6, s4
	;; [unrolled: 1-line block ×3, first 2 shown]
	s_waitcnt lgkmcnt(0)
	s_bitcmp1_b32 s3, 0
	s_cselect_b64 s[12:13], -1, 0
	s_ashr_i32 s3, s2, 31
	s_lshl_b64 s[2:3], s[2:3], 3
	s_mov_b32 s5, s4
	v_mov_b64_e32 v[8:9], s[6:7]
	s_add_u32 s2, s8, s2
	v_lshlrev_b32_e32 v18, 4, v0
	v_mov_b64_e32 v[6:7], s[4:5]
	s_addc_u32 s3, s9, s3
	ds_write_b128 v18, v[6:9]
	ds_write_b128 v18, v[6:9] offset:4096
	ds_write_b128 v18, v[6:9] offset:8192
	;; [unrolled: 1-line block ×3, first 2 shown]
	s_waitcnt lgkmcnt(0)
	s_barrier
	s_load_dwordx4 s[24:27], s[2:3], 0x0
	s_load_dwordx2 s[28:29], s[0:1], 0x58
	s_load_dwordx8 s[16:23], s[0:1], 0x28
	v_subrev_co_u32_e64 v10, s[0:1], s14, v0
	s_waitcnt lgkmcnt(0)
	v_mov_b64_e32 v[6:7], s[26:27]
	v_cmp_ge_i64_e32 vcc, s[24:25], v[6:7]
	v_mov_b32_e32 v19, 0
	v_subb_co_u32_e64 v11, s[0:1], 0, 0, s[0:1]
	s_cbranch_vccnz .LBB43_29
; %bb.4:
	s_movk_i32 s0, 0x100
	v_cmp_gt_u32_e64 s[2:3], s0, v0
	s_add_u32 s0, s20, 8
	v_cmp_gt_u32_e64 s[4:5], 64, v0
	v_cmp_gt_u32_e64 s[6:7], 16, v0
	;; [unrolled: 1-line block ×3, first 2 shown]
	v_cmp_eq_u32_e64 s[10:11], 0, v0
	s_addc_u32 s1, s21, 0
	s_mov_b64 s[30:31], 0x100
	s_mov_b64 s[34:35], 0x800
	;; [unrolled: 1-line block ×3, first 2 shown]
	v_mov_b64_e32 v[0:1], s[26:27]
	s_mov_b64 s[38:39], s[24:25]
	s_branch .LBB43_6
.LBB43_5:                               ;   in Loop: Header=BB43_6 Depth=1
	s_or_b64 exec, exec, s[40:41]
	s_add_u32 s38, s38, 1
	s_addc_u32 s39, s39, 0
	v_cmp_ge_i64_e32 vcc, s[38:39], v[0:1]
	s_cbranch_vccnz .LBB43_29
.LBB43_6:                               ; =>This Loop Header: Depth=1
                                        ;     Child Loop BB43_8 Depth 2
                                        ;     Child Loop BB43_22 Depth 2
	;; [unrolled: 1-line block ×3, first 2 shown]
	s_lshl_b64 s[40:41], s[38:39], 3
	s_add_u32 s44, s16, s40
	s_addc_u32 s45, s17, s41
	s_load_dwordx4 s[40:43], s[44:45], 0x0
	v_mov_b64_e32 v[8:9], 0
	v_mov_b64_e32 v[6:7], 0
	s_waitcnt lgkmcnt(0)
	s_sub_u32 s42, s42, s14
	v_lshl_add_u64 v[12:13], s[40:41], 0, v[10:11]
	s_subb_u32 s43, s43, 0
	v_cmp_gt_i64_e32 vcc, s[42:43], v[12:13]
	s_and_saveexec_b64 s[40:41], vcc
	s_cbranch_execz .LBB43_10
; %bb.7:                                ;   in Loop: Header=BB43_6 Depth=1
	v_mov_b64_e32 v[8:9], 0
	v_lshl_add_u64 v[14:15], v[12:13], 3, s[18:19]
	v_lshl_add_u64 v[16:17], v[12:13], 4, s[0:1]
	s_mov_b64 s[44:45], 0
	v_mov_b64_e32 v[6:7], v[8:9]
.LBB43_8:                               ;   Parent Loop BB43_6 Depth=1
                                        ; =>  This Inner Loop Header: Depth=2
	global_load_dwordx2 v[24:25], v[14:15], off
	global_load_dwordx4 v[20:23], v[16:17], off offset:-8
	v_lshl_add_u64 v[12:13], v[12:13], 0, s[30:31]
	v_lshl_add_u64 v[14:15], v[14:15], 0, s[34:35]
	;; [unrolled: 1-line block ×3, first 2 shown]
	s_waitcnt vmcnt(1)
	v_subrev_co_u32_e32 v24, vcc, s14, v24
	s_nop 1
	v_subbrev_co_u32_e32 v25, vcc, 0, v25, vcc
	v_lshl_add_u64 v[24:25], v[24:25], 4, s[22:23]
	global_load_dwordx4 v[24:27], v[24:25], off
	s_waitcnt vmcnt(1)
	v_xor_b32_e32 v28, 0x80000000, v23
	v_cndmask_b32_e64 v23, v23, v28, s[12:13]
	v_cmp_le_i64_e32 vcc, s[42:43], v[12:13]
	s_or_b64 s[44:45], vcc, s[44:45]
	s_waitcnt vmcnt(0)
	v_fmac_f64_e32 v[6:7], v[20:21], v[24:25]
	v_fmac_f64_e32 v[8:9], v[22:23], v[24:25]
	v_fma_f64 v[6:7], -v[22:23], v[26:27], v[6:7]
	v_fmac_f64_e32 v[8:9], v[20:21], v[26:27]
	s_andn2_b64 exec, exec, s[44:45]
	s_cbranch_execnz .LBB43_8
; %bb.9:                                ;   in Loop: Header=BB43_6 Depth=1
	s_or_b64 exec, exec, s[44:45]
.LBB43_10:                              ;   in Loop: Header=BB43_6 Depth=1
	s_or_b64 exec, exec, s[40:41]
	ds_write_b128 v18, v[6:9]
	s_waitcnt lgkmcnt(0)
	s_barrier
	s_and_saveexec_b64 s[40:41], s[2:3]
	s_cbranch_execz .LBB43_12
; %bb.11:                               ;   in Loop: Header=BB43_6 Depth=1
	ds_read_b128 v[6:9], v18 offset:4096
	ds_read_b128 v[12:15], v18 offset:8192
	ds_read_b128 v[20:23], v18 offset:12288
	ds_read_b128 v[24:27], v18
	s_waitcnt lgkmcnt(2)
	v_add_f64 v[6:7], v[12:13], v[6:7]
	v_add_f64 v[8:9], v[14:15], v[8:9]
	s_waitcnt lgkmcnt(1)
	v_add_f64 v[6:7], v[6:7], v[20:21]
	v_add_f64 v[8:9], v[8:9], v[22:23]
	s_waitcnt lgkmcnt(0)
	v_add_f64 v[6:7], v[6:7], v[24:25]
	v_add_f64 v[8:9], v[8:9], v[26:27]
	ds_write_b128 v18, v[6:9]
.LBB43_12:                              ;   in Loop: Header=BB43_6 Depth=1
	s_or_b64 exec, exec, s[40:41]
	s_waitcnt lgkmcnt(0)
	s_barrier
	s_and_saveexec_b64 s[40:41], s[4:5]
	s_cbranch_execz .LBB43_14
; %bb.13:                               ;   in Loop: Header=BB43_6 Depth=1
	ds_read_b128 v[6:9], v18 offset:1024
	ds_read_b128 v[12:15], v18 offset:2048
	ds_read_b128 v[20:23], v18 offset:3072
	ds_read_b128 v[24:27], v18
	s_waitcnt lgkmcnt(2)
	v_add_f64 v[6:7], v[12:13], v[6:7]
	v_add_f64 v[8:9], v[14:15], v[8:9]
	s_waitcnt lgkmcnt(1)
	v_add_f64 v[6:7], v[6:7], v[20:21]
	v_add_f64 v[8:9], v[8:9], v[22:23]
	s_waitcnt lgkmcnt(0)
	v_add_f64 v[6:7], v[6:7], v[24:25]
	v_add_f64 v[8:9], v[8:9], v[26:27]
	ds_write_b128 v18, v[6:9]
.LBB43_14:                              ;   in Loop: Header=BB43_6 Depth=1
	s_or_b64 exec, exec, s[40:41]
	;; [unrolled: 21-line block ×5, first 2 shown]
	s_waitcnt lgkmcnt(0)
	s_barrier
	s_and_saveexec_b64 s[40:41], s[10:11]
	s_cbranch_execz .LBB43_5
; %bb.21:                               ;   in Loop: Header=BB43_6 Depth=1
	ds_read_b128 v[6:9], v19
	v_mov_b32_e32 v12, 0
	s_mov_b64 s[42:43], exec
	v_bfrev_b32_e32 v13, 1
	s_waitcnt lgkmcnt(0)
	v_mul_f64 v[14:15], v[8:9], -v[4:5]
	v_fmac_f64_e32 v[14:15], v[2:3], v[6:7]
.LBB43_22:                              ;   Parent Loop BB43_6 Depth=1
                                        ; =>  This Inner Loop Header: Depth=2
	s_ff1_i32_b64 s15, s[42:43]
	s_lshl_b64 s[46:47], 1, s15
	v_readlane_b32 s45, v15, s15
	v_readlane_b32 s44, v14, s15
	s_andn2_b64 s[42:43], s[42:43], s[46:47]
	s_cmp_lg_u64 s[42:43], 0
	v_add_f64 v[12:13], v[12:13], s[44:45]
	s_cbranch_scc1 .LBB43_22
; %bb.23:                               ;   in Loop: Header=BB43_6 Depth=1
	s_lshl_b64 s[42:43], s[38:39], 4
	v_mbcnt_lo_u32_b32 v14, exec_lo, 0
	s_add_u32 s42, s28, s42
	v_mbcnt_hi_u32_b32 v14, exec_hi, v14
	s_addc_u32 s43, s29, s43
	v_cmp_eq_u32_e32 vcc, 0, v14
	s_and_saveexec_b64 s[44:45], vcc
	s_xor_b64 s[44:45], exec, s[44:45]
	s_cbranch_execz .LBB43_25
; %bb.24:                               ;   in Loop: Header=BB43_6 Depth=1
	global_atomic_add_f64 v19, v[12:13], s[42:43]
.LBB43_25:                              ;   in Loop: Header=BB43_6 Depth=1
	s_or_b64 exec, exec, s[44:45]
	v_mul_f64 v[8:9], v[2:3], v[8:9]
	v_fmac_f64_e32 v[8:9], v[4:5], v[6:7]
	v_mov_b32_e32 v6, 0
	s_mov_b64 s[44:45], exec
	v_bfrev_b32_e32 v7, 1
.LBB43_26:                              ;   Parent Loop BB43_6 Depth=1
                                        ; =>  This Inner Loop Header: Depth=2
	s_ff1_i32_b64 s15, s[44:45]
	s_lshl_b64 s[48:49], 1, s15
	v_readlane_b32 s47, v9, s15
	v_readlane_b32 s46, v8, s15
	s_andn2_b64 s[44:45], s[44:45], s[48:49]
	s_cmp_lg_u64 s[44:45], 0
	v_add_f64 v[6:7], v[6:7], s[46:47]
	s_cbranch_scc1 .LBB43_26
; %bb.27:                               ;   in Loop: Header=BB43_6 Depth=1
	v_mbcnt_lo_u32_b32 v8, exec_lo, 0
	v_mbcnt_hi_u32_b32 v8, exec_hi, v8
	v_cmp_eq_u32_e32 vcc, 0, v8
	s_and_saveexec_b64 s[44:45], vcc
	s_xor_b64 s[44:45], exec, s[44:45]
	s_cbranch_execz .LBB43_5
; %bb.28:                               ;   in Loop: Header=BB43_6 Depth=1
	global_atomic_add_f64 v19, v[6:7], s[42:43] offset:8
	s_branch .LBB43_5
.LBB43_29:
	s_lshl_b64 s[0:1], s[24:25], 3
	s_add_u32 s0, s16, s0
	s_addc_u32 s1, s17, s1
	s_lshl_b64 s[2:3], s[26:27], 3
	s_add_u32 s2, s16, s2
	s_addc_u32 s3, s17, s3
	s_load_dwordx2 s[4:5], s[2:3], 0x0
	s_load_dwordx2 s[6:7], s[0:1], 0x0
	s_waitcnt lgkmcnt(0)
	s_sub_u32 s4, s4, s14
	s_subb_u32 s5, s5, 0
	v_lshl_add_u64 v[0:1], s[6:7], 0, v[10:11]
	v_cmp_gt_i64_e32 vcc, s[4:5], v[0:1]
	s_and_b64 exec, exec, vcc
	s_cbranch_execz .LBB43_38
; %bb.30:
	s_add_u32 s6, s26, -1
	s_addc_u32 s7, s27, -1
	s_add_u32 s0, s26, -2
	s_addc_u32 s1, s27, -1
	v_mov_b64_e32 v[6:7], s[6:7]
	s_cmp_lg_u64 s[24:25], s[0:1]
	v_cmp_lt_i64_e32 vcc, s[24:25], v[6:7]
	s_cselect_b64 s[0:1], -1, 0
	s_and_b64 s[0:1], vcc, s[0:1]
	v_cndmask_b32_e64 v6, 0, 1, s[0:1]
	s_mov_b64 s[8:9], 0
	v_cmp_ne_u32_e64 s[2:3], 1, v6
	v_mov_b32_e32 v7, 0
	s_mov_b64 s[10:11], 0x100
	s_branch .LBB43_32
.LBB43_31:                              ;   in Loop: Header=BB43_32 Depth=1
	s_or_b64 exec, exec, s[0:1]
	v_lshl_add_u64 v[0:1], v[0:1], 0, s[10:11]
	v_cmp_le_i64_e32 vcc, s[4:5], v[0:1]
	s_or_b64 s[8:9], vcc, s[8:9]
	s_andn2_b64 exec, exec, s[8:9]
	s_cbranch_execz .LBB43_38
.LBB43_32:                              ; =>This Loop Header: Depth=1
                                        ;     Child Loop BB43_34 Depth 2
	s_and_b64 vcc, exec, s[2:3]
	v_mov_b64_e32 v[8:9], s[24:25]
	v_mov_b64_e32 v[10:11], s[6:7]
	s_cbranch_vccnz .LBB43_36
; %bb.33:                               ;   in Loop: Header=BB43_32 Depth=1
	s_mov_b64 s[26:27], 0
	v_mov_b64_e32 v[8:9], s[24:25]
	v_mov_b64_e32 v[10:11], s[6:7]
.LBB43_34:                              ;   Parent Loop BB43_32 Depth=1
                                        ; =>  This Inner Loop Header: Depth=2
	v_lshl_add_u64 v[12:13], v[10:11], 0, v[8:9]
	v_lshrrev_b32_e32 v6, 31, v13
	v_lshl_add_u64 v[12:13], v[12:13], 0, v[6:7]
	v_ashrrev_i64 v[12:13], 1, v[12:13]
	v_lshl_add_u64 v[14:15], v[12:13], 3, s[16:17]
	global_load_dwordx2 v[14:15], v[14:15], off
	s_waitcnt vmcnt(0)
	v_subrev_co_u32_e32 v14, vcc, s14, v14
	s_nop 1
	v_subbrev_co_u32_e32 v15, vcc, 0, v15, vcc
	v_cmp_lt_i64_e32 vcc, v[0:1], v[14:15]
	s_nop 1
	v_cndmask_b32_e32 v11, v11, v13, vcc
	v_cndmask_b32_e32 v10, v10, v12, vcc
	;; [unrolled: 1-line block ×4, first 2 shown]
	v_lshl_add_u64 v[12:13], v[10:11], 0, -1
	v_cmp_ge_i64_e32 vcc, v[8:9], v[10:11]
	v_cmp_eq_u64_e64 s[0:1], v[8:9], v[12:13]
	s_or_b64 s[0:1], vcc, s[0:1]
	s_and_b64 s[0:1], exec, s[0:1]
	s_or_b64 s[26:27], s[0:1], s[26:27]
	s_andn2_b64 exec, exec, s[26:27]
	s_cbranch_execnz .LBB43_34
; %bb.35:                               ;   in Loop: Header=BB43_32 Depth=1
	s_or_b64 exec, exec, s[26:27]
.LBB43_36:                              ;   in Loop: Header=BB43_32 Depth=1
	v_lshl_add_u64 v[12:13], v[10:11], 3, s[16:17]
	global_load_dwordx2 v[12:13], v[12:13], off
	v_lshl_add_u64 v[14:15], v[0:1], 3, s[18:19]
	global_load_dwordx2 v[14:15], v[14:15], off
	s_waitcnt vmcnt(1)
	v_subrev_co_u32_e32 v12, vcc, s14, v12
	s_nop 1
	v_subbrev_co_u32_e32 v13, vcc, 0, v13, vcc
	v_cmp_lt_i64_e32 vcc, v[0:1], v[12:13]
	s_nop 1
	v_cndmask_b32_e32 v11, v11, v9, vcc
	v_cndmask_b32_e32 v10, v10, v8, vcc
	s_waitcnt vmcnt(0)
	v_subrev_co_u32_e32 v8, vcc, s14, v14
	s_nop 1
	v_subbrev_co_u32_e32 v9, vcc, 0, v15, vcc
	v_cmp_ne_u64_e32 vcc, v[8:9], v[10:11]
	s_and_saveexec_b64 s[0:1], vcc
	s_cbranch_execz .LBB43_31
; %bb.37:                               ;   in Loop: Header=BB43_32 Depth=1
	v_lshl_add_u64 v[12:13], v[0:1], 4, s[20:21]
	global_load_dwordx4 v[12:15], v[12:13], off
	v_lshl_add_u64 v[10:11], v[10:11], 4, s[22:23]
	global_load_dwordx4 v[16:19], v[10:11], off
	v_lshl_add_u64 v[8:9], v[8:9], 4, s[28:29]
	s_waitcnt vmcnt(1)
	v_xor_b32_e32 v6, 0x80000000, v15
	v_cndmask_b32_e64 v15, v15, v6, s[12:13]
	v_mul_f64 v[10:11], v[14:15], -v[4:5]
	v_mul_f64 v[14:15], v[2:3], v[14:15]
	v_fmac_f64_e32 v[14:15], v[4:5], v[12:13]
	v_fmac_f64_e32 v[10:11], v[2:3], v[12:13]
	s_waitcnt vmcnt(0)
	v_mul_f64 v[12:13], v[18:19], -v[14:15]
	v_mul_f64 v[18:19], v[18:19], v[10:11]
	v_fmac_f64_e32 v[12:13], v[10:11], v[16:17]
	v_fmac_f64_e32 v[18:19], v[14:15], v[16:17]
	global_atomic_add_f64 v[8:9], v[12:13], off
	global_atomic_add_f64 v[8:9], v[18:19], off offset:8
	s_branch .LBB43_31
.LBB43_38:
	s_endpgm
	.section	.rodata,"a",@progbits
	.p2align	6, 0x0
	.amdhsa_kernel _ZL33csrmvn_symm_large_adaptive_kernelIll21rocsparse_complex_numIdES1_S1_S1_EvbT_PKS2_N9rocsparse24const_host_device_scalarIT4_EES4_PKT0_PKT1_PKT2_S8_PT3_21rocsparse_index_base_b
		.amdhsa_group_segment_fixed_size 16384
		.amdhsa_private_segment_fixed_size 0
		.amdhsa_kernarg_size 104
		.amdhsa_user_sgpr_count 2
		.amdhsa_user_sgpr_dispatch_ptr 0
		.amdhsa_user_sgpr_queue_ptr 0
		.amdhsa_user_sgpr_kernarg_segment_ptr 1
		.amdhsa_user_sgpr_dispatch_id 0
		.amdhsa_user_sgpr_kernarg_preload_length 0
		.amdhsa_user_sgpr_kernarg_preload_offset 0
		.amdhsa_user_sgpr_private_segment_size 0
		.amdhsa_uses_dynamic_stack 0
		.amdhsa_enable_private_segment 0
		.amdhsa_system_sgpr_workgroup_id_x 1
		.amdhsa_system_sgpr_workgroup_id_y 0
		.amdhsa_system_sgpr_workgroup_id_z 0
		.amdhsa_system_sgpr_workgroup_info 0
		.amdhsa_system_vgpr_workitem_id 0
		.amdhsa_next_free_vgpr 29
		.amdhsa_next_free_sgpr 50
		.amdhsa_accum_offset 32
		.amdhsa_reserve_vcc 1
		.amdhsa_float_round_mode_32 0
		.amdhsa_float_round_mode_16_64 0
		.amdhsa_float_denorm_mode_32 3
		.amdhsa_float_denorm_mode_16_64 3
		.amdhsa_dx10_clamp 1
		.amdhsa_ieee_mode 1
		.amdhsa_fp16_overflow 0
		.amdhsa_tg_split 0
		.amdhsa_exception_fp_ieee_invalid_op 0
		.amdhsa_exception_fp_denorm_src 0
		.amdhsa_exception_fp_ieee_div_zero 0
		.amdhsa_exception_fp_ieee_overflow 0
		.amdhsa_exception_fp_ieee_underflow 0
		.amdhsa_exception_fp_ieee_inexact 0
		.amdhsa_exception_int_div_zero 0
	.end_amdhsa_kernel
	.section	.text._ZL33csrmvn_symm_large_adaptive_kernelIll21rocsparse_complex_numIdES1_S1_S1_EvbT_PKS2_N9rocsparse24const_host_device_scalarIT4_EES4_PKT0_PKT1_PKT2_S8_PT3_21rocsparse_index_base_b,"axG",@progbits,_ZL33csrmvn_symm_large_adaptive_kernelIll21rocsparse_complex_numIdES1_S1_S1_EvbT_PKS2_N9rocsparse24const_host_device_scalarIT4_EES4_PKT0_PKT1_PKT2_S8_PT3_21rocsparse_index_base_b,comdat
.Lfunc_end43:
	.size	_ZL33csrmvn_symm_large_adaptive_kernelIll21rocsparse_complex_numIdES1_S1_S1_EvbT_PKS2_N9rocsparse24const_host_device_scalarIT4_EES4_PKT0_PKT1_PKT2_S8_PT3_21rocsparse_index_base_b, .Lfunc_end43-_ZL33csrmvn_symm_large_adaptive_kernelIll21rocsparse_complex_numIdES1_S1_S1_EvbT_PKS2_N9rocsparse24const_host_device_scalarIT4_EES4_PKT0_PKT1_PKT2_S8_PT3_21rocsparse_index_base_b
                                        ; -- End function
	.set _ZL33csrmvn_symm_large_adaptive_kernelIll21rocsparse_complex_numIdES1_S1_S1_EvbT_PKS2_N9rocsparse24const_host_device_scalarIT4_EES4_PKT0_PKT1_PKT2_S8_PT3_21rocsparse_index_base_b.num_vgpr, 29
	.set _ZL33csrmvn_symm_large_adaptive_kernelIll21rocsparse_complex_numIdES1_S1_S1_EvbT_PKS2_N9rocsparse24const_host_device_scalarIT4_EES4_PKT0_PKT1_PKT2_S8_PT3_21rocsparse_index_base_b.num_agpr, 0
	.set _ZL33csrmvn_symm_large_adaptive_kernelIll21rocsparse_complex_numIdES1_S1_S1_EvbT_PKS2_N9rocsparse24const_host_device_scalarIT4_EES4_PKT0_PKT1_PKT2_S8_PT3_21rocsparse_index_base_b.numbered_sgpr, 50
	.set _ZL33csrmvn_symm_large_adaptive_kernelIll21rocsparse_complex_numIdES1_S1_S1_EvbT_PKS2_N9rocsparse24const_host_device_scalarIT4_EES4_PKT0_PKT1_PKT2_S8_PT3_21rocsparse_index_base_b.num_named_barrier, 0
	.set _ZL33csrmvn_symm_large_adaptive_kernelIll21rocsparse_complex_numIdES1_S1_S1_EvbT_PKS2_N9rocsparse24const_host_device_scalarIT4_EES4_PKT0_PKT1_PKT2_S8_PT3_21rocsparse_index_base_b.private_seg_size, 0
	.set _ZL33csrmvn_symm_large_adaptive_kernelIll21rocsparse_complex_numIdES1_S1_S1_EvbT_PKS2_N9rocsparse24const_host_device_scalarIT4_EES4_PKT0_PKT1_PKT2_S8_PT3_21rocsparse_index_base_b.uses_vcc, 1
	.set _ZL33csrmvn_symm_large_adaptive_kernelIll21rocsparse_complex_numIdES1_S1_S1_EvbT_PKS2_N9rocsparse24const_host_device_scalarIT4_EES4_PKT0_PKT1_PKT2_S8_PT3_21rocsparse_index_base_b.uses_flat_scratch, 0
	.set _ZL33csrmvn_symm_large_adaptive_kernelIll21rocsparse_complex_numIdES1_S1_S1_EvbT_PKS2_N9rocsparse24const_host_device_scalarIT4_EES4_PKT0_PKT1_PKT2_S8_PT3_21rocsparse_index_base_b.has_dyn_sized_stack, 0
	.set _ZL33csrmvn_symm_large_adaptive_kernelIll21rocsparse_complex_numIdES1_S1_S1_EvbT_PKS2_N9rocsparse24const_host_device_scalarIT4_EES4_PKT0_PKT1_PKT2_S8_PT3_21rocsparse_index_base_b.has_recursion, 0
	.set _ZL33csrmvn_symm_large_adaptive_kernelIll21rocsparse_complex_numIdES1_S1_S1_EvbT_PKS2_N9rocsparse24const_host_device_scalarIT4_EES4_PKT0_PKT1_PKT2_S8_PT3_21rocsparse_index_base_b.has_indirect_call, 0
	.section	.AMDGPU.csdata,"",@progbits
; Kernel info:
; codeLenInByte = 2120
; TotalNumSgprs: 56
; NumVgprs: 29
; NumAgprs: 0
; TotalNumVgprs: 29
; ScratchSize: 0
; MemoryBound: 0
; FloatMode: 240
; IeeeMode: 1
; LDSByteSize: 16384 bytes/workgroup (compile time only)
; SGPRBlocks: 6
; VGPRBlocks: 3
; NumSGPRsForWavesPerEU: 56
; NumVGPRsForWavesPerEU: 29
; AccumOffset: 32
; Occupancy: 8
; WaveLimiterHint : 1
; COMPUTE_PGM_RSRC2:SCRATCH_EN: 0
; COMPUTE_PGM_RSRC2:USER_SGPR: 2
; COMPUTE_PGM_RSRC2:TRAP_HANDLER: 0
; COMPUTE_PGM_RSRC2:TGID_X_EN: 1
; COMPUTE_PGM_RSRC2:TGID_Y_EN: 0
; COMPUTE_PGM_RSRC2:TGID_Z_EN: 0
; COMPUTE_PGM_RSRC2:TIDIG_COMP_CNT: 0
; COMPUTE_PGM_RSRC3_GFX90A:ACCUM_OFFSET: 7
; COMPUTE_PGM_RSRC3_GFX90A:TG_SPLIT: 0
	.section	.text._ZN9rocsparseL22csrmvn_adaptive_kernelIiiaaiiEEvbT_PKS1_PjPKT0_NS_24const_host_device_scalarIT4_EES3_S7_PKT1_PKT2_SA_PT3_21rocsparse_index_base_b,"axG",@progbits,_ZN9rocsparseL22csrmvn_adaptive_kernelIiiaaiiEEvbT_PKS1_PjPKT0_NS_24const_host_device_scalarIT4_EES3_S7_PKT1_PKT2_SA_PT3_21rocsparse_index_base_b,comdat
	.globl	_ZN9rocsparseL22csrmvn_adaptive_kernelIiiaaiiEEvbT_PKS1_PjPKT0_NS_24const_host_device_scalarIT4_EES3_S7_PKT1_PKT2_SA_PT3_21rocsparse_index_base_b ; -- Begin function _ZN9rocsparseL22csrmvn_adaptive_kernelIiiaaiiEEvbT_PKS1_PjPKT0_NS_24const_host_device_scalarIT4_EES3_S7_PKT1_PKT2_SA_PT3_21rocsparse_index_base_b
	.p2align	8
	.type	_ZN9rocsparseL22csrmvn_adaptive_kernelIiiaaiiEEvbT_PKS1_PjPKT0_NS_24const_host_device_scalarIT4_EES3_S7_PKT1_PKT2_SA_PT3_21rocsparse_index_base_b,@function
_ZN9rocsparseL22csrmvn_adaptive_kernelIiiaaiiEEvbT_PKS1_PjPKT0_NS_24const_host_device_scalarIT4_EES3_S7_PKT1_PKT2_SA_PT3_21rocsparse_index_base_b: ; @_ZN9rocsparseL22csrmvn_adaptive_kernelIiiaaiiEEvbT_PKS1_PjPKT0_NS_24const_host_device_scalarIT4_EES3_S7_PKT1_PKT2_SA_PT3_21rocsparse_index_base_b
; %bb.0:
	s_load_dwordx2 s[36:37], s[0:1], 0x58
	s_load_dwordx2 s[8:9], s[0:1], 0x20
	s_mov_b64 s[10:11], -1
                                        ; implicit-def: $sgpr59
	s_waitcnt lgkmcnt(0)
	s_bitcmp1_b32 s37, 0
	s_cselect_b64 s[4:5], -1, 0
	s_xor_b64 s[6:7], s[4:5], -1
	s_and_b64 vcc, exec, s[6:7]
	s_cbranch_vccnz .LBB44_4
; %bb.1:
	s_load_dwordx2 s[4:5], s[0:1], 0x48
	s_andn2_b64 vcc, exec, s[10:11]
	s_cbranch_vccz .LBB44_5
.LBB44_2:
	s_and_b64 vcc, exec, s[6:7]
	s_cbranch_vccz .LBB44_6
.LBB44_3:
	s_waitcnt lgkmcnt(0)
	s_load_dword s33, s[4:5], 0x0
	s_cbranch_execz .LBB44_7
	s_branch .LBB44_8
.LBB44_4:
	s_load_dword s59, s[8:9], 0x0
	s_load_dwordx2 s[4:5], s[0:1], 0x48
	s_cbranch_execnz .LBB44_2
.LBB44_5:
	s_waitcnt lgkmcnt(0)
	s_mov_b32 s59, s8
	s_and_b64 vcc, exec, s[6:7]
	s_cbranch_vccnz .LBB44_3
.LBB44_6:
                                        ; implicit-def: $sgpr33
.LBB44_7:
	s_waitcnt lgkmcnt(0)
	s_mov_b32 s33, s4
.LBB44_8:
	s_waitcnt lgkmcnt(0)
	s_cmp_lg_u32 s59, 0
	s_cselect_b64 s[4:5], -1, 0
	s_cmp_lg_u32 s33, 1
	s_cselect_b64 s[6:7], -1, 0
	s_or_b64 s[4:5], s[4:5], s[6:7]
	s_andn2_b64 vcc, exec, s[4:5]
	s_cbranch_vccnz .LBB44_149
; %bb.9:
	s_load_dwordx2 s[4:5], s[0:1], 0x8
	s_load_dwordx2 s[6:7], s[0:1], 0x18
	s_ashr_i32 s3, s2, 31
	s_lshl_b64 s[40:41], s[2:3], 2
	s_waitcnt lgkmcnt(0)
	s_add_u32 s4, s4, s40
	s_addc_u32 s5, s5, s41
	s_load_dwordx2 s[30:31], s[4:5], 0x0
	s_load_dwordx2 s[28:29], s[0:1], 0x50
	s_load_dwordx8 s[20:27], s[0:1], 0x28
	s_waitcnt lgkmcnt(0)
	s_sub_i32 s3, s31, s30
	s_add_u32 s6, s6, s40
	s_mov_b32 s4, s30
	s_addc_u32 s7, s7, s41
	s_ashr_i32 s5, s30, 31
	s_lshl_b64 s[38:39], s[4:5], 2
	s_add_u32 s34, s20, s38
	s_addc_u32 s35, s21, s39
	s_load_dword s37, s[6:7], 0x0
	s_load_dword s58, s[34:35], 0x0
	s_cmp_lt_i32 s3, 2
	s_mov_b64 s[4:5], -1
	s_cbranch_scc0 .LBB44_86
; %bb.10:
	s_cmp_lg_u32 s3, 1
	s_cselect_b64 s[4:5], -1, 0
	s_waitcnt lgkmcnt(0)
	s_cmp_lg_u32 s37, 0
	s_cselect_b64 s[6:7], -1, 0
	s_or_b64 s[4:5], s[4:5], s[6:7]
	s_mov_b64 s[18:19], -1
	s_and_b64 vcc, exec, s[4:5]
	v_cmp_gt_u32_e64 s[4:5], 64, v0
	v_cmp_gt_u32_e64 s[6:7], 32, v0
	;; [unrolled: 1-line block ×6, first 2 shown]
	v_cmp_eq_u32_e64 s[16:17], 0, v0
	s_cbranch_vccnz .LBB44_44
; %bb.11:
	v_subrev_u32_e32 v1, s36, v0
	s_movk_i32 s3, 0x80
	s_cmp_lg_u32 s33, 0
	v_lshlrev_b32_e32 v10, 2, v0
	v_cmp_gt_u32_e64 s[18:19], s3, v0
	s_cselect_b64 s[42:43], -1, 0
	v_xad_u32 v11, v0, -1, s36
	v_add_u32_e32 v12, 0x100, v1
	s_mov_b32 s3, s59
	s_mov_b32 s60, s36
	s_movk_i32 s61, 0xff
	s_mov_b64 s[44:45], 0x100
	s_mov_b64 s[46:47], 0x400
	v_mov_b32_e32 v13, 0
	s_mov_b32 s48, s30
	s_branch .LBB44_14
.LBB44_12:                              ;   in Loop: Header=BB44_14 Depth=1
	s_add_u32 s50, s28, s50
	s_addc_u32 s51, s29, s51
	s_waitcnt lgkmcnt(0)
	global_store_dword v13, v2, s[50:51]
.LBB44_13:                              ;   in Loop: Header=BB44_14 Depth=1
	s_or_b64 exec, exec, s[52:53]
	s_add_i32 s48, s48, 1
	s_cmp_ge_i32 s48, s31
	s_cbranch_scc1 .LBB44_43
.LBB44_14:                              ; =>This Loop Header: Depth=1
                                        ;     Child Loop BB44_17 Depth 2
                                        ;     Child Loop BB44_21 Depth 2
	s_ashr_i32 s49, s48, 31
	s_lshl_b64 s[50:51], s[48:49], 2
	s_add_u32 s52, s20, s50
	s_addc_u32 s53, s21, s51
	s_load_dwordx2 s[54:55], s[52:53], 0x0
	v_mov_b32_e32 v4, 0
	s_waitcnt lgkmcnt(0)
	s_sub_i32 s49, s55, s36
	v_add_u32_e32 v2, s54, v1
	v_cmp_gt_i32_e32 vcc, s49, v2
	s_and_saveexec_b64 s[52:53], vcc
	s_cbranch_execz .LBB44_24
; %bb.15:                               ;   in Loop: Header=BB44_14 Depth=1
	v_add_u32_e32 v3, s54, v12
	v_max_i32_e32 v3, s49, v3
	v_add_u32_e32 v3, v11, v3
	v_subrev_u32_e32 v3, s54, v3
	v_cmp_lt_u32_e32 vcc, s61, v3
	s_mov_b64 s[56:57], -1
	v_mov_b32_e32 v4, 0
	s_and_saveexec_b64 s[54:55], vcc
	s_cbranch_execz .LBB44_19
; %bb.16:                               ;   in Loop: Header=BB44_14 Depth=1
	v_lshrrev_b32_e32 v3, 8, v3
	v_add_u32_e32 v14, 1, v3
	v_and_b32_e32 v15, 0x1fffffe, v14
	v_add_u32_e32 v3, 0x100, v2
	v_mov_b32_e32 v4, 0
	s_mov_b64 s[56:57], 0
	v_mov_b32_e32 v16, v15
	v_mov_b64_e32 v[8:9], v[2:3]
	v_mov_b32_e32 v6, 0
.LBB44_17:                              ;   Parent Loop BB44_14 Depth=1
                                        ; =>  This Inner Loop Header: Depth=2
	v_ashrrev_i32_e32 v21, 31, v8
	v_mov_b32_e32 v20, v8
	v_ashrrev_i32_e32 v19, 31, v9
	v_mov_b32_e32 v18, v9
	v_lshl_add_u64 v[22:23], v[20:21], 2, s[22:23]
	v_lshl_add_u64 v[24:25], v[18:19], 2, s[22:23]
	global_load_dword v3, v[22:23], off
	global_load_dword v5, v[24:25], off
	v_lshl_add_u64 v[20:21], s[24:25], 0, v[20:21]
	v_lshl_add_u64 v[18:19], s[24:25], 0, v[18:19]
	global_load_sbyte v7, v[18:19], off
	global_load_sbyte v17, v[20:21], off
	v_add_u32_e32 v16, -2, v16
	v_cmp_eq_u32_e32 vcc, 0, v16
	v_add_u32_e32 v9, 0x200, v9
	v_add_u32_e32 v8, 0x200, v8
	s_or_b64 s[56:57], vcc, s[56:57]
	s_waitcnt vmcnt(3)
	v_subrev_u32_e32 v18, s36, v3
	s_waitcnt vmcnt(2)
	v_subrev_u32_e32 v20, s60, v5
	v_ashrrev_i32_e32 v21, 31, v20
	v_ashrrev_i32_e32 v19, 31, v18
	v_lshl_add_u64 v[20:21], s[26:27], 0, v[20:21]
	v_lshl_add_u64 v[18:19], s[26:27], 0, v[18:19]
	global_load_sbyte v3, v[20:21], off
	global_load_sbyte v5, v[18:19], off
	s_waitcnt vmcnt(2)
	v_mul_lo_u32 v17, s59, v17
	v_mul_lo_u32 v7, s3, v7
	s_waitcnt vmcnt(1)
	v_mad_u64_u32 v[6:7], s[62:63], v7, v3, v[6:7]
	s_waitcnt vmcnt(0)
	v_mad_u64_u32 v[4:5], s[62:63], v17, v5, v[4:5]
	s_andn2_b64 exec, exec, s[56:57]
	s_cbranch_execnz .LBB44_17
; %bb.18:                               ;   in Loop: Header=BB44_14 Depth=1
	s_or_b64 exec, exec, s[56:57]
	v_cmp_ne_u32_e32 vcc, v14, v15
	v_lshl_add_u32 v2, v15, 8, v2
	v_add_u32_e32 v4, v4, v6
	s_orn2_b64 s[56:57], vcc, exec
.LBB44_19:                              ;   in Loop: Header=BB44_14 Depth=1
	s_or_b64 exec, exec, s[54:55]
	s_and_saveexec_b64 s[54:55], s[56:57]
	s_cbranch_execz .LBB44_23
; %bb.20:                               ;   in Loop: Header=BB44_14 Depth=1
	v_ashrrev_i32_e32 v3, 31, v2
	v_lshl_add_u64 v[6:7], v[2:3], 2, s[22:23]
	s_mov_b64 s[56:57], 0
.LBB44_21:                              ;   Parent Loop BB44_14 Depth=1
                                        ; =>  This Inner Loop Header: Depth=2
	global_load_dword v5, v[6:7], off
	v_lshl_add_u64 v[8:9], s[24:25], 0, v[2:3]
	global_load_sbyte v14, v[8:9], off
	v_lshl_add_u64 v[2:3], v[2:3], 0, s[44:45]
	v_cmp_le_i32_e32 vcc, s49, v2
	v_lshl_add_u64 v[6:7], v[6:7], 0, s[46:47]
	s_or_b64 s[56:57], vcc, s[56:57]
	s_waitcnt vmcnt(1)
	v_subrev_u32_e32 v8, s36, v5
	v_ashrrev_i32_e32 v9, 31, v8
	v_lshl_add_u64 v[8:9], s[26:27], 0, v[8:9]
	global_load_sbyte v5, v[8:9], off
	s_waitcnt vmcnt(1)
	v_mul_lo_u32 v8, s59, v14
	s_waitcnt vmcnt(0)
	v_mad_u64_u32 v[4:5], s[62:63], v8, v5, v[4:5]
	s_andn2_b64 exec, exec, s[56:57]
	s_cbranch_execnz .LBB44_21
; %bb.22:                               ;   in Loop: Header=BB44_14 Depth=1
	s_or_b64 exec, exec, s[56:57]
.LBB44_23:                              ;   in Loop: Header=BB44_14 Depth=1
	s_or_b64 exec, exec, s[54:55]
.LBB44_24:                              ;   in Loop: Header=BB44_14 Depth=1
	s_or_b64 exec, exec, s[52:53]
	ds_write_b32 v10, v4
	s_waitcnt lgkmcnt(0)
	s_barrier
	s_and_saveexec_b64 s[52:53], s[18:19]
	s_cbranch_execz .LBB44_26
; %bb.25:                               ;   in Loop: Header=BB44_14 Depth=1
	ds_read2st64_b32 v[2:3], v10 offset1:2
	s_waitcnt lgkmcnt(0)
	v_add_u32_e32 v2, v3, v2
	ds_write_b32 v10, v2
.LBB44_26:                              ;   in Loop: Header=BB44_14 Depth=1
	s_or_b64 exec, exec, s[52:53]
	s_waitcnt lgkmcnt(0)
	s_barrier
	s_and_saveexec_b64 s[52:53], s[4:5]
	s_cbranch_execz .LBB44_28
; %bb.27:                               ;   in Loop: Header=BB44_14 Depth=1
	ds_read2st64_b32 v[2:3], v10 offset1:1
	s_waitcnt lgkmcnt(0)
	v_add_u32_e32 v2, v3, v2
	ds_write_b32 v10, v2
.LBB44_28:                              ;   in Loop: Header=BB44_14 Depth=1
	s_or_b64 exec, exec, s[52:53]
	s_waitcnt lgkmcnt(0)
	s_barrier
	s_and_saveexec_b64 s[52:53], s[6:7]
	s_cbranch_execz .LBB44_30
; %bb.29:                               ;   in Loop: Header=BB44_14 Depth=1
	ds_read2_b32 v[2:3], v10 offset1:32
	s_waitcnt lgkmcnt(0)
	v_add_u32_e32 v2, v3, v2
	ds_write_b32 v10, v2
.LBB44_30:                              ;   in Loop: Header=BB44_14 Depth=1
	s_or_b64 exec, exec, s[52:53]
	s_waitcnt lgkmcnt(0)
	s_barrier
	s_and_saveexec_b64 s[52:53], s[8:9]
	s_cbranch_execz .LBB44_32
; %bb.31:                               ;   in Loop: Header=BB44_14 Depth=1
	ds_read2_b32 v[2:3], v10 offset1:16
	s_waitcnt lgkmcnt(0)
	v_add_u32_e32 v2, v3, v2
	ds_write_b32 v10, v2
.LBB44_32:                              ;   in Loop: Header=BB44_14 Depth=1
	s_or_b64 exec, exec, s[52:53]
	s_waitcnt lgkmcnt(0)
	s_barrier
	s_and_saveexec_b64 s[52:53], s[10:11]
	s_cbranch_execz .LBB44_34
; %bb.33:                               ;   in Loop: Header=BB44_14 Depth=1
	ds_read2_b32 v[2:3], v10 offset1:8
	s_waitcnt lgkmcnt(0)
	v_add_u32_e32 v2, v3, v2
	ds_write_b32 v10, v2
.LBB44_34:                              ;   in Loop: Header=BB44_14 Depth=1
	s_or_b64 exec, exec, s[52:53]
	s_waitcnt lgkmcnt(0)
	s_barrier
	s_and_saveexec_b64 s[52:53], s[12:13]
	s_cbranch_execz .LBB44_36
; %bb.35:                               ;   in Loop: Header=BB44_14 Depth=1
	ds_read2_b32 v[2:3], v10 offset1:4
	s_waitcnt lgkmcnt(0)
	v_add_u32_e32 v2, v3, v2
	ds_write_b32 v10, v2
.LBB44_36:                              ;   in Loop: Header=BB44_14 Depth=1
	s_or_b64 exec, exec, s[52:53]
	s_waitcnt lgkmcnt(0)
	s_barrier
	s_and_saveexec_b64 s[52:53], s[14:15]
	s_cbranch_execz .LBB44_38
; %bb.37:                               ;   in Loop: Header=BB44_14 Depth=1
	ds_read2_b32 v[2:3], v10 offset1:2
	s_waitcnt lgkmcnt(0)
	v_add_u32_e32 v2, v3, v2
	ds_write_b32 v10, v2
.LBB44_38:                              ;   in Loop: Header=BB44_14 Depth=1
	s_or_b64 exec, exec, s[52:53]
	s_waitcnt lgkmcnt(0)
	s_barrier
	s_and_saveexec_b64 s[52:53], s[16:17]
	s_cbranch_execz .LBB44_40
; %bb.39:                               ;   in Loop: Header=BB44_14 Depth=1
	ds_read_b64 v[2:3], v13
	s_waitcnt lgkmcnt(0)
	v_add_u32_e32 v2, v3, v2
	ds_write_b32 v13, v2
.LBB44_40:                              ;   in Loop: Header=BB44_14 Depth=1
	s_or_b64 exec, exec, s[52:53]
	s_waitcnt lgkmcnt(0)
	s_barrier
	s_and_saveexec_b64 s[52:53], s[16:17]
	s_cbranch_execz .LBB44_13
; %bb.41:                               ;   in Loop: Header=BB44_14 Depth=1
	ds_read_b32 v2, v13
	s_andn2_b64 vcc, exec, s[42:43]
	s_cbranch_vccnz .LBB44_12
; %bb.42:                               ;   in Loop: Header=BB44_14 Depth=1
	s_add_u32 s54, s28, s50
	s_addc_u32 s55, s29, s51
	global_load_dword v3, v13, s[54:55]
	s_waitcnt vmcnt(0)
	v_mul_lo_u32 v3, v3, s33
	s_waitcnt lgkmcnt(0)
	v_add_u32_e32 v2, v3, v2
	s_branch .LBB44_12
.LBB44_43:
	s_mov_b64 s[18:19], 0
.LBB44_44:
	s_and_b64 vcc, exec, s[18:19]
	s_cbranch_vccz .LBB44_85
; %bb.45:
	s_load_dwordx2 s[4:5], s[0:1], 0x10
	s_sub_i32 s6, s2, s37
	v_mov_b32_e32 v2, 0
	v_or_b32_e32 v3, s37, v0
	v_cmp_eq_u32_e32 vcc, 0, v3
	s_waitcnt lgkmcnt(0)
	s_add_u32 s2, s4, s40
	s_addc_u32 s3, s5, s41
	global_load_dword v1, v2, s[2:3]
	s_and_saveexec_b64 s[8:9], vcc
	s_cbranch_execz .LBB44_49
; %bb.46:
	s_add_u32 s12, s28, s38
	s_addc_u32 s13, s29, s39
	v_mov_b32_e32 v3, 0
	global_load_dword v2, v3, s[12:13]
	s_mov_b64 s[10:11], exec
	v_mbcnt_lo_u32_b32 v4, s10, 0
	v_mbcnt_hi_u32_b32 v4, s11, v4
	s_add_i32 s14, s33, -1
	v_cmp_eq_u32_e32 vcc, 0, v4
	s_waitcnt vmcnt(0) expcnt(0) lgkmcnt(0)
	s_and_saveexec_b64 s[12:13], vcc
	s_cbranch_execz .LBB44_48
; %bb.47:
	s_ashr_i32 s7, s6, 31
	s_lshl_b64 s[16:17], s[6:7], 2
	s_add_u32 s16, s4, s16
	s_addc_u32 s17, s5, s17
	s_bcnt1_i32_b64 s7, s[10:11]
	s_and_b32 s7, s7, 1
	v_mov_b32_e32 v4, s7
	global_atomic_xor v3, v4, s[16:17]
.LBB44_48:
	s_or_b64 exec, exec, s[12:13]
	v_mul_lo_u32 v2, v2, s14
.LBB44_49:
	s_or_b64 exec, exec, s[8:9]
	s_load_dword s8, s[34:35], 0x4
	s_mul_i32 s10, s37, 0xc00
	s_sub_i32 s7, s58, s36
	s_add_i32 s7, s7, s10
	v_add_u32_e32 v4, s7, v0
	s_waitcnt lgkmcnt(0)
	s_sub_i32 s11, s8, s36
	v_cmp_gt_i32_e32 vcc, s11, v4
	s_and_saveexec_b64 s[8:9], vcc
	s_cbranch_execz .LBB44_59
; %bb.50:
	s_add_i32 s10, s58, s10
	v_add_u32_e32 v3, s10, v0
	s_addk_i32 s7, 0xc00
	v_subrev_u32_e32 v3, s36, v3
	s_min_i32 s7, s7, s11
	v_add_u32_e32 v3, 0x100, v3
	v_max_i32_e32 v3, s7, v3
	v_not_b32_e32 v5, v0
	v_add3_u32 v3, s36, v3, v5
	v_subrev_u32_e32 v3, s10, v3
	s_movk_i32 s10, 0xff
	v_cmp_lt_u32_e32 vcc, s10, v3
	s_mov_b64 s[12:13], -1
	s_and_saveexec_b64 s[10:11], vcc
	s_cbranch_execz .LBB44_54
; %bb.51:
	v_lshrrev_b32_e32 v3, 8, v3
	v_add_u32_e32 v10, 1, v3
	v_and_b32_e32 v11, 0x1fffffe, v10
	v_add_u32_e32 v5, 0x100, v4
	s_mov_b32 s14, s59
	s_mov_b32 s15, s36
	v_mov_b32_e32 v6, 0
	s_mov_b64 s[12:13], 0
	v_mov_b32_e32 v12, v11
	v_mov_b64_e32 v[8:9], v[4:5]
.LBB44_52:                              ; =>This Inner Loop Header: Depth=1
	v_ashrrev_i32_e32 v17, 31, v8
	v_mov_b32_e32 v16, v8
	v_ashrrev_i32_e32 v15, 31, v9
	v_mov_b32_e32 v14, v9
	v_lshl_add_u64 v[18:19], v[16:17], 2, s[22:23]
	v_lshl_add_u64 v[20:21], v[14:15], 2, s[22:23]
	global_load_dword v3, v[18:19], off
	global_load_dword v5, v[20:21], off
	v_lshl_add_u64 v[16:17], s[24:25], 0, v[16:17]
	v_lshl_add_u64 v[14:15], s[24:25], 0, v[14:15]
	global_load_sbyte v7, v[14:15], off
	global_load_sbyte v13, v[16:17], off
	v_add_u32_e32 v12, -2, v12
	v_cmp_eq_u32_e32 vcc, 0, v12
	v_add_u32_e32 v9, 0x200, v9
	v_add_u32_e32 v8, 0x200, v8
	s_or_b64 s[12:13], vcc, s[12:13]
	s_waitcnt vmcnt(3)
	v_subrev_u32_e32 v14, s36, v3
	s_waitcnt vmcnt(2)
	v_subrev_u32_e32 v16, s15, v5
	v_ashrrev_i32_e32 v17, 31, v16
	v_ashrrev_i32_e32 v15, 31, v14
	v_lshl_add_u64 v[16:17], s[26:27], 0, v[16:17]
	v_lshl_add_u64 v[14:15], s[26:27], 0, v[14:15]
	global_load_sbyte v3, v[16:17], off
	global_load_sbyte v5, v[14:15], off
	s_waitcnt vmcnt(2)
	v_mul_lo_u32 v13, s59, v13
	v_mul_lo_u32 v7, s14, v7
	s_waitcnt vmcnt(1)
	v_mad_u64_u32 v[6:7], s[16:17], v7, v3, v[6:7]
	s_waitcnt vmcnt(0)
	v_mad_u64_u32 v[2:3], s[16:17], v13, v5, v[2:3]
	s_andn2_b64 exec, exec, s[12:13]
	s_cbranch_execnz .LBB44_52
; %bb.53:
	s_or_b64 exec, exec, s[12:13]
	v_cmp_ne_u32_e32 vcc, v10, v11
	v_lshl_add_u32 v4, v11, 8, v4
	v_add_u32_e32 v2, v2, v6
	s_orn2_b64 s[12:13], vcc, exec
.LBB44_54:
	s_or_b64 exec, exec, s[10:11]
	s_and_saveexec_b64 s[10:11], s[12:13]
	s_cbranch_execz .LBB44_58
; %bb.55:
	v_ashrrev_i32_e32 v5, 31, v4
	v_lshl_add_u64 v[6:7], v[4:5], 2, s[22:23]
	s_mov_b64 s[12:13], 0
	s_mov_b64 s[14:15], 0x100
	;; [unrolled: 1-line block ×3, first 2 shown]
.LBB44_56:                              ; =>This Inner Loop Header: Depth=1
	global_load_dword v3, v[6:7], off
	v_lshl_add_u64 v[8:9], s[24:25], 0, v[4:5]
	global_load_sbyte v10, v[8:9], off
	v_lshl_add_u64 v[4:5], v[4:5], 0, s[14:15]
	v_cmp_le_i32_e32 vcc, s7, v4
	v_lshl_add_u64 v[6:7], v[6:7], 0, s[16:17]
	s_or_b64 s[12:13], vcc, s[12:13]
	s_waitcnt vmcnt(1)
	v_subrev_u32_e32 v8, s36, v3
	v_ashrrev_i32_e32 v9, 31, v8
	v_lshl_add_u64 v[8:9], s[26:27], 0, v[8:9]
	global_load_sbyte v3, v[8:9], off
	s_waitcnt vmcnt(1)
	v_mul_lo_u32 v8, s59, v10
	s_waitcnt vmcnt(0)
	v_mad_u64_u32 v[2:3], s[18:19], v8, v3, v[2:3]
	s_andn2_b64 exec, exec, s[12:13]
	s_cbranch_execnz .LBB44_56
; %bb.57:
	s_or_b64 exec, exec, s[12:13]
.LBB44_58:
	s_or_b64 exec, exec, s[10:11]
.LBB44_59:
	s_or_b64 exec, exec, s[8:9]
	s_movk_i32 s7, 0x80
	v_lshlrev_b32_e32 v3, 2, v0
	v_cmp_gt_u32_e32 vcc, s7, v0
	ds_write_b32 v3, v2
	s_waitcnt lgkmcnt(0)
	s_barrier
	s_and_saveexec_b64 s[8:9], vcc
	s_cbranch_execz .LBB44_61
; %bb.60:
	ds_read2st64_b32 v[4:5], v3 offset1:2
	s_waitcnt lgkmcnt(0)
	v_add_u32_e32 v2, v5, v4
	ds_write_b32 v3, v2
.LBB44_61:
	s_or_b64 exec, exec, s[8:9]
	v_cmp_gt_u32_e32 vcc, 64, v0
	s_waitcnt lgkmcnt(0)
	s_barrier
	s_and_saveexec_b64 s[8:9], vcc
	s_cbranch_execz .LBB44_63
; %bb.62:
	ds_read2st64_b32 v[4:5], v3 offset1:1
	s_waitcnt lgkmcnt(0)
	v_add_u32_e32 v2, v5, v4
	ds_write_b32 v3, v2
.LBB44_63:
	s_or_b64 exec, exec, s[8:9]
	v_cmp_gt_u32_e32 vcc, 32, v0
	s_waitcnt lgkmcnt(0)
	s_barrier
	s_and_saveexec_b64 s[8:9], vcc
	s_cbranch_execz .LBB44_65
; %bb.64:
	ds_read2_b32 v[4:5], v3 offset1:32
	s_waitcnt lgkmcnt(0)
	v_add_u32_e32 v2, v5, v4
	ds_write_b32 v3, v2
.LBB44_65:
	s_or_b64 exec, exec, s[8:9]
	v_cmp_gt_u32_e32 vcc, 16, v0
	s_waitcnt lgkmcnt(0)
	s_barrier
	s_and_saveexec_b64 s[8:9], vcc
	s_cbranch_execz .LBB44_67
; %bb.66:
	ds_read2_b32 v[4:5], v3 offset1:16
	s_waitcnt lgkmcnt(0)
	v_add_u32_e32 v2, v5, v4
	ds_write_b32 v3, v2
.LBB44_67:
	;; [unrolled: 12-line block ×5, first 2 shown]
	s_or_b64 exec, exec, s[8:9]
	v_cmp_eq_u32_e32 vcc, 0, v0
	s_waitcnt lgkmcnt(0)
	s_barrier
	s_and_saveexec_b64 s[8:9], vcc
	s_cbranch_execz .LBB44_75
; %bb.74:
	v_mov_b32_e32 v4, 0
	ds_read_b64 v[2:3], v4
	s_waitcnt lgkmcnt(0)
	v_add_u32_e32 v2, v3, v2
	ds_write_b32 v4, v2
.LBB44_75:
	s_or_b64 exec, exec, s[8:9]
	s_waitcnt lgkmcnt(0)
	s_barrier
	s_and_saveexec_b64 s[8:9], vcc
	s_cbranch_execz .LBB44_84
; %bb.76:
	s_cmp_eq_u32 s37, 0
	s_cbranch_scc1 .LBB44_82
; %bb.77:
	s_ashr_i32 s7, s6, 31
	s_lshl_b64 s[6:7], s[6:7], 2
	s_add_u32 s4, s4, s6
	s_addc_u32 s5, s5, s7
	v_mov_b32_e32 v2, 0
	s_branch .LBB44_79
.LBB44_78:                              ;   in Loop: Header=BB44_79 Depth=1
	s_or_b64 exec, exec, s[6:7]
	s_waitcnt vmcnt(0)
	v_readfirstlane_b32 s6, v3
	s_nop 1
	v_cmp_eq_u32_e32 vcc, s6, v1
	s_cbranch_vccz .LBB44_81
.LBB44_79:                              ; =>This Inner Loop Header: Depth=1
	v_mbcnt_lo_u32_b32 v3, exec_lo, 0
	v_mbcnt_hi_u32_b32 v3, exec_hi, v3
	v_cmp_eq_u32_e32 vcc, 0, v3
                                        ; implicit-def: $vgpr3
	s_and_saveexec_b64 s[6:7], vcc
	s_cbranch_execz .LBB44_78
; %bb.80:                               ;   in Loop: Header=BB44_79 Depth=1
	global_load_dword v3, v2, s[4:5] sc1
	s_branch .LBB44_78
.LBB44_81:
	v_mov_b32_e32 v1, 0
	global_load_ushort v2, v1, s[2:3]
	s_waitcnt vmcnt(0)
	v_xor_b32_e32 v2, 1, v2
	global_store_short v1, v2, s[2:3]
.LBB44_82:
	s_mov_b64 s[2:3], exec
	s_waitcnt vmcnt(0)
	v_mbcnt_lo_u32_b32 v1, s2, 0
	v_mbcnt_hi_u32_b32 v1, s3, v1
	v_cmp_eq_u32_e32 vcc, 0, v1
	s_and_b64 s[4:5], exec, vcc
	s_mov_b64 exec, s[4:5]
	s_cbranch_execz .LBB44_84
; %bb.83:
	v_mov_b32_e32 v1, 0
	ds_read_b32 v2, v1
	s_add_u32 s4, s28, s38
	s_addc_u32 s5, s29, s39
	s_bcnt1_i32_b64 s2, s[2:3]
	s_waitcnt lgkmcnt(0)
	v_mul_lo_u32 v2, v2, s2
	global_atomic_add v1, v2, s[4:5]
.LBB44_84:
	s_or_b64 exec, exec, s[8:9]
.LBB44_85:
	s_mov_b64 s[4:5], 0
.LBB44_86:
	s_andn2_b64 vcc, exec, s[4:5]
	s_cbranch_vccnz .LBB44_149
; %bb.87:
	s_load_dword s0, s[0:1], 0x4
	s_waitcnt vmcnt(0)
	v_subrev_u32_e32 v1, s36, v0
	s_waitcnt lgkmcnt(0)
	v_add_u32_e32 v2, s58, v1
	v_add_u32_e32 v1, 0x300, v2
	v_cmp_le_i32_e32 vcc, s0, v1
	s_and_saveexec_b64 s[0:1], vcc
	s_xor_b64 s[0:1], exec, s[0:1]
	s_cbranch_execz .LBB44_99
; %bb.88:
	s_ashr_i32 s3, s31, 31
	s_mov_b32 s2, s31
	s_lshl_b64 s[2:3], s[2:3], 2
	s_add_u32 s2, s20, s2
	s_addc_u32 s3, s21, s3
	s_load_dword s2, s[2:3], 0x0
	s_waitcnt lgkmcnt(0)
	s_sub_i32 s12, s2, s36
	v_cmp_gt_i32_e32 vcc, s12, v2
	s_and_saveexec_b64 s[2:3], vcc
	s_cbranch_execz .LBB44_98
; %bb.89:
	v_add_u32_e32 v1, s58, v0
	v_subrev_u32_e32 v1, s36, v1
	v_add_u32_e32 v1, 0x100, v1
	v_max_i32_e32 v1, s12, v1
	v_not_b32_e32 v3, v0
	v_add3_u32 v1, s36, v1, v3
	v_subrev_u32_e32 v3, s58, v1
	s_movk_i32 s4, 0xd00
	s_movk_i32 s6, 0xcff
	v_cmp_gt_u32_e64 s[4:5], s4, v3
	v_cmp_lt_u32_e32 vcc, s6, v3
	v_mov_b32_e32 v1, 0
	s_and_saveexec_b64 s[6:7], vcc
	s_cbranch_execz .LBB44_95
; %bb.90:
	v_and_b32_e32 v1, 0xffffff00, v3
	v_add_u32_e32 v1, v2, v1
	v_cmp_ge_i32_e32 vcc, v1, v2
	s_mov_b64 s[10:11], -1
	v_mov_b32_e32 v1, 0
	s_and_saveexec_b64 s[8:9], vcc
	s_cbranch_execz .LBB44_94
; %bb.91:
	v_lshrrev_b32_e32 v1, 8, v3
	v_add_u32_e32 v3, 1, v1
	v_and_b32_e32 v4, 0x1fffffe, v3
	v_lshlrev_b32_e32 v5, 2, v0
	v_mov_b32_e32 v1, v2
	s_mov_b32 s13, s59
	s_mov_b32 s14, s36
	s_movk_i32 s15, 0x100
	s_mov_b32 s16, 0
	s_mov_b64 s[10:11], 0
	v_mov_b32_e32 v6, v4
.LBB44_92:                              ; =>This Inner Loop Header: Depth=1
	v_add_u32_e32 v8, s16, v2
	v_add_u32_e32 v10, s15, v1
	v_ashrrev_i32_e32 v9, 31, v8
	v_ashrrev_i32_e32 v11, 31, v10
	v_lshl_add_u64 v[12:13], v[8:9], 2, s[22:23]
	v_lshl_add_u64 v[14:15], v[10:11], 2, s[22:23]
	global_load_dword v7, v[12:13], off
	global_load_dword v16, v[14:15], off
	v_lshl_add_u64 v[10:11], s[24:25], 0, v[10:11]
	v_lshl_add_u64 v[8:9], s[24:25], 0, v[8:9]
	global_load_sbyte v12, v[10:11], off
	global_load_sbyte v13, v[8:9], off
	v_add_u32_e32 v6, -2, v6
	s_addk_i32 s16, 0x200
	s_addk_i32 s15, 0x200
	v_cmp_eq_u32_e32 vcc, 0, v6
	s_or_b64 s[10:11], vcc, s[10:11]
	s_waitcnt vmcnt(3)
	v_subrev_u32_e32 v8, s36, v7
	s_waitcnt vmcnt(2)
	v_subrev_u32_e32 v10, s14, v16
	v_ashrrev_i32_e32 v11, 31, v10
	v_ashrrev_i32_e32 v9, 31, v8
	v_lshl_add_u64 v[10:11], s[26:27], 0, v[10:11]
	v_lshl_add_u64 v[8:9], s[26:27], 0, v[8:9]
	global_load_sbyte v7, v[10:11], off
	global_load_sbyte v14, v[8:9], off
	s_waitcnt vmcnt(2)
	v_mul_lo_u32 v8, s59, v13
	v_mul_lo_u32 v9, s13, v12
	s_waitcnt vmcnt(1)
	v_mul_lo_u32 v7, v9, v7
	s_waitcnt vmcnt(0)
	v_mul_lo_u32 v8, v8, v14
	ds_write2st64_b32 v5, v8, v7 offset1:4
	v_add_u32_e32 v5, 0x800, v5
	s_andn2_b64 exec, exec, s[10:11]
	s_cbranch_execnz .LBB44_92
; %bb.93:
	s_or_b64 exec, exec, s[10:11]
	v_cmp_ne_u32_e32 vcc, v3, v4
	v_lshlrev_b32_e32 v1, 8, v4
	s_orn2_b64 s[10:11], vcc, exec
.LBB44_94:
	s_or_b64 exec, exec, s[8:9]
	s_andn2_b64 s[4:5], s[4:5], exec
	s_and_b64 s[8:9], s[10:11], exec
	s_or_b64 s[4:5], s[4:5], s[8:9]
.LBB44_95:
	s_or_b64 exec, exec, s[6:7]
	s_and_b64 exec, exec, s[4:5]
	s_cbranch_execz .LBB44_98
; %bb.96:
	v_add3_u32 v2, v0, v1, s58
	v_lshlrev_b32_e32 v1, 2, v1
	v_subrev_u32_e32 v2, s36, v2
	v_lshl_add_u32 v1, v0, 2, v1
	s_mov_b64 s[4:5], 0
.LBB44_97:                              ; =>This Inner Loop Header: Depth=1
	v_ashrrev_i32_e32 v3, 31, v2
	v_lshl_add_u64 v[4:5], v[2:3], 2, s[22:23]
	global_load_dword v6, v[4:5], off
	v_lshl_add_u64 v[4:5], s[24:25], 0, v[2:3]
	global_load_sbyte v3, v[4:5], off
	v_add_u32_e32 v2, 0x100, v2
	v_cmp_le_i32_e32 vcc, s12, v2
	s_or_b64 s[4:5], vcc, s[4:5]
	s_waitcnt vmcnt(1)
	v_subrev_u32_e32 v4, s36, v6
	v_ashrrev_i32_e32 v5, 31, v4
	v_lshl_add_u64 v[4:5], s[26:27], 0, v[4:5]
	global_load_sbyte v4, v[4:5], off
	s_waitcnt vmcnt(1)
	v_mul_lo_u32 v3, s59, v3
	s_waitcnt vmcnt(0)
	v_mul_lo_u32 v3, v3, v4
	ds_write_b32 v1, v3
	v_add_u32_e32 v1, 0x400, v1
	s_andn2_b64 exec, exec, s[4:5]
	s_cbranch_execnz .LBB44_97
.LBB44_98:
	s_or_b64 exec, exec, s[2:3]
                                        ; implicit-def: $vgpr2
.LBB44_99:
	s_or_saveexec_b64 s[0:1], s[0:1]
	v_lshlrev_b32_e32 v1, 2, v0
	s_xor_b64 exec, exec, s[0:1]
	s_cbranch_execz .LBB44_101
; %bb.100:
	v_ashrrev_i32_e32 v3, 31, v2
	v_lshl_add_u64 v[4:5], v[2:3], 2, s[22:23]
	global_load_dword v6, v[4:5], off
	global_load_dword v7, v[4:5], off offset:1024
	global_load_dword v8, v[4:5], off offset:2048
	;; [unrolled: 1-line block ×3, first 2 shown]
	v_lshl_add_u64 v[2:3], s[24:25], 0, v[2:3]
	global_load_sbyte v10, v[2:3], off
	global_load_sbyte v11, v[2:3], off offset:256
	global_load_sbyte v12, v[2:3], off offset:512
	;; [unrolled: 1-line block ×3, first 2 shown]
	s_waitcnt vmcnt(7)
	v_subrev_u32_e32 v2, s36, v6
	s_waitcnt vmcnt(6)
	v_subrev_u32_e32 v4, s36, v7
	;; [unrolled: 2-line block ×4, first 2 shown]
	v_ashrrev_i32_e32 v3, 31, v2
	v_ashrrev_i32_e32 v5, 31, v4
	;; [unrolled: 1-line block ×4, first 2 shown]
	v_lshl_add_u64 v[2:3], s[26:27], 0, v[2:3]
	v_lshl_add_u64 v[4:5], s[26:27], 0, v[4:5]
	;; [unrolled: 1-line block ×4, first 2 shown]
	global_load_sbyte v14, v[2:3], off
	global_load_sbyte v15, v[4:5], off
	;; [unrolled: 1-line block ×4, first 2 shown]
	s_waitcnt vmcnt(7)
	v_mul_lo_u32 v2, s59, v10
	s_waitcnt vmcnt(6)
	v_mul_lo_u32 v3, s59, v11
	;; [unrolled: 2-line block ×8, first 2 shown]
	ds_write2st64_b32 v1, v2, v3 offset1:4
	ds_write2st64_b32 v1, v4, v5 offset0:8 offset1:12
.LBB44_101:
	s_or_b64 exec, exec, s[0:1]
	s_cmp_lt_i32 s37, 2
	s_mov_b64 s[0:1], -1
	s_waitcnt lgkmcnt(0)
	s_barrier
	s_cbranch_scc0 .LBB44_124
; %bb.102:
	v_add_u32_e32 v2, s30, v0
	v_cmp_gt_i32_e32 vcc, s31, v2
	s_and_saveexec_b64 s[0:1], vcc
	s_cbranch_execz .LBB44_123
; %bb.103:
	s_cmp_lg_u32 s33, 0
	s_cselect_b64 s[2:3], -1, 0
	s_lshl_b32 s4, s58, 2
	s_sub_i32 s14, 0, s4
	s_mov_b64 s[4:5], 0
	v_mov_b32_e32 v14, 0
	s_branch .LBB44_105
.LBB44_104:                             ;   in Loop: Header=BB44_105 Depth=1
	v_add_u32_e32 v2, 0x100, v2
	v_cmp_le_i32_e32 vcc, s31, v2
	s_or_b64 s[4:5], vcc, s[4:5]
	global_store_dword v[4:5], v6, off
	s_andn2_b64 exec, exec, s[4:5]
	s_cbranch_execz .LBB44_123
.LBB44_105:                             ; =>This Loop Header: Depth=1
                                        ;     Child Loop BB44_109 Depth 2
                                        ;     Child Loop BB44_113 Depth 2
	;; [unrolled: 1-line block ×3, first 2 shown]
	v_ashrrev_i32_e32 v3, 31, v2
	v_lshl_add_u64 v[4:5], v[2:3], 2, s[20:21]
	global_load_dwordx2 v[4:5], v[4:5], off
	v_mov_b32_e32 v6, 0
	s_waitcnt vmcnt(0)
	v_cmp_lt_i32_e32 vcc, v4, v5
	s_and_saveexec_b64 s[6:7], vcc
	s_cbranch_execz .LBB44_121
; %bb.106:                              ;   in Loop: Header=BB44_105 Depth=1
	v_subrev_u32_e32 v8, s58, v4
	v_subrev_u32_e32 v5, s58, v5
	v_add_u32_e32 v6, 1, v8
	v_max_i32_e32 v6, v6, v5
	v_add_u32_e32 v6, s58, v6
	v_sub_u32_e32 v9, v6, v4
	v_cmp_lt_u32_e32 vcc, 1, v9
	s_mov_b64 s[10:11], -1
	v_mov_b32_e32 v6, 0
	s_and_saveexec_b64 s[8:9], vcc
	s_cbranch_execz .LBB44_116
; %bb.107:                              ;   in Loop: Header=BB44_105 Depth=1
	v_add_u32_e32 v6, -2, v9
	v_lshrrev_b32_e32 v7, 1, v6
	v_mov_b32_e32 v15, v14
	v_add_u32_e32 v10, 1, v7
	v_cmp_lt_u32_e32 vcc, 13, v6
	s_mov_b32 s15, 0
	v_mov_b32_e32 v13, 0
	v_mov_b64_e32 v[6:7], v[14:15]
	s_and_saveexec_b64 s[10:11], vcc
	s_cbranch_execz .LBB44_111
; %bb.108:                              ;   in Loop: Header=BB44_105 Depth=1
	v_and_b32_e32 v11, -8, v10
	v_lshlrev_b32_e32 v12, 2, v8
	s_mov_b64 s[12:13], 0
	v_mov_b32_e32 v6, 0
	v_mov_b32_e32 v7, 0
.LBB44_109:                             ;   Parent Loop BB44_105 Depth=1
                                        ; =>  This Inner Loop Header: Depth=2
	ds_read2_b32 v[16:17], v12 offset1:1
	ds_read2_b32 v[18:19], v12 offset0:2 offset1:3
	ds_read2_b32 v[20:21], v12 offset0:4 offset1:5
	;; [unrolled: 1-line block ×7, first 2 shown]
	s_waitcnt lgkmcnt(6)
	v_add3_u32 v6, v16, v6, v18
	v_add3_u32 v7, v17, v7, v19
	v_add_u32_e32 v11, -8, v11
	s_waitcnt lgkmcnt(4)
	v_add3_u32 v7, v21, v7, v23
	v_add3_u32 v6, v20, v6, v22
	s_add_i32 s15, s15, 16
	v_cmp_eq_u32_e32 vcc, 0, v11
	s_waitcnt lgkmcnt(2)
	v_add3_u32 v6, v24, v6, v26
	v_add3_u32 v7, v25, v7, v27
	v_add_u32_e32 v12, 64, v12
	v_mov_b32_e32 v13, s15
	s_or_b64 s[12:13], vcc, s[12:13]
	s_waitcnt lgkmcnt(0)
	v_add3_u32 v7, v29, v7, v31
	v_add3_u32 v6, v28, v6, v30
	s_andn2_b64 exec, exec, s[12:13]
	s_cbranch_execnz .LBB44_109
; %bb.110:                              ;   in Loop: Header=BB44_105 Depth=1
	s_or_b64 exec, exec, s[12:13]
.LBB44_111:                             ;   in Loop: Header=BB44_105 Depth=1
	s_or_b64 exec, exec, s[10:11]
	v_and_b32_e32 v10, 7, v10
	v_cmp_ne_u32_e32 vcc, 0, v10
	s_and_saveexec_b64 s[10:11], vcc
	s_cbranch_execz .LBB44_115
; %bb.112:                              ;   in Loop: Header=BB44_105 Depth=1
	v_lshlrev_b32_e32 v4, 2, v4
	v_lshlrev_b32_e32 v11, 2, v13
	v_add3_u32 v4, v4, v11, s14
	v_lshlrev_b32_e32 v10, 3, v10
	s_mov_b64 s[12:13], 0
.LBB44_113:                             ;   Parent Loop BB44_105 Depth=1
                                        ; =>  This Inner Loop Header: Depth=2
	ds_read2_b32 v[12:13], v4 offset1:1
	v_add_u32_e32 v10, -8, v10
	v_cmp_eq_u32_e32 vcc, 0, v10
	v_add_u32_e32 v4, 8, v4
	s_or_b64 s[12:13], vcc, s[12:13]
	s_waitcnt lgkmcnt(0)
	v_add_u32_e32 v7, v13, v7
	v_add_u32_e32 v6, v12, v6
	s_andn2_b64 exec, exec, s[12:13]
	s_cbranch_execnz .LBB44_113
; %bb.114:                              ;   in Loop: Header=BB44_105 Depth=1
	s_or_b64 exec, exec, s[12:13]
.LBB44_115:                             ;   in Loop: Header=BB44_105 Depth=1
	s_or_b64 exec, exec, s[10:11]
	v_and_b32_e32 v4, -2, v9
	v_cmp_ne_u32_e32 vcc, v9, v4
	v_add_u32_e32 v8, v8, v4
	v_add_u32_e32 v6, v6, v7
	s_orn2_b64 s[10:11], vcc, exec
.LBB44_116:                             ;   in Loop: Header=BB44_105 Depth=1
	s_or_b64 exec, exec, s[8:9]
	s_and_saveexec_b64 s[8:9], s[10:11]
	s_cbranch_execz .LBB44_120
; %bb.117:                              ;   in Loop: Header=BB44_105 Depth=1
	v_lshlrev_b32_e32 v4, 2, v8
	s_mov_b64 s[10:11], 0
.LBB44_118:                             ;   Parent Loop BB44_105 Depth=1
                                        ; =>  This Inner Loop Header: Depth=2
	ds_read_b32 v7, v4
	v_add_u32_e32 v8, 1, v8
	v_cmp_ge_i32_e32 vcc, v8, v5
	v_add_u32_e32 v4, 4, v4
	s_or_b64 s[10:11], vcc, s[10:11]
	s_waitcnt lgkmcnt(0)
	v_add_u32_e32 v6, v7, v6
	s_andn2_b64 exec, exec, s[10:11]
	s_cbranch_execnz .LBB44_118
; %bb.119:                              ;   in Loop: Header=BB44_105 Depth=1
	s_or_b64 exec, exec, s[10:11]
.LBB44_120:                             ;   in Loop: Header=BB44_105 Depth=1
	s_or_b64 exec, exec, s[8:9]
.LBB44_121:                             ;   in Loop: Header=BB44_105 Depth=1
	s_or_b64 exec, exec, s[6:7]
	s_and_b64 vcc, exec, s[2:3]
	v_lshl_add_u64 v[4:5], v[2:3], 2, s[28:29]
	s_cbranch_vccz .LBB44_104
; %bb.122:                              ;   in Loop: Header=BB44_105 Depth=1
	global_load_dword v3, v[4:5], off
	s_waitcnt vmcnt(0)
	v_mad_u64_u32 v[6:7], s[6:7], v3, s33, v[6:7]
	s_branch .LBB44_104
.LBB44_123:
	s_or_b64 exec, exec, s[0:1]
	s_mov_b64 s[0:1], 0
.LBB44_124:
	s_andn2_b64 vcc, exec, s[0:1]
	s_cbranch_vccnz .LBB44_149
; %bb.125:
	s_flbit_i32_b32 s0, s37
	s_xor_b32 s0, s0, 31
	v_lshrrev_b32_e32 v4, s0, v0
	v_add_u32_e32 v2, s30, v4
	s_add_i32 s0, s37, -1
	v_and_b32_e32 v3, s0, v0
	v_cmp_le_i32_e32 vcc, s31, v2
	v_cmp_gt_i32_e64 s[0:1], s31, v2
	v_mov_b32_e32 v0, 0
	s_and_saveexec_b64 s[2:3], s[0:1]
	s_cbranch_execz .LBB44_131
; %bb.126:
	v_lshlrev_b32_e32 v0, 2, v4
	global_load_dwordx2 v[6:7], v0, s[34:35]
	v_subrev_u32_e32 v0, s58, v3
	s_waitcnt vmcnt(0)
	v_subrev_u32_e32 v4, s58, v7
	v_add_u32_e32 v5, v6, v0
	v_cmp_lt_i32_e64 s[0:1], v5, v4
	v_mov_b32_e32 v0, 0
	s_and_saveexec_b64 s[4:5], s[0:1]
	s_cbranch_execz .LBB44_130
; %bb.127:
	v_lshlrev_b32_e32 v6, 2, v5
	s_lshl_b32 s8, s37, 2
	v_mov_b32_e32 v0, 0
	s_mov_b64 s[6:7], 0
.LBB44_128:                             ; =>This Inner Loop Header: Depth=1
	ds_read_b32 v7, v6
	v_add_u32_e32 v5, s37, v5
	v_cmp_ge_i32_e64 s[0:1], v5, v4
	v_add_u32_e32 v6, s8, v6
	s_or_b64 s[6:7], s[0:1], s[6:7]
	s_waitcnt lgkmcnt(0)
	v_add_u32_e32 v0, v7, v0
	s_andn2_b64 exec, exec, s[6:7]
	s_cbranch_execnz .LBB44_128
; %bb.129:
	s_or_b64 exec, exec, s[6:7]
.LBB44_130:
	s_or_b64 exec, exec, s[4:5]
.LBB44_131:
	s_or_b64 exec, exec, s[2:3]
	s_cmpk_lt_u32 s37, 0x81
	s_barrier
	ds_write_b32 v1, v0
	s_waitcnt lgkmcnt(0)
	s_barrier
	s_cbranch_scc1 .LBB44_133
; %bb.132:
	ds_read_b32 v4, v1 offset:512
	s_waitcnt lgkmcnt(0)
	s_barrier
	v_add_u32_e32 v0, v4, v0
	ds_write_b32 v1, v0
.LBB44_133:
	s_cmpk_lt_u32 s37, 0x41
	s_waitcnt lgkmcnt(0)
	s_barrier
	s_cbranch_scc1 .LBB44_135
; %bb.134:
	ds_read_b32 v4, v1 offset:256
	s_waitcnt lgkmcnt(0)
	s_barrier
	v_add_u32_e32 v0, v4, v0
	ds_write_b32 v1, v0
.LBB44_135:
	s_cmp_lt_u32 s37, 33
	s_waitcnt lgkmcnt(0)
	s_barrier
	s_cbranch_scc1 .LBB44_137
; %bb.136:
	ds_read_b32 v4, v1 offset:128
	s_waitcnt lgkmcnt(0)
	s_barrier
	v_add_u32_e32 v0, v4, v0
	ds_write_b32 v1, v0
.LBB44_137:
	s_cmp_lt_u32 s37, 17
	;; [unrolled: 11-line block ×4, first 2 shown]
	s_waitcnt lgkmcnt(0)
	s_barrier
	s_cbranch_scc1 .LBB44_143
; %bb.142:
	ds_read_b32 v4, v1 offset:16
	s_waitcnt lgkmcnt(0)
	s_barrier
	v_add_u32_e32 v0, v4, v0
	ds_write_b32 v1, v0
.LBB44_143:
	s_cmp_eq_u32 s37, 2
	s_waitcnt lgkmcnt(0)
	s_barrier
	s_cbranch_scc1 .LBB44_145
; %bb.144:
	ds_read_b32 v4, v1 offset:8
	s_waitcnt lgkmcnt(0)
	s_barrier
	v_add_u32_e32 v0, v4, v0
	ds_write_b32 v1, v0
.LBB44_145:
	s_waitcnt lgkmcnt(0)
	s_barrier
	ds_read_b32 v4, v1 offset:4
	v_cmp_eq_u32_e64 s[0:1], 0, v3
	s_xor_b64 s[2:3], vcc, -1
	s_and_b64 s[0:1], s[0:1], s[2:3]
	s_waitcnt lgkmcnt(0)
	v_add_u32_e32 v0, v4, v0
	s_barrier
	ds_write_b32 v1, v0
	s_and_saveexec_b64 s[2:3], s[0:1]
	s_cbranch_execz .LBB44_149
; %bb.146:
	v_ashrrev_i32_e32 v3, 31, v2
	s_cmp_eq_u32 s33, 0
	v_lshl_add_u64 v[2:3], v[2:3], 2, s[28:29]
	s_cbranch_scc1 .LBB44_148
; %bb.147:
	global_load_dword v1, v[2:3], off
	s_waitcnt vmcnt(0)
	v_mad_u64_u32 v[0:1], s[0:1], v1, s33, v[0:1]
.LBB44_148:
	global_store_dword v[2:3], v0, off
.LBB44_149:
	s_endpgm
	.section	.rodata,"a",@progbits
	.p2align	6, 0x0
	.amdhsa_kernel _ZN9rocsparseL22csrmvn_adaptive_kernelIiiaaiiEEvbT_PKS1_PjPKT0_NS_24const_host_device_scalarIT4_EES3_S7_PKT1_PKT2_SA_PT3_21rocsparse_index_base_b
		.amdhsa_group_segment_fixed_size 4096
		.amdhsa_private_segment_fixed_size 0
		.amdhsa_kernarg_size 96
		.amdhsa_user_sgpr_count 2
		.amdhsa_user_sgpr_dispatch_ptr 0
		.amdhsa_user_sgpr_queue_ptr 0
		.amdhsa_user_sgpr_kernarg_segment_ptr 1
		.amdhsa_user_sgpr_dispatch_id 0
		.amdhsa_user_sgpr_kernarg_preload_length 0
		.amdhsa_user_sgpr_kernarg_preload_offset 0
		.amdhsa_user_sgpr_private_segment_size 0
		.amdhsa_uses_dynamic_stack 0
		.amdhsa_enable_private_segment 0
		.amdhsa_system_sgpr_workgroup_id_x 1
		.amdhsa_system_sgpr_workgroup_id_y 0
		.amdhsa_system_sgpr_workgroup_id_z 0
		.amdhsa_system_sgpr_workgroup_info 0
		.amdhsa_system_vgpr_workitem_id 0
		.amdhsa_next_free_vgpr 32
		.amdhsa_next_free_sgpr 64
		.amdhsa_accum_offset 32
		.amdhsa_reserve_vcc 1
		.amdhsa_float_round_mode_32 0
		.amdhsa_float_round_mode_16_64 0
		.amdhsa_float_denorm_mode_32 3
		.amdhsa_float_denorm_mode_16_64 3
		.amdhsa_dx10_clamp 1
		.amdhsa_ieee_mode 1
		.amdhsa_fp16_overflow 0
		.amdhsa_tg_split 0
		.amdhsa_exception_fp_ieee_invalid_op 0
		.amdhsa_exception_fp_denorm_src 0
		.amdhsa_exception_fp_ieee_div_zero 0
		.amdhsa_exception_fp_ieee_overflow 0
		.amdhsa_exception_fp_ieee_underflow 0
		.amdhsa_exception_fp_ieee_inexact 0
		.amdhsa_exception_int_div_zero 0
	.end_amdhsa_kernel
	.section	.text._ZN9rocsparseL22csrmvn_adaptive_kernelIiiaaiiEEvbT_PKS1_PjPKT0_NS_24const_host_device_scalarIT4_EES3_S7_PKT1_PKT2_SA_PT3_21rocsparse_index_base_b,"axG",@progbits,_ZN9rocsparseL22csrmvn_adaptive_kernelIiiaaiiEEvbT_PKS1_PjPKT0_NS_24const_host_device_scalarIT4_EES3_S7_PKT1_PKT2_SA_PT3_21rocsparse_index_base_b,comdat
.Lfunc_end44:
	.size	_ZN9rocsparseL22csrmvn_adaptive_kernelIiiaaiiEEvbT_PKS1_PjPKT0_NS_24const_host_device_scalarIT4_EES3_S7_PKT1_PKT2_SA_PT3_21rocsparse_index_base_b, .Lfunc_end44-_ZN9rocsparseL22csrmvn_adaptive_kernelIiiaaiiEEvbT_PKS1_PjPKT0_NS_24const_host_device_scalarIT4_EES3_S7_PKT1_PKT2_SA_PT3_21rocsparse_index_base_b
                                        ; -- End function
	.set _ZN9rocsparseL22csrmvn_adaptive_kernelIiiaaiiEEvbT_PKS1_PjPKT0_NS_24const_host_device_scalarIT4_EES3_S7_PKT1_PKT2_SA_PT3_21rocsparse_index_base_b.num_vgpr, 32
	.set _ZN9rocsparseL22csrmvn_adaptive_kernelIiiaaiiEEvbT_PKS1_PjPKT0_NS_24const_host_device_scalarIT4_EES3_S7_PKT1_PKT2_SA_PT3_21rocsparse_index_base_b.num_agpr, 0
	.set _ZN9rocsparseL22csrmvn_adaptive_kernelIiiaaiiEEvbT_PKS1_PjPKT0_NS_24const_host_device_scalarIT4_EES3_S7_PKT1_PKT2_SA_PT3_21rocsparse_index_base_b.numbered_sgpr, 64
	.set _ZN9rocsparseL22csrmvn_adaptive_kernelIiiaaiiEEvbT_PKS1_PjPKT0_NS_24const_host_device_scalarIT4_EES3_S7_PKT1_PKT2_SA_PT3_21rocsparse_index_base_b.num_named_barrier, 0
	.set _ZN9rocsparseL22csrmvn_adaptive_kernelIiiaaiiEEvbT_PKS1_PjPKT0_NS_24const_host_device_scalarIT4_EES3_S7_PKT1_PKT2_SA_PT3_21rocsparse_index_base_b.private_seg_size, 0
	.set _ZN9rocsparseL22csrmvn_adaptive_kernelIiiaaiiEEvbT_PKS1_PjPKT0_NS_24const_host_device_scalarIT4_EES3_S7_PKT1_PKT2_SA_PT3_21rocsparse_index_base_b.uses_vcc, 1
	.set _ZN9rocsparseL22csrmvn_adaptive_kernelIiiaaiiEEvbT_PKS1_PjPKT0_NS_24const_host_device_scalarIT4_EES3_S7_PKT1_PKT2_SA_PT3_21rocsparse_index_base_b.uses_flat_scratch, 0
	.set _ZN9rocsparseL22csrmvn_adaptive_kernelIiiaaiiEEvbT_PKS1_PjPKT0_NS_24const_host_device_scalarIT4_EES3_S7_PKT1_PKT2_SA_PT3_21rocsparse_index_base_b.has_dyn_sized_stack, 0
	.set _ZN9rocsparseL22csrmvn_adaptive_kernelIiiaaiiEEvbT_PKS1_PjPKT0_NS_24const_host_device_scalarIT4_EES3_S7_PKT1_PKT2_SA_PT3_21rocsparse_index_base_b.has_recursion, 0
	.set _ZN9rocsparseL22csrmvn_adaptive_kernelIiiaaiiEEvbT_PKS1_PjPKT0_NS_24const_host_device_scalarIT4_EES3_S7_PKT1_PKT2_SA_PT3_21rocsparse_index_base_b.has_indirect_call, 0
	.section	.AMDGPU.csdata,"",@progbits
; Kernel info:
; codeLenInByte = 5104
; TotalNumSgprs: 70
; NumVgprs: 32
; NumAgprs: 0
; TotalNumVgprs: 32
; ScratchSize: 0
; MemoryBound: 0
; FloatMode: 240
; IeeeMode: 1
; LDSByteSize: 4096 bytes/workgroup (compile time only)
; SGPRBlocks: 8
; VGPRBlocks: 3
; NumSGPRsForWavesPerEU: 70
; NumVGPRsForWavesPerEU: 32
; AccumOffset: 32
; Occupancy: 8
; WaveLimiterHint : 1
; COMPUTE_PGM_RSRC2:SCRATCH_EN: 0
; COMPUTE_PGM_RSRC2:USER_SGPR: 2
; COMPUTE_PGM_RSRC2:TRAP_HANDLER: 0
; COMPUTE_PGM_RSRC2:TGID_X_EN: 1
; COMPUTE_PGM_RSRC2:TGID_Y_EN: 0
; COMPUTE_PGM_RSRC2:TGID_Z_EN: 0
; COMPUTE_PGM_RSRC2:TIDIG_COMP_CNT: 0
; COMPUTE_PGM_RSRC3_GFX90A:ACCUM_OFFSET: 7
; COMPUTE_PGM_RSRC3_GFX90A:TG_SPLIT: 0
	.section	.text._ZN9rocsparseL22partial_scale_y_kernelIiiiEEvT_S1_S1_NS_24const_host_device_scalarIT1_EEPT0_b,"axG",@progbits,_ZN9rocsparseL22partial_scale_y_kernelIiiiEEvT_S1_S1_NS_24const_host_device_scalarIT1_EEPT0_b,comdat
	.globl	_ZN9rocsparseL22partial_scale_y_kernelIiiiEEvT_S1_S1_NS_24const_host_device_scalarIT1_EEPT0_b ; -- Begin function _ZN9rocsparseL22partial_scale_y_kernelIiiiEEvT_S1_S1_NS_24const_host_device_scalarIT1_EEPT0_b
	.p2align	8
	.type	_ZN9rocsparseL22partial_scale_y_kernelIiiiEEvT_S1_S1_NS_24const_host_device_scalarIT1_EEPT0_b,@function
_ZN9rocsparseL22partial_scale_y_kernelIiiiEEvT_S1_S1_NS_24const_host_device_scalarIT1_EEPT0_b: ; @_ZN9rocsparseL22partial_scale_y_kernelIiiiEEvT_S1_S1_NS_24const_host_device_scalarIT1_EEPT0_b
; %bb.0:
	s_load_dword s3, s[0:1], 0x20
	s_load_dwordx2 s[4:5], s[0:1], 0x10
	s_waitcnt lgkmcnt(0)
	s_bitcmp0_b32 s3, 0
	s_cbranch_scc0 .LBB45_2
; %bb.1:
	s_load_dword s10, s[4:5], 0x0
	s_cbranch_execz .LBB45_3
	s_branch .LBB45_4
.LBB45_2:
                                        ; implicit-def: $sgpr10
.LBB45_3:
	s_waitcnt lgkmcnt(0)
	s_mov_b32 s10, s4
.LBB45_4:
	s_waitcnt lgkmcnt(0)
	s_cmp_eq_u32 s10, 1
	s_cbranch_scc1 .LBB45_14
; %bb.5:
	s_load_dwordx4 s[4:7], s[0:1], 0x0
	v_lshl_or_b32 v0, s2, 8, v0
	s_waitcnt lgkmcnt(0)
	s_add_i32 s2, s5, s4
	s_sub_i32 s2, s2, s6
	v_cmp_gt_i32_e32 vcc, s2, v0
	s_and_saveexec_b64 s[2:3], vcc
	s_cbranch_execz .LBB45_14
; %bb.6:
	s_load_dwordx2 s[0:1], s[0:1], 0x18
	s_cmp_lg_u32 s10, 0
	v_cmp_le_i32_e32 vcc, s5, v0
	s_cselect_b64 s[2:3], -1, 0
	s_and_saveexec_b64 s[8:9], vcc
	s_xor_b64 s[8:9], exec, s[8:9]
	s_cbranch_execz .LBB45_10
; %bb.7:
	v_subrev_u32_e32 v0, s5, v0
	v_add_u32_e32 v0, s6, v0
	v_ashrrev_i32_e32 v1, 31, v0
	s_waitcnt lgkmcnt(0)
	v_lshl_add_u64 v[2:3], v[0:1], 2, s[0:1]
	s_and_b64 vcc, exec, s[2:3]
	s_cbranch_vccz .LBB45_15
; %bb.8:
	global_load_dword v0, v[2:3], off
	s_waitcnt vmcnt(0)
	v_mul_lo_u32 v0, v0, s10
	global_store_dword v[2:3], v0, off
                                        ; implicit-def: $vgpr0
	s_cbranch_execnz .LBB45_10
.LBB45_9:
	v_mov_b32_e32 v0, 0
	global_store_dword v[2:3], v0, off
                                        ; implicit-def: $vgpr0
.LBB45_10:
	s_andn2_saveexec_b64 s[4:5], s[8:9]
	s_cbranch_execz .LBB45_14
; %bb.11:
	v_ashrrev_i32_e32 v1, 31, v0
	s_waitcnt lgkmcnt(0)
	v_lshl_add_u64 v[0:1], v[0:1], 2, s[0:1]
	s_and_b64 vcc, exec, s[2:3]
	s_cbranch_vccz .LBB45_16
; %bb.12:
	global_load_dword v2, v[0:1], off
	s_waitcnt vmcnt(0)
	v_mul_lo_u32 v2, v2, s10
	global_store_dword v[0:1], v2, off
	s_cbranch_execnz .LBB45_14
.LBB45_13:
	v_mov_b32_e32 v2, 0
	global_store_dword v[0:1], v2, off
.LBB45_14:
	s_endpgm
.LBB45_15:
                                        ; implicit-def: $vgpr0
	s_branch .LBB45_9
.LBB45_16:
	s_branch .LBB45_13
	.section	.rodata,"a",@progbits
	.p2align	6, 0x0
	.amdhsa_kernel _ZN9rocsparseL22partial_scale_y_kernelIiiiEEvT_S1_S1_NS_24const_host_device_scalarIT1_EEPT0_b
		.amdhsa_group_segment_fixed_size 0
		.amdhsa_private_segment_fixed_size 0
		.amdhsa_kernarg_size 36
		.amdhsa_user_sgpr_count 2
		.amdhsa_user_sgpr_dispatch_ptr 0
		.amdhsa_user_sgpr_queue_ptr 0
		.amdhsa_user_sgpr_kernarg_segment_ptr 1
		.amdhsa_user_sgpr_dispatch_id 0
		.amdhsa_user_sgpr_kernarg_preload_length 0
		.amdhsa_user_sgpr_kernarg_preload_offset 0
		.amdhsa_user_sgpr_private_segment_size 0
		.amdhsa_uses_dynamic_stack 0
		.amdhsa_enable_private_segment 0
		.amdhsa_system_sgpr_workgroup_id_x 1
		.amdhsa_system_sgpr_workgroup_id_y 0
		.amdhsa_system_sgpr_workgroup_id_z 0
		.amdhsa_system_sgpr_workgroup_info 0
		.amdhsa_system_vgpr_workitem_id 0
		.amdhsa_next_free_vgpr 4
		.amdhsa_next_free_sgpr 11
		.amdhsa_accum_offset 4
		.amdhsa_reserve_vcc 1
		.amdhsa_float_round_mode_32 0
		.amdhsa_float_round_mode_16_64 0
		.amdhsa_float_denorm_mode_32 3
		.amdhsa_float_denorm_mode_16_64 3
		.amdhsa_dx10_clamp 1
		.amdhsa_ieee_mode 1
		.amdhsa_fp16_overflow 0
		.amdhsa_tg_split 0
		.amdhsa_exception_fp_ieee_invalid_op 0
		.amdhsa_exception_fp_denorm_src 0
		.amdhsa_exception_fp_ieee_div_zero 0
		.amdhsa_exception_fp_ieee_overflow 0
		.amdhsa_exception_fp_ieee_underflow 0
		.amdhsa_exception_fp_ieee_inexact 0
		.amdhsa_exception_int_div_zero 0
	.end_amdhsa_kernel
	.section	.text._ZN9rocsparseL22partial_scale_y_kernelIiiiEEvT_S1_S1_NS_24const_host_device_scalarIT1_EEPT0_b,"axG",@progbits,_ZN9rocsparseL22partial_scale_y_kernelIiiiEEvT_S1_S1_NS_24const_host_device_scalarIT1_EEPT0_b,comdat
.Lfunc_end45:
	.size	_ZN9rocsparseL22partial_scale_y_kernelIiiiEEvT_S1_S1_NS_24const_host_device_scalarIT1_EEPT0_b, .Lfunc_end45-_ZN9rocsparseL22partial_scale_y_kernelIiiiEEvT_S1_S1_NS_24const_host_device_scalarIT1_EEPT0_b
                                        ; -- End function
	.set _ZN9rocsparseL22partial_scale_y_kernelIiiiEEvT_S1_S1_NS_24const_host_device_scalarIT1_EEPT0_b.num_vgpr, 4
	.set _ZN9rocsparseL22partial_scale_y_kernelIiiiEEvT_S1_S1_NS_24const_host_device_scalarIT1_EEPT0_b.num_agpr, 0
	.set _ZN9rocsparseL22partial_scale_y_kernelIiiiEEvT_S1_S1_NS_24const_host_device_scalarIT1_EEPT0_b.numbered_sgpr, 11
	.set _ZN9rocsparseL22partial_scale_y_kernelIiiiEEvT_S1_S1_NS_24const_host_device_scalarIT1_EEPT0_b.num_named_barrier, 0
	.set _ZN9rocsparseL22partial_scale_y_kernelIiiiEEvT_S1_S1_NS_24const_host_device_scalarIT1_EEPT0_b.private_seg_size, 0
	.set _ZN9rocsparseL22partial_scale_y_kernelIiiiEEvT_S1_S1_NS_24const_host_device_scalarIT1_EEPT0_b.uses_vcc, 1
	.set _ZN9rocsparseL22partial_scale_y_kernelIiiiEEvT_S1_S1_NS_24const_host_device_scalarIT1_EEPT0_b.uses_flat_scratch, 0
	.set _ZN9rocsparseL22partial_scale_y_kernelIiiiEEvT_S1_S1_NS_24const_host_device_scalarIT1_EEPT0_b.has_dyn_sized_stack, 0
	.set _ZN9rocsparseL22partial_scale_y_kernelIiiiEEvT_S1_S1_NS_24const_host_device_scalarIT1_EEPT0_b.has_recursion, 0
	.set _ZN9rocsparseL22partial_scale_y_kernelIiiiEEvT_S1_S1_NS_24const_host_device_scalarIT1_EEPT0_b.has_indirect_call, 0
	.section	.AMDGPU.csdata,"",@progbits
; Kernel info:
; codeLenInByte = 300
; TotalNumSgprs: 17
; NumVgprs: 4
; NumAgprs: 0
; TotalNumVgprs: 4
; ScratchSize: 0
; MemoryBound: 0
; FloatMode: 240
; IeeeMode: 1
; LDSByteSize: 0 bytes/workgroup (compile time only)
; SGPRBlocks: 2
; VGPRBlocks: 0
; NumSGPRsForWavesPerEU: 17
; NumVGPRsForWavesPerEU: 4
; AccumOffset: 4
; Occupancy: 8
; WaveLimiterHint : 0
; COMPUTE_PGM_RSRC2:SCRATCH_EN: 0
; COMPUTE_PGM_RSRC2:USER_SGPR: 2
; COMPUTE_PGM_RSRC2:TRAP_HANDLER: 0
; COMPUTE_PGM_RSRC2:TGID_X_EN: 1
; COMPUTE_PGM_RSRC2:TGID_Y_EN: 0
; COMPUTE_PGM_RSRC2:TGID_Z_EN: 0
; COMPUTE_PGM_RSRC2:TIDIG_COMP_CNT: 0
; COMPUTE_PGM_RSRC3_GFX90A:ACCUM_OFFSET: 0
; COMPUTE_PGM_RSRC3_GFX90A:TG_SPLIT: 0
	.section	.text._ZN9rocsparseL27csrmvn_symm_adaptive_kernelIiiaaiiEEvbT_S1_PKS1_NS_24const_host_device_scalarIT4_EES3_PKT0_PKT1_PKT2_S6_PT3_21rocsparse_index_base_b,"axG",@progbits,_ZN9rocsparseL27csrmvn_symm_adaptive_kernelIiiaaiiEEvbT_S1_PKS1_NS_24const_host_device_scalarIT4_EES3_PKT0_PKT1_PKT2_S6_PT3_21rocsparse_index_base_b,comdat
	.globl	_ZN9rocsparseL27csrmvn_symm_adaptive_kernelIiiaaiiEEvbT_S1_PKS1_NS_24const_host_device_scalarIT4_EES3_PKT0_PKT1_PKT2_S6_PT3_21rocsparse_index_base_b ; -- Begin function _ZN9rocsparseL27csrmvn_symm_adaptive_kernelIiiaaiiEEvbT_S1_PKS1_NS_24const_host_device_scalarIT4_EES3_PKT0_PKT1_PKT2_S6_PT3_21rocsparse_index_base_b
	.p2align	8
	.type	_ZN9rocsparseL27csrmvn_symm_adaptive_kernelIiiaaiiEEvbT_S1_PKS1_NS_24const_host_device_scalarIT4_EES3_PKT0_PKT1_PKT2_S6_PT3_21rocsparse_index_base_b,@function
_ZN9rocsparseL27csrmvn_symm_adaptive_kernelIiiaaiiEEvbT_S1_PKS1_NS_24const_host_device_scalarIT4_EES3_PKT0_PKT1_PKT2_S6_PT3_21rocsparse_index_base_b: ; @_ZN9rocsparseL27csrmvn_symm_adaptive_kernelIiiaaiiEEvbT_S1_PKS1_NS_24const_host_device_scalarIT4_EES3_PKT0_PKT1_PKT2_S6_PT3_21rocsparse_index_base_b
; %bb.0:
	s_load_dwordx2 s[22:23], s[0:1], 0x50
	s_load_dwordx2 s[8:9], s[0:1], 0x18
	s_mov_b64 s[10:11], -1
                                        ; implicit-def: $sgpr40
	s_waitcnt lgkmcnt(0)
	s_bitcmp1_b32 s23, 0
	s_cselect_b64 s[4:5], -1, 0
	s_xor_b64 s[6:7], s[4:5], -1
	s_and_b64 vcc, exec, s[6:7]
	s_cbranch_vccnz .LBB46_4
; %bb.1:
	s_load_dwordx2 s[4:5], s[0:1], 0x40
	s_andn2_b64 vcc, exec, s[10:11]
	s_cbranch_vccz .LBB46_5
.LBB46_2:
	s_and_b64 vcc, exec, s[6:7]
	s_cbranch_vccz .LBB46_6
.LBB46_3:
	s_waitcnt lgkmcnt(0)
	s_load_dword s3, s[4:5], 0x0
	s_cbranch_execz .LBB46_7
	s_branch .LBB46_8
.LBB46_4:
	s_load_dword s40, s[8:9], 0x0
	s_load_dwordx2 s[4:5], s[0:1], 0x40
	s_cbranch_execnz .LBB46_2
.LBB46_5:
	s_waitcnt lgkmcnt(0)
	s_mov_b32 s40, s8
	s_and_b64 vcc, exec, s[6:7]
	s_cbranch_vccnz .LBB46_3
.LBB46_6:
                                        ; implicit-def: $sgpr3
.LBB46_7:
	s_waitcnt lgkmcnt(0)
	s_mov_b32 s3, s4
.LBB46_8:
	s_waitcnt lgkmcnt(0)
	s_cmp_lg_u32 s40, 0
	s_cselect_b64 s[4:5], -1, 0
	s_cmp_lg_u32 s3, 1
	s_cselect_b64 s[6:7], -1, 0
	s_or_b64 s[4:5], s[4:5], s[6:7]
	s_andn2_b64 vcc, exec, s[4:5]
	s_cbranch_vccnz .LBB46_173
; %bb.9:
	s_load_dwordx2 s[4:5], s[0:1], 0x10
	s_ashr_i32 s3, s2, 31
	s_lshl_b64 s[2:3], s[2:3], 2
	v_lshlrev_b32_e32 v10, 2, v0
	v_mov_b32_e32 v1, 0
	s_waitcnt lgkmcnt(0)
	s_add_u32 s2, s4, s2
	s_addc_u32 s3, s5, s3
	ds_write2st64_b32 v10, v1, v1 offset1:4
	ds_write2st64_b32 v10, v1, v1 offset0:8 offset1:12
	s_waitcnt lgkmcnt(0)
	s_barrier
	s_load_dwordx2 s[20:21], s[2:3], 0x0
	s_load_dwordx8 s[12:19], s[0:1], 0x20
	s_load_dwordx2 s[10:11], s[0:1], 0x48
	s_mov_b64 s[2:3], -1
	v_subrev_u32_e32 v2, s22, v0
	s_waitcnt lgkmcnt(0)
	s_sub_i32 s23, s21, s20
	s_cmp_gt_i32 s23, 2
	s_cbranch_scc1 .LBB46_44
; %bb.10:
	s_cmp_le_i32 s21, s20
	s_cbranch_scc1 .LBB46_34
; %bb.11:
	v_cmp_gt_u32_e32 vcc, 64, v0
	v_cmp_gt_u32_e64 s[2:3], 16, v0
	v_cmp_gt_u32_e64 s[4:5], 4, v0
	v_cmp_eq_u32_e64 s[6:7], 0, v0
	v_xad_u32 v1, v0, -1, s22
	v_add_u32_e32 v3, 0x100, v2
	s_mov_b32 s33, s22
	s_movk_i32 s41, 0xff
	s_mov_b64 s[24:25], 0x100
	s_mov_b64 s[26:27], 0x400
	v_mov_b32_e32 v8, 0
	s_mov_b32 s28, s20
	s_branch .LBB46_13
.LBB46_12:                              ;   in Loop: Header=BB46_13 Depth=1
	s_or_b64 exec, exec, s[34:35]
	s_add_i32 s28, s28, 1
	s_cmp_ge_i32 s28, s21
	s_cbranch_scc1 .LBB46_34
.LBB46_13:                              ; =>This Loop Header: Depth=1
                                        ;     Child Loop BB46_16 Depth 2
                                        ;     Child Loop BB46_20 Depth 2
	s_ashr_i32 s29, s28, 31
	s_lshl_b64 s[30:31], s[28:29], 2
	s_add_u32 s8, s12, s30
	s_addc_u32 s9, s13, s31
	s_load_dwordx2 s[36:37], s[8:9], 0x0
	v_mov_b32_e32 v9, 0
	s_waitcnt lgkmcnt(0)
	v_add_u32_e32 v4, s36, v2
	s_sub_i32 s29, s37, s22
	v_cmp_gt_i32_e64 s[8:9], s29, v4
	s_and_saveexec_b64 s[34:35], s[8:9]
	s_cbranch_execz .LBB46_23
; %bb.14:                               ;   in Loop: Header=BB46_13 Depth=1
	v_add_u32_e32 v5, s36, v3
	v_max_i32_e32 v5, s29, v5
	v_add_u32_e32 v5, v1, v5
	v_subrev_u32_e32 v5, s36, v5
	v_cmp_lt_u32_e64 s[8:9], s41, v5
	s_mov_b64 s[38:39], -1
	v_mov_b32_e32 v9, 0
	s_and_saveexec_b64 s[36:37], s[8:9]
	s_cbranch_execz .LBB46_18
; %bb.15:                               ;   in Loop: Header=BB46_13 Depth=1
	v_lshrrev_b32_e32 v5, 8, v5
	v_add_u32_e32 v11, 1, v5
	v_and_b32_e32 v12, 0x1fffffe, v11
	v_add_u32_e32 v5, 0x100, v4
	v_mov_b32_e32 v9, 0
	s_mov_b64 s[38:39], 0
	v_mov_b32_e32 v13, v12
	v_mov_b64_e32 v[6:7], v[4:5]
	v_mov_b32_e32 v5, 0
.LBB46_16:                              ;   Parent Loop BB46_13 Depth=1
                                        ; =>  This Inner Loop Header: Depth=2
	v_ashrrev_i32_e32 v17, 31, v6
	v_mov_b32_e32 v16, v6
	v_ashrrev_i32_e32 v15, 31, v7
	v_mov_b32_e32 v14, v7
	v_lshl_add_u64 v[18:19], v[16:17], 2, s[14:15]
	v_lshl_add_u64 v[20:21], v[14:15], 2, s[14:15]
	global_load_dword v22, v[18:19], off
	global_load_dword v23, v[20:21], off
	v_lshl_add_u64 v[16:17], s[16:17], 0, v[16:17]
	v_lshl_add_u64 v[14:15], s[16:17], 0, v[14:15]
	global_load_sbyte v18, v[16:17], off
	global_load_sbyte v19, v[14:15], off
	v_add_u32_e32 v13, -2, v13
	v_cmp_eq_u32_e64 s[8:9], 0, v13
	v_add_u32_e32 v7, 0x200, v7
	v_add_u32_e32 v6, 0x200, v6
	s_or_b64 s[38:39], s[8:9], s[38:39]
	s_waitcnt vmcnt(3)
	v_subrev_u32_e32 v14, s22, v22
	s_waitcnt vmcnt(2)
	v_subrev_u32_e32 v16, s33, v23
	v_ashrrev_i32_e32 v17, 31, v16
	v_ashrrev_i32_e32 v15, 31, v14
	v_lshl_add_u64 v[16:17], s[18:19], 0, v[16:17]
	v_lshl_add_u64 v[14:15], s[18:19], 0, v[14:15]
	global_load_sbyte v20, v[16:17], off
	global_load_sbyte v21, v[14:15], off
	s_waitcnt vmcnt(1)
	v_mad_i32_i24 v5, v20, v19, v5
	s_waitcnt vmcnt(0)
	v_mad_i32_i24 v9, v21, v18, v9
	s_andn2_b64 exec, exec, s[38:39]
	s_cbranch_execnz .LBB46_16
; %bb.17:                               ;   in Loop: Header=BB46_13 Depth=1
	s_or_b64 exec, exec, s[38:39]
	v_cmp_ne_u32_e64 s[8:9], v11, v12
	v_lshl_add_u32 v4, v12, 8, v4
	v_add_u32_e32 v9, v9, v5
	s_orn2_b64 s[38:39], s[8:9], exec
.LBB46_18:                              ;   in Loop: Header=BB46_13 Depth=1
	s_or_b64 exec, exec, s[36:37]
	s_and_saveexec_b64 s[36:37], s[38:39]
	s_cbranch_execz .LBB46_22
; %bb.19:                               ;   in Loop: Header=BB46_13 Depth=1
	v_ashrrev_i32_e32 v5, 31, v4
	v_lshl_add_u64 v[6:7], v[4:5], 2, s[14:15]
	s_mov_b64 s[38:39], 0
.LBB46_20:                              ;   Parent Loop BB46_13 Depth=1
                                        ; =>  This Inner Loop Header: Depth=2
	global_load_dword v11, v[6:7], off
	v_lshl_add_u64 v[12:13], s[16:17], 0, v[4:5]
	global_load_sbyte v14, v[12:13], off
	v_lshl_add_u64 v[4:5], v[4:5], 0, s[24:25]
	v_cmp_le_i32_e64 s[8:9], s29, v4
	v_lshl_add_u64 v[6:7], v[6:7], 0, s[26:27]
	s_or_b64 s[38:39], s[8:9], s[38:39]
	s_waitcnt vmcnt(1)
	v_subrev_u32_e32 v12, s22, v11
	v_ashrrev_i32_e32 v13, 31, v12
	v_lshl_add_u64 v[12:13], s[18:19], 0, v[12:13]
	global_load_sbyte v11, v[12:13], off
	s_waitcnt vmcnt(0)
	v_mad_i32_i24 v9, v11, v14, v9
	s_andn2_b64 exec, exec, s[38:39]
	s_cbranch_execnz .LBB46_20
; %bb.21:                               ;   in Loop: Header=BB46_13 Depth=1
	s_or_b64 exec, exec, s[38:39]
.LBB46_22:                              ;   in Loop: Header=BB46_13 Depth=1
	s_or_b64 exec, exec, s[36:37]
.LBB46_23:                              ;   in Loop: Header=BB46_13 Depth=1
	s_or_b64 exec, exec, s[34:35]
	ds_write_b32 v10, v9
	s_waitcnt lgkmcnt(0)
	s_barrier
	ds_read2st64_b32 v[4:5], v10 offset1:4
	ds_read2st64_b32 v[6:7], v10 offset0:8 offset1:12
	s_waitcnt lgkmcnt(0)
	v_add_u32_e32 v5, v6, v5
	v_add3_u32 v4, v5, v7, v4
	ds_write_b32 v10, v4
	s_waitcnt lgkmcnt(0)
	s_barrier
	s_and_saveexec_b64 s[8:9], vcc
	s_cbranch_execz .LBB46_25
; %bb.24:                               ;   in Loop: Header=BB46_13 Depth=1
	ds_read2st64_b32 v[4:5], v10 offset1:1
	ds_read2st64_b32 v[6:7], v10 offset0:2 offset1:3
	s_waitcnt lgkmcnt(0)
	v_add_u32_e32 v5, v6, v5
	v_add3_u32 v4, v5, v7, v4
	ds_write_b32 v10, v4
.LBB46_25:                              ;   in Loop: Header=BB46_13 Depth=1
	s_or_b64 exec, exec, s[8:9]
	s_waitcnt lgkmcnt(0)
	s_barrier
	s_and_saveexec_b64 s[8:9], s[2:3]
	s_cbranch_execz .LBB46_27
; %bb.26:                               ;   in Loop: Header=BB46_13 Depth=1
	ds_read2_b32 v[4:5], v10 offset1:16
	ds_read2_b32 v[6:7], v10 offset0:32 offset1:48
	s_waitcnt lgkmcnt(0)
	v_add_u32_e32 v5, v6, v5
	v_add3_u32 v4, v5, v7, v4
	ds_write_b32 v10, v4
.LBB46_27:                              ;   in Loop: Header=BB46_13 Depth=1
	s_or_b64 exec, exec, s[8:9]
	s_waitcnt lgkmcnt(0)
	s_barrier
	s_and_saveexec_b64 s[8:9], s[4:5]
	s_cbranch_execz .LBB46_29
; %bb.28:                               ;   in Loop: Header=BB46_13 Depth=1
	ds_read2_b32 v[4:5], v10 offset1:4
	ds_read2_b32 v[6:7], v10 offset0:8 offset1:12
	s_waitcnt lgkmcnt(0)
	v_add_u32_e32 v5, v6, v5
	v_add3_u32 v4, v5, v7, v4
	ds_write_b32 v10, v4
.LBB46_29:                              ;   in Loop: Header=BB46_13 Depth=1
	s_or_b64 exec, exec, s[8:9]
	s_waitcnt lgkmcnt(0)
	s_barrier
	s_and_saveexec_b64 s[8:9], s[6:7]
	s_cbranch_execz .LBB46_31
; %bb.30:                               ;   in Loop: Header=BB46_13 Depth=1
	ds_read2_b32 v[4:5], v8 offset0:1 offset1:2
	ds_read_b32 v6, v8 offset:12
	ds_read_b32 v7, v10
	s_waitcnt lgkmcnt(2)
	v_add_u32_e32 v4, v5, v4
	s_waitcnt lgkmcnt(1)
	v_add_u32_e32 v4, v4, v6
	;; [unrolled: 2-line block ×3, first 2 shown]
	ds_write_b32 v10, v4
.LBB46_31:                              ;   in Loop: Header=BB46_13 Depth=1
	s_or_b64 exec, exec, s[8:9]
	s_waitcnt lgkmcnt(0)
	s_barrier
	s_and_saveexec_b64 s[34:35], s[6:7]
	s_cbranch_execz .LBB46_12
; %bb.32:                               ;   in Loop: Header=BB46_13 Depth=1
	s_mov_b64 s[36:37], exec
	v_mbcnt_lo_u32_b32 v4, s36, 0
	v_mbcnt_hi_u32_b32 v4, s37, v4
	v_cmp_eq_u32_e64 s[8:9], 0, v4
	s_and_b64 s[8:9], exec, s[8:9]
	s_mov_b64 exec, s[8:9]
	s_cbranch_execz .LBB46_12
; %bb.33:                               ;   in Loop: Header=BB46_13 Depth=1
	ds_read_b32 v4, v8
	s_add_u32 s8, s10, s30
	s_addc_u32 s9, s11, s31
	s_bcnt1_i32_b64 s29, s[36:37]
	s_waitcnt lgkmcnt(0)
	v_mul_lo_u32 v4, v4, s40
	v_mul_lo_u32 v4, v4, s29
	global_atomic_add v8, v4, s[8:9]
	s_branch .LBB46_12
.LBB46_34:
	s_ashr_i32 s3, s20, 31
	s_mov_b32 s2, s20
	s_lshl_b64 s[2:3], s[2:3], 2
	s_add_u32 s2, s12, s2
	s_addc_u32 s3, s13, s3
	s_ashr_i32 s5, s21, 31
	s_mov_b32 s4, s21
	s_lshl_b64 s[4:5], s[4:5], 2
	s_add_u32 s4, s12, s4
	s_addc_u32 s5, s13, s5
	s_load_dword s6, s[4:5], 0x0
	s_load_dword s7, s[2:3], 0x0
	s_waitcnt lgkmcnt(0)
	s_sub_i32 s26, s6, s22
	v_add_u32_e32 v4, s7, v2
	v_cmp_gt_i32_e32 vcc, s26, v4
	s_and_saveexec_b64 s[6:7], vcc
	s_cbranch_execz .LBB46_43
; %bb.35:
	s_add_i32 s27, s21, -1
	s_cmp_lt_i32 s20, s27
	s_cselect_b64 s[2:3], -1, 0
	s_add_i32 s4, s21, -2
	s_cmp_lg_u32 s20, s4
	s_cselect_b64 s[4:5], -1, 0
	s_and_b64 s[2:3], s[2:3], s[4:5]
	v_cndmask_b32_e64 v1, 0, 1, s[2:3]
	s_mov_b64 s[8:9], 0
	v_cmp_ne_u32_e64 s[2:3], 1, v1
	s_branch .LBB46_37
.LBB46_36:                              ;   in Loop: Header=BB46_37 Depth=1
	s_or_b64 exec, exec, s[4:5]
	v_add_u32_e32 v4, 0x100, v4
	v_cmp_le_i32_e32 vcc, s26, v4
	s_or_b64 s[8:9], vcc, s[8:9]
	s_andn2_b64 exec, exec, s[8:9]
	s_cbranch_execz .LBB46_43
.LBB46_37:                              ; =>This Loop Header: Depth=1
                                        ;     Child Loop BB46_39 Depth 2
	s_and_b64 vcc, exec, s[2:3]
	v_mov_b32_e32 v1, s20
	v_mov_b32_e32 v6, s27
	s_cbranch_vccnz .LBB46_41
; %bb.38:                               ;   in Loop: Header=BB46_37 Depth=1
	s_mov_b64 s[24:25], 0
	v_mov_b32_e32 v1, s20
	v_mov_b32_e32 v6, s27
.LBB46_39:                              ;   Parent Loop BB46_37 Depth=1
                                        ; =>  This Inner Loop Header: Depth=2
	v_add_u32_e32 v3, v6, v1
	v_lshrrev_b32_e32 v5, 31, v3
	v_add_u32_e32 v3, v3, v5
	v_ashrrev_i32_e32 v8, 1, v3
	v_ashrrev_i32_e32 v9, 31, v8
	v_lshl_add_u64 v[12:13], v[8:9], 2, s[12:13]
	global_load_dword v3, v[12:13], off
	s_waitcnt vmcnt(0)
	v_subrev_u32_e32 v3, s22, v3
	v_cmp_lt_i32_e32 vcc, v4, v3
	s_nop 1
	v_cndmask_b32_e32 v6, v6, v8, vcc
	v_cndmask_b32_e32 v1, v8, v1, vcc
	v_add_u32_e32 v3, -1, v6
	v_cmp_ge_i32_e32 vcc, v1, v6
	v_cmp_eq_u32_e64 s[4:5], v1, v3
	s_or_b64 s[4:5], vcc, s[4:5]
	s_and_b64 s[4:5], exec, s[4:5]
	s_or_b64 s[24:25], s[4:5], s[24:25]
	s_andn2_b64 exec, exec, s[24:25]
	s_cbranch_execnz .LBB46_39
; %bb.40:                               ;   in Loop: Header=BB46_37 Depth=1
	s_or_b64 exec, exec, s[24:25]
.LBB46_41:                              ;   in Loop: Header=BB46_37 Depth=1
	v_ashrrev_i32_e32 v7, 31, v6
	v_lshl_add_u64 v[8:9], v[6:7], 2, s[12:13]
	global_load_dword v3, v[8:9], off
	v_ashrrev_i32_e32 v5, 31, v4
	v_lshl_add_u64 v[8:9], v[4:5], 2, s[14:15]
	global_load_dword v7, v[8:9], off
	s_waitcnt vmcnt(1)
	v_subrev_u32_e32 v3, s22, v3
	v_cmp_lt_i32_e32 vcc, v4, v3
	s_nop 1
	v_cndmask_b32_e32 v8, v6, v1, vcc
	s_waitcnt vmcnt(0)
	v_subrev_u32_e32 v6, s22, v7
	v_cmp_ne_u32_e32 vcc, v6, v8
	s_and_saveexec_b64 s[4:5], vcc
	s_cbranch_execz .LBB46_36
; %bb.42:                               ;   in Loop: Header=BB46_37 Depth=1
	v_lshl_add_u64 v[12:13], s[16:17], 0, v[4:5]
	v_ashrrev_i32_e32 v9, 31, v8
	global_load_sbyte v1, v[12:13], off
	v_lshl_add_u64 v[8:9], s[18:19], 0, v[8:9]
	global_load_sbyte v3, v[8:9], off
	v_ashrrev_i32_e32 v7, 31, v6
	v_lshl_add_u64 v[6:7], v[6:7], 2, s[10:11]
	s_waitcnt vmcnt(1)
	v_mul_lo_u32 v1, s40, v1
	s_waitcnt vmcnt(0)
	v_mul_lo_u32 v1, v1, v3
	global_atomic_add v[6:7], v1, off
	s_branch .LBB46_36
.LBB46_43:
	s_or_b64 exec, exec, s[6:7]
	s_mov_b64 s[2:3], 0
.LBB46_44:
	s_and_b64 vcc, exec, s[2:3]
	s_cbranch_vccz .LBB46_173
; %bb.45:
	v_cvt_f32_u32_e32 v1, s23
	s_ashr_i32 s3, s20, 31
	s_mov_b32 s2, s20
	s_sub_i32 s8, 0, s23
	v_rcp_iflag_f32_e32 v1, v1
	s_lshl_b64 s[2:3], s[2:3], 2
	s_add_u32 s4, s12, s2
	s_addc_u32 s5, s13, s3
	v_mul_f32_e32 v1, 0x4f7ffffe, v1
	v_cvt_u32_f32_e32 v1, v1
	s_load_dword s33, s[4:5], 0x0
	s_load_dwordx2 s[6:7], s[0:1], 0x4
	s_load_dword s34, s[0:1], 0x64
	s_waitcnt lgkmcnt(0)
	v_add_u32_e32 v2, s33, v2
	v_readfirstlane_b32 s35, v1
	s_mul_i32 s8, s8, s35
	v_add_u32_e32 v11, 0x300, v2
	s_mul_hi_u32 s36, s35, s8
	v_cmp_le_i32_e32 vcc, s6, v11
	s_and_saveexec_b64 s[0:1], vcc
	s_xor_b64 s[2:3], exec, s[0:1]
	s_cbranch_execz .LBB46_57
; %bb.46:
	s_ashr_i32 s1, s21, 31
	s_mov_b32 s0, s21
	s_lshl_b64 s[0:1], s[0:1], 2
	s_add_u32 s0, s12, s0
	s_addc_u32 s1, s13, s1
	s_load_dword s24, s[0:1], 0x0
	s_waitcnt lgkmcnt(0)
	s_sub_i32 s6, s24, s33
	v_cmp_gt_i32_e64 s[0:1], s6, v0
	s_and_saveexec_b64 s[8:9], s[0:1]
	s_cbranch_execz .LBB46_56
; %bb.47:
	v_xad_u32 v1, v0, -1, s24
	v_subrev_u32_e32 v3, s33, v1
	s_movk_i32 s0, 0xf00
	v_cmp_gt_u32_e64 s[24:25], s0, v3
	s_movk_i32 s0, 0xeff
	v_cmp_lt_u32_e64 s[0:1], s0, v3
	v_mov_b32_e32 v1, 0
	s_and_saveexec_b64 s[26:27], s[0:1]
	s_cbranch_execz .LBB46_53
; %bb.48:
	v_and_b32_e32 v1, 0xffffff00, v3
	v_add_u32_e32 v1, v2, v1
	v_cmp_ge_i32_e64 s[0:1], v1, v2
	s_mov_b64 s[30:31], -1
	v_mov_b32_e32 v1, 0
	s_and_saveexec_b64 s[28:29], s[0:1]
	s_cbranch_execz .LBB46_52
; %bb.49:
	v_lshrrev_b32_e32 v1, 8, v3
	v_add_u32_e32 v3, 1, v1
	v_and_b32_e32 v4, 0x1fffffe, v3
	v_mov_b32_e32 v1, v2
	s_mov_b32 s37, s40
	s_movk_i32 s38, 0x100
	s_mov_b32 s39, 0
	s_mov_b64 s[30:31], 0
	v_mov_b32_e32 v5, v4
	v_mov_b32_e32 v6, v10
.LBB46_50:                              ; =>This Inner Loop Header: Depth=1
	v_add_u32_e32 v12, s38, v1
	v_add_u32_e32 v8, s39, v2
	v_ashrrev_i32_e32 v13, 31, v12
	v_ashrrev_i32_e32 v9, 31, v8
	v_lshl_add_u64 v[12:13], s[16:17], 0, v[12:13]
	v_lshl_add_u64 v[8:9], s[16:17], 0, v[8:9]
	global_load_sbyte v7, v[12:13], off
	global_load_sbyte v14, v[8:9], off
	v_add_u32_e32 v5, -2, v5
	s_addk_i32 s39, 0x200
	s_addk_i32 s38, 0x200
	v_cmp_eq_u32_e64 s[0:1], 0, v5
	s_or_b64 s[30:31], s[0:1], s[30:31]
	s_waitcnt vmcnt(1)
	v_mul_lo_u32 v7, s37, v7
	s_waitcnt vmcnt(0)
	v_mul_lo_u32 v8, s40, v14
	ds_write2st64_b32 v6, v8, v7 offset1:4
	v_add_u32_e32 v6, 0x800, v6
	s_andn2_b64 exec, exec, s[30:31]
	s_cbranch_execnz .LBB46_50
; %bb.51:
	s_or_b64 exec, exec, s[30:31]
	v_cmp_ne_u32_e64 s[0:1], v3, v4
	v_lshlrev_b32_e32 v1, 8, v4
	s_orn2_b64 s[30:31], s[0:1], exec
.LBB46_52:
	s_or_b64 exec, exec, s[28:29]
	s_andn2_b64 s[0:1], s[24:25], exec
	s_and_b64 s[24:25], s[30:31], exec
	s_or_b64 s[24:25], s[0:1], s[24:25]
.LBB46_53:
	s_or_b64 exec, exec, s[26:27]
	s_and_b64 exec, exec, s[24:25]
	s_cbranch_execz .LBB46_56
; %bb.54:
	v_add_u32_e32 v3, v0, v1
	v_lshlrev_b32_e32 v1, 2, v1
	v_lshl_add_u32 v1, v0, 2, v1
	s_sub_i32 s26, s33, s22
	s_mov_b64 s[24:25], 0
.LBB46_55:                              ; =>This Inner Loop Header: Depth=1
	v_add_u32_e32 v4, s26, v3
	v_ashrrev_i32_e32 v5, 31, v4
	v_lshl_add_u64 v[4:5], s[16:17], 0, v[4:5]
	global_load_sbyte v4, v[4:5], off
	v_add_u32_e32 v3, 0x100, v3
	v_cmp_le_i32_e64 s[0:1], s6, v3
	s_or_b64 s[24:25], s[0:1], s[24:25]
	s_waitcnt vmcnt(0)
	v_mul_lo_u32 v4, s40, v4
	ds_write_b32 v1, v4
	v_add_u32_e32 v1, 0x400, v1
	s_andn2_b64 exec, exec, s[24:25]
	s_cbranch_execnz .LBB46_55
.LBB46_56:
	s_or_b64 exec, exec, s[8:9]
.LBB46_57:
	s_or_saveexec_b64 s[0:1], s[2:3]
	s_and_b32 s28, s34, 0xffff
	s_add_i32 s35, s35, s36
	v_ashrrev_i32_e32 v3, 31, v2
	s_xor_b64 exec, exec, s[0:1]
	s_cbranch_execz .LBB46_59
; %bb.58:
	v_lshl_add_u64 v[4:5], s[16:17], 0, v[2:3]
	global_load_sbyte v1, v[4:5], off
	global_load_sbyte v6, v[4:5], off offset:256
	global_load_sbyte v7, v[4:5], off offset:512
	;; [unrolled: 1-line block ×3, first 2 shown]
	s_waitcnt vmcnt(3)
	v_mul_lo_u32 v1, s40, v1
	s_waitcnt vmcnt(2)
	v_mul_lo_u32 v4, s40, v6
	;; [unrolled: 2-line block ×4, first 2 shown]
	ds_write2st64_b32 v10, v1, v4 offset1:4
	ds_write2st64_b32 v10, v5, v6 offset0:8 offset1:12
.LBB46_59:
	s_or_b64 exec, exec, s[0:1]
	s_mul_hi_u32 s6, s28, s35
	v_cmp_gt_i32_e64 s[0:1], s7, v0
	s_and_saveexec_b64 s[2:3], s[0:1]
	s_cbranch_execz .LBB46_62
; %bb.60:
	v_mov_b32_e32 v1, 0x1000
	v_lshl_add_u32 v1, v0, 2, v1
	s_mov_b64 s[8:9], 0
	v_mov_b32_e32 v4, 0
	v_mov_b32_e32 v5, v0
.LBB46_61:                              ; =>This Inner Loop Header: Depth=1
	v_add_u32_e32 v5, 0x100, v5
	v_cmp_le_i32_e64 s[0:1], s7, v5
	ds_write_b32 v1, v4
	s_or_b64 s[8:9], s[0:1], s[8:9]
	v_add_u32_e32 v1, 0x400, v1
	s_andn2_b64 exec, exec, s[8:9]
	s_cbranch_execnz .LBB46_61
.LBB46_62:
	s_or_b64 exec, exec, s[2:3]
	s_sub_i32 s0, s21, s7
	s_cmp_ge_i32 s21, s7
	s_cselect_b32 s29, s0, 0
	s_waitcnt lgkmcnt(0)
	s_barrier
	s_and_saveexec_b64 s[0:1], vcc
	s_xor_b64 s[8:9], exec, s[0:1]
	s_cbranch_execz .LBB46_79
; %bb.63:
	s_ashr_i32 s1, s21, 31
	s_mov_b32 s0, s21
	s_lshl_b64 s[0:1], s[0:1], 2
	s_add_u32 s0, s12, s0
	s_addc_u32 s1, s13, s1
	s_load_dword s0, s[0:1], 0x0
	s_waitcnt lgkmcnt(0)
	s_sub_i32 s30, s0, s33
	v_cmp_gt_i32_e32 vcc, s30, v0
	s_and_saveexec_b64 s[16:17], vcc
	s_cbranch_execz .LBB46_78
; %bb.64:
	s_add_i32 s31, s21, -1
	s_add_i32 s1, s21, -2
	s_cmp_lg_u32 s20, s1
	s_cselect_b64 s[2:3], -1, 0
	v_cndmask_b32_e64 v1, 0, 1, s[2:3]
	s_sub_i32 s34, s0, s22
	s_mov_b32 s35, 0
	s_mov_b64 s[24:25], 0
	v_cmp_ne_u32_e64 s[0:1], 1, v1
	v_mov_b32_e32 v1, 0x1000
	s_branch .LBB46_67
.LBB46_65:                              ;   in Loop: Header=BB46_67 Depth=1
	s_or_b64 exec, exec, s[2:3]
.LBB46_66:                              ;   in Loop: Header=BB46_67 Depth=1
	s_or_b64 exec, exec, s[26:27]
	v_ashrrev_i32_e32 v5, 31, v4
	v_lshl_add_u64 v[4:5], s[18:19], 0, v[4:5]
	global_load_sbyte v4, v[4:5], off
	s_addk_i32 s35, 0x100
	v_add_u32_e32 v5, s35, v0
	v_cmp_le_i32_e32 vcc, s30, v5
	s_or_b64 s[24:25], vcc, s[24:25]
	s_waitcnt vmcnt(0) lgkmcnt(0)
	v_mul_lo_u32 v4, v7, v4
	ds_write_b32 v3, v4
	s_andn2_b64 exec, exec, s[24:25]
	s_cbranch_execz .LBB46_78
.LBB46_67:                              ; =>This Loop Header: Depth=1
                                        ;     Child Loop BB46_69 Depth 2
	v_add_u32_e32 v6, s35, v2
	s_and_b64 vcc, exec, s[0:1]
	v_mov_b32_e32 v3, s20
	v_mov_b32_e32 v8, s31
	s_cbranch_vccnz .LBB46_71
; %bb.68:                               ;   in Loop: Header=BB46_67 Depth=1
	s_mov_b64 s[26:27], 0
	v_mov_b32_e32 v3, s20
	v_mov_b32_e32 v8, s31
.LBB46_69:                              ;   Parent Loop BB46_67 Depth=1
                                        ; =>  This Inner Loop Header: Depth=2
	v_add_u32_e32 v4, v8, v3
	v_lshrrev_b32_e32 v5, 31, v4
	v_add_u32_e32 v4, v4, v5
	v_ashrrev_i32_e32 v4, 1, v4
	v_ashrrev_i32_e32 v5, 31, v4
	v_lshl_add_u64 v[12:13], v[4:5], 2, s[12:13]
	global_load_dword v5, v[12:13], off
	s_waitcnt vmcnt(0)
	v_subrev_u32_e32 v5, s22, v5
	v_cmp_lt_i32_e32 vcc, v6, v5
	s_nop 1
	v_cndmask_b32_e32 v8, v8, v4, vcc
	v_cndmask_b32_e32 v3, v4, v3, vcc
	v_add_u32_e32 v4, -1, v8
	v_cmp_ge_i32_e32 vcc, v3, v8
	v_cmp_eq_u32_e64 s[2:3], v3, v4
	s_or_b64 s[2:3], vcc, s[2:3]
	s_and_b64 s[2:3], exec, s[2:3]
	s_or_b64 s[26:27], s[2:3], s[26:27]
	s_andn2_b64 exec, exec, s[26:27]
	s_cbranch_execnz .LBB46_69
; %bb.70:                               ;   in Loop: Header=BB46_67 Depth=1
	s_or_b64 exec, exec, s[26:27]
.LBB46_71:                              ;   in Loop: Header=BB46_67 Depth=1
	v_ashrrev_i32_e32 v9, 31, v8
	v_lshl_add_u64 v[4:5], v[8:9], 2, s[12:13]
	global_load_dword v9, v[4:5], off
	v_ashrrev_i32_e32 v7, 31, v6
	v_lshl_add_u64 v[4:5], v[6:7], 2, s[14:15]
	global_load_dword v4, v[4:5], off
	v_cmp_le_i32_e32 vcc, s34, v6
                                        ; implicit-def: $vgpr7
	s_waitcnt vmcnt(1)
	v_subrev_u32_e32 v5, s22, v9
	v_cmp_lt_i32_e64 s[2:3], v6, v5
	s_waitcnt vmcnt(0)
	v_subrev_u32_e32 v4, s22, v4
	v_cndmask_b32_e64 v6, v8, v3, s[2:3]
	v_cmp_eq_u32_e64 s[2:3], v4, v6
	s_or_b64 s[2:3], s[2:3], vcc
	v_lshl_add_u32 v3, s35, 2, v10
	s_and_saveexec_b64 s[26:27], s[2:3]
	s_xor_b64 s[2:3], exec, s[26:27]
; %bb.72:                               ;   in Loop: Header=BB46_67 Depth=1
	ds_read_b32 v7, v3
                                        ; implicit-def: $vgpr6
; %bb.73:                               ;   in Loop: Header=BB46_67 Depth=1
	s_andn2_saveexec_b64 s[26:27], s[2:3]
	s_cbranch_execz .LBB46_66
; %bb.74:                               ;   in Loop: Header=BB46_67 Depth=1
	s_waitcnt lgkmcnt(0)
	v_ashrrev_i32_e32 v7, 31, v6
	v_lshl_add_u64 v[6:7], s[18:19], 0, v[6:7]
	global_load_sbyte v5, v[6:7], off
	ds_read_b32 v7, v3
	v_cmp_gt_i32_e32 vcc, s29, v4
	v_cmp_le_i32_e64 s[2:3], s21, v4
	s_or_b64 s[2:3], vcc, s[2:3]
	s_waitcnt vmcnt(0) lgkmcnt(0)
	v_mul_lo_u32 v6, v7, v5
	s_and_saveexec_b64 s[36:37], s[2:3]
	s_xor_b64 s[2:3], exec, s[36:37]
	s_cbranch_execz .LBB46_76
; %bb.75:                               ;   in Loop: Header=BB46_67 Depth=1
	v_ashrrev_i32_e32 v5, 31, v4
	v_lshl_add_u64 v[8:9], v[4:5], 2, s[10:11]
	global_atomic_add v[8:9], v6, off
                                        ; implicit-def: $vgpr6
.LBB46_76:                              ;   in Loop: Header=BB46_67 Depth=1
	s_andn2_saveexec_b64 s[2:3], s[2:3]
	s_cbranch_execz .LBB46_65
; %bb.77:                               ;   in Loop: Header=BB46_67 Depth=1
	v_subrev_u32_e32 v5, s29, v4
	v_lshl_add_u32 v5, v5, 2, v1
	ds_add_u32 v5, v6
	s_branch .LBB46_65
.LBB46_78:
	s_or_b64 exec, exec, s[16:17]
                                        ; implicit-def: $vgpr11
                                        ; implicit-def: $vgpr2
.LBB46_79:
	s_andn2_saveexec_b64 s[8:9], s[8:9]
	s_cbranch_execz .LBB46_133
; %bb.80:
	s_add_i32 s26, s21, -1
	s_add_i32 s0, s21, -2
	s_cmp_lg_u32 s20, s0
	s_cselect_b64 s[2:3], -1, 0
	s_cmp_eq_u32 s20, s0
	v_mov_b32_e32 v1, s20
	v_mov_b32_e32 v6, s26
	s_cbranch_scc1 .LBB46_84
; %bb.81:
	s_mov_b64 s[16:17], 0
	v_mov_b32_e32 v1, s20
	v_mov_b32_e32 v6, s26
.LBB46_82:                              ; =>This Inner Loop Header: Depth=1
	v_add_u32_e32 v4, v6, v1
	v_lshrrev_b32_e32 v5, 31, v4
	v_add_u32_e32 v4, v4, v5
	v_ashrrev_i32_e32 v4, 1, v4
	v_ashrrev_i32_e32 v5, 31, v4
	v_lshl_add_u64 v[8:9], v[4:5], 2, s[12:13]
	global_load_dword v5, v[8:9], off
	s_waitcnt vmcnt(0)
	v_subrev_u32_e32 v5, s22, v5
	v_cmp_lt_i32_e32 vcc, v2, v5
	s_nop 1
	v_cndmask_b32_e32 v6, v6, v4, vcc
	v_cndmask_b32_e32 v1, v4, v1, vcc
	v_add_u32_e32 v4, -1, v6
	v_cmp_ge_i32_e32 vcc, v1, v6
	v_cmp_eq_u32_e64 s[0:1], v1, v4
	s_or_b64 s[0:1], vcc, s[0:1]
	s_and_b64 s[0:1], exec, s[0:1]
	s_or_b64 s[16:17], s[0:1], s[16:17]
	s_andn2_b64 exec, exec, s[16:17]
	s_cbranch_execnz .LBB46_82
; %bb.83:
	s_or_b64 exec, exec, s[16:17]
.LBB46_84:
	v_ashrrev_i32_e32 v7, 31, v6
	v_lshl_add_u64 v[4:5], v[6:7], 2, s[12:13]
	global_load_dword v7, v[4:5], off
	v_lshl_add_u64 v[4:5], v[2:3], 2, s[14:15]
	global_load_dword v3, v[4:5], off
	s_ashr_i32 s1, s21, 31
	s_mov_b32 s0, s21
	s_lshl_b64 s[0:1], s[0:1], 2
	s_add_u32 s14, s12, s0
	s_addc_u32 s15, s13, s1
	s_waitcnt vmcnt(1)
	v_subrev_u32_e32 v7, s22, v7
	v_cmp_lt_i32_e32 vcc, v2, v7
	s_nop 1
	v_cndmask_b32_e32 v8, v6, v1, vcc
	s_waitcnt vmcnt(0)
	v_subrev_u32_e32 v6, s22, v3
	v_cmp_ne_u32_e32 vcc, v6, v8
                                        ; implicit-def: $vgpr3
	s_and_saveexec_b64 s[0:1], vcc
	s_xor_b64 s[16:17], exec, s[0:1]
	s_cbranch_execz .LBB46_91
; %bb.85:
	s_load_dword s0, s[14:15], 0x0
	ds_read_b32 v3, v10
	s_waitcnt lgkmcnt(0)
	s_sub_i32 s0, s0, s22
	v_cmp_gt_i32_e32 vcc, s0, v2
	s_and_saveexec_b64 s[24:25], vcc
	s_cbranch_execz .LBB46_90
; %bb.86:
	v_ashrrev_i32_e32 v9, 31, v8
	v_lshl_add_u64 v[8:9], s[18:19], 0, v[8:9]
	global_load_sbyte v1, v[8:9], off
	v_cmp_gt_i32_e32 vcc, s29, v6
	v_cmp_le_i32_e64 s[0:1], s21, v6
	s_or_b64 s[0:1], vcc, s[0:1]
	s_waitcnt vmcnt(0)
	v_mul_lo_u32 v1, v3, v1
	s_and_saveexec_b64 s[30:31], s[0:1]
	s_xor_b64 s[0:1], exec, s[30:31]
	s_cbranch_execz .LBB46_88
; %bb.87:
	v_ashrrev_i32_e32 v7, 31, v6
	v_lshl_add_u64 v[8:9], v[6:7], 2, s[10:11]
	global_atomic_add v[8:9], v1, off
                                        ; implicit-def: $vgpr1
.LBB46_88:
	s_andn2_saveexec_b64 s[0:1], s[0:1]
; %bb.89:
	v_subrev_u32_e32 v7, s29, v6
	v_mov_b32_e32 v8, 0x1000
	v_lshl_add_u32 v7, v7, 2, v8
	ds_add_u32 v7, v1
.LBB46_90:
	s_or_b64 exec, exec, s[24:25]
.LBB46_91:
	s_andn2_saveexec_b64 s[0:1], s[16:17]
; %bb.92:
	ds_read_b32 v3, v10
; %bb.93:
	s_or_b64 exec, exec, s[0:1]
	v_ashrrev_i32_e32 v7, 31, v6
	v_lshl_add_u64 v[6:7], s[18:19], 0, v[6:7]
	global_load_sbyte v6, v[6:7], off
	v_cndmask_b32_e64 v7, 0, 1, s[2:3]
	v_add_u32_e32 v1, 0x100, v2
	v_mov_b32_e32 v8, s20
	v_cmp_ne_u32_e64 s[0:1], 1, v7
	s_andn2_b64 vcc, exec, s[2:3]
	s_waitcnt vmcnt(0) lgkmcnt(0)
	v_mul_lo_u32 v3, v3, v6
	v_mov_b32_e32 v6, s26
	ds_write_b32 v10, v3
	s_cbranch_vccnz .LBB46_97
; %bb.94:
	s_mov_b64 s[16:17], 0
	v_mov_b32_e32 v8, s20
	v_mov_b32_e32 v6, s26
.LBB46_95:                              ; =>This Inner Loop Header: Depth=1
	v_add_u32_e32 v3, v6, v8
	v_lshrrev_b32_e32 v7, 31, v3
	v_add_u32_e32 v3, v3, v7
	v_ashrrev_i32_e32 v12, 1, v3
	v_ashrrev_i32_e32 v13, 31, v12
	v_lshl_add_u64 v[14:15], v[12:13], 2, s[12:13]
	global_load_dword v3, v[14:15], off
	s_waitcnt vmcnt(0)
	v_subrev_u32_e32 v3, s22, v3
	v_cmp_lt_i32_e32 vcc, v1, v3
	s_nop 1
	v_cndmask_b32_e32 v6, v6, v12, vcc
	v_cndmask_b32_e32 v8, v12, v8, vcc
	v_add_u32_e32 v3, -1, v6
	v_cmp_ge_i32_e32 vcc, v8, v6
	v_cmp_eq_u32_e64 s[2:3], v8, v3
	s_or_b64 s[2:3], vcc, s[2:3]
	s_and_b64 s[2:3], exec, s[2:3]
	s_or_b64 s[16:17], s[2:3], s[16:17]
	s_andn2_b64 exec, exec, s[16:17]
	s_cbranch_execnz .LBB46_95
; %bb.96:
	s_or_b64 exec, exec, s[16:17]
.LBB46_97:
	v_ashrrev_i32_e32 v7, 31, v6
	v_lshl_add_u64 v[12:13], v[6:7], 2, s[12:13]
	global_load_dword v3, v[12:13], off
	global_load_dword v7, v[4:5], off offset:1024
	s_waitcnt vmcnt(1)
	v_subrev_u32_e32 v3, s22, v3
	v_cmp_lt_i32_e32 vcc, v1, v3
                                        ; implicit-def: $vgpr3
	s_nop 1
	v_cndmask_b32_e32 v8, v6, v8, vcc
	s_waitcnt vmcnt(0)
	v_subrev_u32_e32 v6, s22, v7
	v_cmp_ne_u32_e32 vcc, v6, v8
	s_and_saveexec_b64 s[2:3], vcc
	s_xor_b64 s[16:17], exec, s[2:3]
	s_cbranch_execz .LBB46_104
; %bb.98:
	s_load_dword s2, s[14:15], 0x0
	ds_read_b32 v3, v10 offset:1024
	s_waitcnt lgkmcnt(0)
	s_sub_i32 s2, s2, s22
	v_cmp_gt_i32_e32 vcc, s2, v1
	s_and_saveexec_b64 s[24:25], vcc
	s_cbranch_execz .LBB46_103
; %bb.99:
	v_ashrrev_i32_e32 v9, 31, v8
	v_lshl_add_u64 v[8:9], s[18:19], 0, v[8:9]
	global_load_sbyte v1, v[8:9], off
	v_cmp_gt_i32_e32 vcc, s29, v6
	v_cmp_le_i32_e64 s[2:3], s21, v6
	s_or_b64 s[2:3], vcc, s[2:3]
	s_waitcnt vmcnt(0)
	v_mul_lo_u32 v1, v3, v1
	s_and_saveexec_b64 s[30:31], s[2:3]
	s_xor_b64 s[2:3], exec, s[30:31]
	s_cbranch_execz .LBB46_101
; %bb.100:
	v_ashrrev_i32_e32 v7, 31, v6
	v_lshl_add_u64 v[8:9], v[6:7], 2, s[10:11]
	global_atomic_add v[8:9], v1, off
                                        ; implicit-def: $vgpr1
.LBB46_101:
	s_andn2_saveexec_b64 s[2:3], s[2:3]
; %bb.102:
	v_subrev_u32_e32 v7, s29, v6
	v_mov_b32_e32 v8, 0x1000
	v_lshl_add_u32 v7, v7, 2, v8
	ds_add_u32 v7, v1
.LBB46_103:
	s_or_b64 exec, exec, s[24:25]
.LBB46_104:
	s_andn2_saveexec_b64 s[2:3], s[16:17]
; %bb.105:
	ds_read_b32 v3, v10 offset:1024
; %bb.106:
	s_or_b64 exec, exec, s[2:3]
	v_ashrrev_i32_e32 v7, 31, v6
	v_lshl_add_u64 v[6:7], s[18:19], 0, v[6:7]
	global_load_sbyte v7, v[6:7], off
	v_add_u32_e32 v1, 0x200, v2
	s_and_b64 vcc, exec, s[0:1]
	v_mov_b32_e32 v6, s20
	s_waitcnt vmcnt(0) lgkmcnt(0)
	v_mul_lo_u32 v2, v3, v7
	ds_write_b32 v10, v2 offset:1024
	v_mov_b32_e32 v2, s26
	s_cbranch_vccnz .LBB46_110
; %bb.107:
	s_mov_b64 s[16:17], 0
	v_mov_b32_e32 v6, s20
	v_mov_b32_e32 v2, s26
.LBB46_108:                             ; =>This Inner Loop Header: Depth=1
	v_add_u32_e32 v3, v2, v6
	v_lshrrev_b32_e32 v7, 31, v3
	v_add_u32_e32 v3, v3, v7
	v_ashrrev_i32_e32 v8, 1, v3
	v_ashrrev_i32_e32 v9, 31, v8
	v_lshl_add_u64 v[12:13], v[8:9], 2, s[12:13]
	global_load_dword v3, v[12:13], off
	s_waitcnt vmcnt(0)
	v_subrev_u32_e32 v3, s22, v3
	v_cmp_lt_i32_e32 vcc, v1, v3
	s_nop 1
	v_cndmask_b32_e32 v2, v2, v8, vcc
	v_cndmask_b32_e32 v6, v8, v6, vcc
	v_add_u32_e32 v3, -1, v2
	v_cmp_ge_i32_e32 vcc, v6, v2
	v_cmp_eq_u32_e64 s[2:3], v6, v3
	s_or_b64 s[2:3], vcc, s[2:3]
	s_and_b64 s[2:3], exec, s[2:3]
	s_or_b64 s[16:17], s[2:3], s[16:17]
	s_andn2_b64 exec, exec, s[16:17]
	s_cbranch_execnz .LBB46_108
; %bb.109:
	s_or_b64 exec, exec, s[16:17]
.LBB46_110:
	v_ashrrev_i32_e32 v3, 31, v2
	v_lshl_add_u64 v[8:9], v[2:3], 2, s[12:13]
	global_load_dword v3, v[8:9], off
	global_load_dword v7, v[4:5], off offset:2048
                                        ; implicit-def: $vgpr8
	s_waitcnt vmcnt(1)
	v_subrev_u32_e32 v3, s22, v3
	v_cmp_lt_i32_e32 vcc, v1, v3
	s_nop 1
	v_cndmask_b32_e32 v6, v2, v6, vcc
	s_waitcnt vmcnt(0)
	v_subrev_u32_e32 v2, s22, v7
	v_cmp_ne_u32_e32 vcc, v2, v6
	s_and_saveexec_b64 s[2:3], vcc
	s_xor_b64 s[16:17], exec, s[2:3]
	s_cbranch_execz .LBB46_117
; %bb.111:
	s_load_dword s2, s[14:15], 0x0
	ds_read_b32 v8, v10 offset:2048
	s_waitcnt lgkmcnt(0)
	s_sub_i32 s2, s2, s22
	v_cmp_gt_i32_e32 vcc, s2, v1
	s_and_saveexec_b64 s[24:25], vcc
	s_cbranch_execz .LBB46_116
; %bb.112:
	v_ashrrev_i32_e32 v7, 31, v6
	v_lshl_add_u64 v[6:7], s[18:19], 0, v[6:7]
	global_load_sbyte v1, v[6:7], off
	v_cmp_gt_i32_e32 vcc, s29, v2
	v_cmp_le_i32_e64 s[2:3], s21, v2
	s_or_b64 s[2:3], vcc, s[2:3]
	s_waitcnt vmcnt(0)
	v_mul_lo_u32 v1, v8, v1
	s_and_saveexec_b64 s[30:31], s[2:3]
	s_xor_b64 s[2:3], exec, s[30:31]
	s_cbranch_execz .LBB46_114
; %bb.113:
	v_ashrrev_i32_e32 v3, 31, v2
	v_lshl_add_u64 v[6:7], v[2:3], 2, s[10:11]
	global_atomic_add v[6:7], v1, off
                                        ; implicit-def: $vgpr1
.LBB46_114:
	s_andn2_saveexec_b64 s[2:3], s[2:3]
; %bb.115:
	v_subrev_u32_e32 v3, s29, v2
	v_mov_b32_e32 v6, 0x1000
	v_lshl_add_u32 v3, v3, 2, v6
	ds_add_u32 v3, v1
.LBB46_116:
	s_or_b64 exec, exec, s[24:25]
.LBB46_117:
	s_andn2_saveexec_b64 s[2:3], s[16:17]
; %bb.118:
	ds_read_b32 v8, v10 offset:2048
; %bb.119:
	s_or_b64 exec, exec, s[2:3]
	v_ashrrev_i32_e32 v3, 31, v2
	v_lshl_add_u64 v[2:3], s[18:19], 0, v[2:3]
	global_load_sbyte v2, v[2:3], off
	s_and_b64 vcc, exec, s[0:1]
	v_mov_b32_e32 v1, s20
	s_waitcnt vmcnt(0) lgkmcnt(0)
	v_mul_lo_u32 v2, v8, v2
	ds_write_b32 v10, v2 offset:2048
	v_mov_b32_e32 v2, s26
	s_cbranch_vccnz .LBB46_123
; %bb.120:
	s_mov_b64 s[2:3], 0
	v_mov_b32_e32 v1, s20
	v_mov_b32_e32 v2, s26
.LBB46_121:                             ; =>This Inner Loop Header: Depth=1
	v_add_u32_e32 v3, v2, v1
	v_lshrrev_b32_e32 v6, 31, v3
	v_add_u32_e32 v3, v3, v6
	v_ashrrev_i32_e32 v6, 1, v3
	v_ashrrev_i32_e32 v7, 31, v6
	v_lshl_add_u64 v[8:9], v[6:7], 2, s[12:13]
	global_load_dword v3, v[8:9], off
	s_waitcnt vmcnt(0)
	v_subrev_u32_e32 v3, s22, v3
	v_cmp_lt_i32_e32 vcc, v11, v3
	s_nop 1
	v_cndmask_b32_e32 v2, v2, v6, vcc
	v_cndmask_b32_e32 v1, v6, v1, vcc
	v_add_u32_e32 v3, -1, v2
	v_cmp_ge_i32_e32 vcc, v1, v2
	v_cmp_eq_u32_e64 s[0:1], v1, v3
	s_or_b64 s[0:1], vcc, s[0:1]
	s_and_b64 s[0:1], exec, s[0:1]
	s_or_b64 s[2:3], s[0:1], s[2:3]
	s_andn2_b64 exec, exec, s[2:3]
	s_cbranch_execnz .LBB46_121
; %bb.122:
	s_or_b64 exec, exec, s[2:3]
.LBB46_123:
	v_ashrrev_i32_e32 v3, 31, v2
	v_lshl_add_u64 v[6:7], v[2:3], 2, s[12:13]
	global_load_dword v3, v[6:7], off
	global_load_dword v8, v[4:5], off offset:3072
	s_waitcnt vmcnt(1)
	v_subrev_u32_e32 v3, s22, v3
	v_cmp_lt_i32_e32 vcc, v11, v3
	s_nop 1
	v_cndmask_b32_e32 v4, v2, v1, vcc
	s_waitcnt vmcnt(0)
	v_subrev_u32_e32 v2, s22, v8
	v_cmp_ne_u32_e32 vcc, v2, v4
                                        ; implicit-def: $vgpr1
	s_and_saveexec_b64 s[0:1], vcc
	s_xor_b64 s[2:3], exec, s[0:1]
	s_cbranch_execz .LBB46_130
; %bb.124:
	s_load_dword s0, s[14:15], 0x0
	ds_read_b32 v1, v10 offset:3072
	s_waitcnt lgkmcnt(0)
	s_sub_i32 s0, s0, s22
	v_cmp_gt_i32_e32 vcc, s0, v11
	s_and_saveexec_b64 s[14:15], vcc
	s_cbranch_execz .LBB46_129
; %bb.125:
	v_ashrrev_i32_e32 v5, 31, v4
	v_lshl_add_u64 v[4:5], s[18:19], 0, v[4:5]
	global_load_sbyte v3, v[4:5], off
	v_cmp_gt_i32_e32 vcc, s29, v2
	v_cmp_le_i32_e64 s[0:1], s21, v2
	s_or_b64 s[0:1], vcc, s[0:1]
	s_waitcnt vmcnt(0)
	v_mul_lo_u32 v4, v1, v3
	s_and_saveexec_b64 s[16:17], s[0:1]
	s_xor_b64 s[0:1], exec, s[16:17]
	s_cbranch_execz .LBB46_127
; %bb.126:
	v_ashrrev_i32_e32 v3, 31, v2
	v_lshl_add_u64 v[6:7], v[2:3], 2, s[10:11]
	global_atomic_add v[6:7], v4, off
                                        ; implicit-def: $vgpr4
.LBB46_127:
	s_andn2_saveexec_b64 s[0:1], s[0:1]
; %bb.128:
	v_subrev_u32_e32 v3, s29, v2
	v_mov_b32_e32 v5, 0x1000
	v_lshl_add_u32 v3, v3, 2, v5
	ds_add_u32 v3, v4
.LBB46_129:
	s_or_b64 exec, exec, s[14:15]
.LBB46_130:
	s_andn2_saveexec_b64 s[0:1], s[2:3]
; %bb.131:
	ds_read_b32 v1, v10 offset:3072
; %bb.132:
	s_or_b64 exec, exec, s[0:1]
	v_ashrrev_i32_e32 v3, 31, v2
	v_lshl_add_u64 v[2:3], s[18:19], 0, v[2:3]
	global_load_sbyte v2, v[2:3], off
	s_waitcnt vmcnt(0) lgkmcnt(0)
	v_mul_lo_u32 v1, v1, v2
	ds_write_b32 v10, v1 offset:3072
.LBB46_133:
	s_or_b64 exec, exec, s[8:9]
	s_min_i32 s7, s21, s7
	s_sub_i32 s18, s7, s23
	v_cmp_gt_i32_e32 vcc, s18, v0
	s_waitcnt lgkmcnt(0)
	s_barrier
	s_and_saveexec_b64 s[0:1], vcc
	s_cbranch_execz .LBB46_136
; %bb.134:
	v_mov_b32_e32 v1, 0x1000
	v_lshl_add_u32 v1, v0, 2, v1
	s_mov_b64 s[2:3], 0
	v_mov_b32_e32 v2, v0
.LBB46_135:                             ; =>This Inner Loop Header: Depth=1
	ds_read_b32 v3, v1
	v_add_u32_e32 v4, s29, v2
	v_ashrrev_i32_e32 v5, 31, v4
	v_lshl_add_u64 v[4:5], v[4:5], 2, s[10:11]
	v_add_u32_e32 v2, 0x100, v2
	s_waitcnt lgkmcnt(0)
	global_atomic_add v[4:5], v3, off
	v_cmp_le_i32_e32 vcc, s18, v2
	s_or_b64 s[2:3], vcc, s[2:3]
	v_add_u32_e32 v1, 0x400, v1
	s_andn2_b64 exec, exec, s[2:3]
	s_cbranch_execnz .LBB46_135
.LBB46_136:
	s_or_b64 exec, exec, s[0:1]
	s_mul_i32 s0, s6, s23
	s_sub_i32 s0, s28, s0
	s_add_i32 s1, s6, 1
	s_sub_i32 s2, s0, s23
	s_cmp_ge_u32 s0, s23
	s_cselect_b32 s1, s1, s6
	s_cselect_b32 s0, s2, s0
	s_add_i32 s2, s1, 1
	s_cmp_ge_u32 s0, s23
	s_cselect_b32 s0, s2, s1
	s_add_i32 s0, s0, -1
	s_ashr_i32 s1, s0, 1
	s_or_b32 s0, s1, s0
	s_ashr_i32 s1, s0, 2
	s_or_b32 s0, s1, s0
	;; [unrolled: 2-line block ×5, first 2 shown]
	s_add_i32 s0, s0, 1
	s_ashr_i32 s19, s0, 1
	v_add_u32_e32 v2, s20, v0
	s_cmp_gt_i32 s19, 1
	s_mov_b64 s[0:1], -1
	s_barrier
	s_cbranch_scc1 .LBB46_157
; %bb.137:
	v_cmp_gt_i32_e32 vcc, s21, v2
	s_and_saveexec_b64 s[0:1], vcc
	s_cbranch_execz .LBB46_156
; %bb.138:
	s_sub_i32 s2, s7, s21
	s_lshl_b32 s2, s2, 2
	s_add_i32 s20, s2, 0x1000
	s_lshl_b32 s2, s33, 2
	s_sub_i32 s22, 0, s2
	s_mov_b64 s[2:3], 0
	v_mov_b32_e32 v16, 0
	v_mov_b32_e32 v4, v2
	s_branch .LBB46_141
.LBB46_139:                             ;   in Loop: Header=BB46_141 Depth=1
	s_or_b64 exec, exec, s[8:9]
.LBB46_140:                             ;   in Loop: Header=BB46_141 Depth=1
	s_or_b64 exec, exec, s[6:7]
	v_lshl_add_u32 v1, v4, 2, s20
	ds_read_b32 v1, v1
	v_lshl_add_u64 v[6:7], v[4:5], 2, s[10:11]
	v_add_u32_e32 v4, s28, v4
	v_cmp_le_i32_e32 vcc, s21, v4
	s_or_b64 s[2:3], vcc, s[2:3]
	s_waitcnt lgkmcnt(0)
	v_add_u32_e32 v1, v1, v8
	global_atomic_add v[6:7], v1, off
	s_andn2_b64 exec, exec, s[2:3]
	s_cbranch_execz .LBB46_156
.LBB46_141:                             ; =>This Loop Header: Depth=1
                                        ;     Child Loop BB46_145 Depth 2
                                        ;     Child Loop BB46_149 Depth 2
	;; [unrolled: 1-line block ×3, first 2 shown]
	v_ashrrev_i32_e32 v5, 31, v4
	v_lshl_add_u64 v[6:7], v[4:5], 2, s[12:13]
	global_load_dwordx2 v[6:7], v[6:7], off
	v_mov_b32_e32 v8, 0
	s_waitcnt vmcnt(0)
	v_cmp_lt_i32_e32 vcc, v6, v7
	s_and_saveexec_b64 s[6:7], vcc
	s_cbranch_execz .LBB46_140
; %bb.142:                              ;   in Loop: Header=BB46_141 Depth=1
	v_subrev_u32_e32 v3, s33, v6
	v_subrev_u32_e32 v1, s33, v7
	v_add_u32_e32 v7, 1, v3
	v_max_i32_e32 v7, v7, v1
	v_add_u32_e32 v7, s33, v7
	v_sub_u32_e32 v7, v7, v6
	v_cmp_lt_u32_e32 vcc, 1, v7
	s_mov_b64 s[14:15], -1
	v_mov_b32_e32 v8, 0
	s_and_saveexec_b64 s[8:9], vcc
	s_cbranch_execz .LBB46_152
; %bb.143:                              ;   in Loop: Header=BB46_141 Depth=1
	v_add_u32_e32 v8, -2, v7
	v_lshrrev_b32_e32 v9, 1, v8
	v_mov_b32_e32 v17, v16
	v_add_u32_e32 v11, 1, v9
	v_cmp_lt_u32_e32 vcc, 13, v8
	s_mov_b32 s24, 0
	v_mov_b32_e32 v14, 0
	v_mov_b64_e32 v[8:9], v[16:17]
	s_and_saveexec_b64 s[14:15], vcc
	s_cbranch_execz .LBB46_147
; %bb.144:                              ;   in Loop: Header=BB46_141 Depth=1
	v_and_b32_e32 v12, -8, v11
	v_lshlrev_b32_e32 v13, 2, v3
	s_mov_b64 s[16:17], 0
	v_mov_b32_e32 v8, 0
	v_mov_b32_e32 v9, 0
.LBB46_145:                             ;   Parent Loop BB46_141 Depth=1
                                        ; =>  This Inner Loop Header: Depth=2
	ds_read2_b32 v[18:19], v13 offset1:1
	ds_read2_b32 v[20:21], v13 offset0:2 offset1:3
	ds_read2_b32 v[22:23], v13 offset0:4 offset1:5
	;; [unrolled: 1-line block ×7, first 2 shown]
	s_waitcnt lgkmcnt(6)
	v_add3_u32 v8, v18, v8, v20
	v_add3_u32 v9, v19, v9, v21
	v_add_u32_e32 v12, -8, v12
	s_waitcnt lgkmcnt(4)
	v_add3_u32 v9, v23, v9, v25
	v_add3_u32 v8, v22, v8, v24
	s_add_i32 s24, s24, 16
	v_cmp_eq_u32_e32 vcc, 0, v12
	s_waitcnt lgkmcnt(2)
	v_add3_u32 v8, v26, v8, v28
	v_add3_u32 v9, v27, v9, v29
	v_add_u32_e32 v13, 64, v13
	v_mov_b32_e32 v14, s24
	s_or_b64 s[16:17], vcc, s[16:17]
	s_waitcnt lgkmcnt(0)
	v_add3_u32 v9, v31, v9, v33
	v_add3_u32 v8, v30, v8, v32
	s_andn2_b64 exec, exec, s[16:17]
	s_cbranch_execnz .LBB46_145
; %bb.146:                              ;   in Loop: Header=BB46_141 Depth=1
	s_or_b64 exec, exec, s[16:17]
.LBB46_147:                             ;   in Loop: Header=BB46_141 Depth=1
	s_or_b64 exec, exec, s[14:15]
	v_and_b32_e32 v11, 7, v11
	v_cmp_ne_u32_e32 vcc, 0, v11
	s_and_saveexec_b64 s[14:15], vcc
	s_cbranch_execz .LBB46_151
; %bb.148:                              ;   in Loop: Header=BB46_141 Depth=1
	v_lshlrev_b32_e32 v6, 2, v6
	v_lshlrev_b32_e32 v12, 2, v14
	v_add3_u32 v6, v6, v12, s22
	v_lshlrev_b32_e32 v11, 3, v11
	s_mov_b64 s[16:17], 0
.LBB46_149:                             ;   Parent Loop BB46_141 Depth=1
                                        ; =>  This Inner Loop Header: Depth=2
	ds_read2_b32 v[12:13], v6 offset1:1
	v_add_u32_e32 v11, -8, v11
	v_cmp_eq_u32_e32 vcc, 0, v11
	v_add_u32_e32 v6, 8, v6
	s_or_b64 s[16:17], vcc, s[16:17]
	s_waitcnt lgkmcnt(0)
	v_add_u32_e32 v9, v13, v9
	v_add_u32_e32 v8, v12, v8
	s_andn2_b64 exec, exec, s[16:17]
	s_cbranch_execnz .LBB46_149
; %bb.150:                              ;   in Loop: Header=BB46_141 Depth=1
	s_or_b64 exec, exec, s[16:17]
.LBB46_151:                             ;   in Loop: Header=BB46_141 Depth=1
	s_or_b64 exec, exec, s[14:15]
	v_and_b32_e32 v6, -2, v7
	v_cmp_ne_u32_e32 vcc, v7, v6
	v_add_u32_e32 v3, v3, v6
	v_add_u32_e32 v8, v8, v9
	s_orn2_b64 s[14:15], vcc, exec
.LBB46_152:                             ;   in Loop: Header=BB46_141 Depth=1
	s_or_b64 exec, exec, s[8:9]
	s_and_saveexec_b64 s[8:9], s[14:15]
	s_cbranch_execz .LBB46_139
; %bb.153:                              ;   in Loop: Header=BB46_141 Depth=1
	v_lshlrev_b32_e32 v6, 2, v3
	s_mov_b64 s[14:15], 0
.LBB46_154:                             ;   Parent Loop BB46_141 Depth=1
                                        ; =>  This Inner Loop Header: Depth=2
	ds_read_b32 v7, v6
	v_add_u32_e32 v3, 1, v3
	v_cmp_ge_i32_e32 vcc, v3, v1
	v_add_u32_e32 v6, 4, v6
	s_or_b64 s[14:15], vcc, s[14:15]
	s_waitcnt lgkmcnt(0)
	v_add_u32_e32 v8, v7, v8
	s_andn2_b64 exec, exec, s[14:15]
	s_cbranch_execnz .LBB46_154
; %bb.155:                              ;   in Loop: Header=BB46_141 Depth=1
	s_or_b64 exec, exec, s[14:15]
	s_branch .LBB46_139
.LBB46_156:
	s_or_b64 exec, exec, s[0:1]
	s_mov_b64 s[0:1], 0
.LBB46_157:
	s_andn2_b64 vcc, exec, s[0:1]
	s_cbranch_vccnz .LBB46_173
; %bb.158:
	v_cvt_f32_u32_e32 v1, s19
	s_sub_i32 s0, 0, s19
	v_rcp_iflag_f32_e32 v1, v1
	s_nop 0
	v_mul_f32_e32 v1, 0x4f7ffffe, v1
	v_cvt_u32_f32_e32 v1, v1
	v_mul_lo_u32 v3, s0, v1
	v_mul_hi_u32 v3, v1, v3
	v_add_u32_e32 v1, v1, v3
	v_mul_hi_u32 v1, v0, v1
	v_mul_lo_u32 v3, v1, s19
	v_sub_u32_e32 v3, v0, v3
	v_add_u32_e32 v4, 1, v1
	v_cmp_le_u32_e32 vcc, s19, v3
	s_nop 1
	v_cndmask_b32_e32 v1, v1, v4, vcc
	v_subrev_u32_e32 v4, s19, v3
	v_cndmask_b32_e32 v3, v3, v4, vcc
	v_add_u32_e32 v4, 1, v1
	v_cmp_le_u32_e32 vcc, s19, v3
	s_nop 1
	v_cndmask_b32_e32 v1, v1, v4, vcc
	v_lshlrev_b32_e32 v3, 2, v1
	global_load_dwordx2 v[4:5], v3, s[4:5]
	v_cmp_gt_i32_e32 vcc, s23, v1
	v_mov_b32_e32 v3, 0
	s_and_saveexec_b64 s[0:1], vcc
	s_cbranch_execz .LBB46_166
; %bb.159:
	s_abs_i32 s4, s19
	v_cvt_f32_u32_e32 v3, s4
	s_waitcnt vmcnt(0)
	v_subrev_u32_e32 v4, s33, v4
	v_subrev_u32_e32 v1, s33, v5
	v_sub_u32_e32 v5, v1, v4
	v_rcp_iflag_f32_e32 v3, v3
	s_sub_i32 s2, 0, s4
	v_sub_u32_e32 v6, 0, v5
	v_ashrrev_i32_e32 v8, 31, v5
	v_mul_f32_e32 v3, 0x4f7ffffe, v3
	v_cvt_u32_f32_e32 v3, v3
	v_max_i32_e32 v5, v5, v6
	s_ashr_i32 s5, s19, 31
	v_mul_lo_u32 v6, s2, v3
	v_mul_hi_u32 v6, v3, v6
	v_add_u32_e32 v3, v3, v6
	v_mad_u64_u32 v[6:7], s[2:3], v5, v3, 0
	v_mul_lo_u32 v6, v7, s4
	v_sub_u32_e32 v5, v5, v6
	v_add_u32_e32 v6, 1, v7
	v_cmp_le_u32_e32 vcc, s4, v5
	v_xor_b32_e32 v3, s5, v8
	s_add_i32 s2, s19, -1
	v_cndmask_b32_e32 v6, v7, v6, vcc
	v_subrev_u32_e32 v7, s4, v5
	v_cndmask_b32_e32 v5, v5, v7, vcc
	v_add_u32_e32 v7, 1, v6
	v_cmp_le_u32_e32 vcc, s4, v5
	s_nop 1
	v_cndmask_b32_e32 v5, v6, v7, vcc
	v_xor_b32_e32 v5, v5, v3
	v_sub_u32_e32 v5, v5, v3
	v_and_b32_e32 v7, s2, v0
	v_mov_b32_e32 v3, 0
	v_cmp_lt_i32_e32 vcc, 0, v5
	v_lshlrev_b32_e32 v6, 2, v7
	s_and_saveexec_b64 s[2:3], vcc
	s_cbranch_execz .LBB46_163
; %bb.160:
	v_lshl_add_u32 v8, v4, 2, v6
	s_lshl_b32 s6, s19, 2
	v_mov_b32_e32 v3, 0
	s_mov_b64 s[4:5], 0
	v_mov_b32_e32 v9, v5
.LBB46_161:                             ; =>This Inner Loop Header: Depth=1
	ds_read_b32 v11, v8
	v_add_u32_e32 v9, -1, v9
	v_cmp_eq_u32_e32 vcc, 0, v9
	v_add_u32_e32 v8, s6, v8
	s_or_b64 s[4:5], vcc, s[4:5]
	s_waitcnt lgkmcnt(0)
	v_add_u32_e32 v3, v11, v3
	s_andn2_b64 exec, exec, s[4:5]
	s_cbranch_execnz .LBB46_161
; %bb.162:
	s_or_b64 exec, exec, s[4:5]
.LBB46_163:
	s_or_b64 exec, exec, s[2:3]
	v_mad_u64_u32 v[4:5], s[2:3], v5, s19, v[4:5]
	v_sub_u32_e32 v1, v1, v4
	v_cmp_lt_i32_e32 vcc, v7, v1
	s_and_saveexec_b64 s[2:3], vcc
	s_cbranch_execz .LBB46_165
; %bb.164:
	v_lshl_add_u32 v1, v4, 2, v6
	ds_read_b32 v1, v1
	s_waitcnt lgkmcnt(0)
	v_add_u32_e32 v3, v1, v3
.LBB46_165:
	s_or_b64 exec, exec, s[2:3]
.LBB46_166:
	s_or_b64 exec, exec, s[0:1]
	v_cmp_gt_i32_e32 vcc, s23, v0
	s_barrier
	ds_write_b32 v10, v3
	s_waitcnt lgkmcnt(0)
	s_barrier
	s_and_saveexec_b64 s[0:1], vcc
	s_cbranch_execz .LBB46_173
; %bb.167:
	v_mul_lo_u32 v3, s19, v0
	s_and_b32 s0, s19, 0x7ffffffe
	s_waitcnt vmcnt(0)
	v_lshlrev_b32_e32 v4, 2, v3
	v_mov_b32_e32 v1, 0
	s_mov_b32 s1, s0
	v_mov_b32_e32 v5, 0
.LBB46_168:                             ; =>This Inner Loop Header: Depth=1
	ds_read2_b32 v[6:7], v4 offset1:1
	s_add_i32 s1, s1, -2
	v_add_u32_e32 v4, 8, v4
	s_cmp_lg_u32 s1, 0
	s_waitcnt lgkmcnt(0)
	v_add_u32_e32 v5, v7, v5
	v_add_u32_e32 v1, v6, v1
	s_cbranch_scc1 .LBB46_168
; %bb.169:
	s_cmp_eq_u32 s19, s0
	v_add_u32_e32 v1, v1, v5
	s_cbranch_scc1 .LBB46_172
; %bb.170:
	s_lshl_b32 s1, s19, 2
	s_and_b32 s1, s1, -8
	s_sub_i32 s0, s19, s0
	v_lshl_add_u32 v3, v3, 2, s1
.LBB46_171:                             ; =>This Inner Loop Header: Depth=1
	ds_read_b32 v4, v3
	s_add_i32 s0, s0, -1
	v_add_u32_e32 v3, 4, v3
	s_cmp_eq_u32 s0, 0
	s_waitcnt lgkmcnt(0)
	v_add_u32_e32 v1, v4, v1
	s_cbranch_scc0 .LBB46_171
.LBB46_172:
	s_lshl_b32 s0, s18, 2
	s_addk_i32 s0, 0x1000
	v_lshl_add_u32 v0, v0, 2, s0
	ds_read_b32 v0, v0
	v_ashrrev_i32_e32 v3, 31, v2
	s_waitcnt lgkmcnt(0)
	v_add_u32_e32 v4, v0, v1
	v_lshl_add_u64 v[0:1], v[2:3], 2, s[10:11]
	global_atomic_add v[0:1], v4, off
.LBB46_173:
	s_endpgm
	.section	.rodata,"a",@progbits
	.p2align	6, 0x0
	.amdhsa_kernel _ZN9rocsparseL27csrmvn_symm_adaptive_kernelIiiaaiiEEvbT_S1_PKS1_NS_24const_host_device_scalarIT4_EES3_PKT0_PKT1_PKT2_S6_PT3_21rocsparse_index_base_b
		.amdhsa_group_segment_fixed_size 4096
		.amdhsa_private_segment_fixed_size 0
		.amdhsa_kernarg_size 344
		.amdhsa_user_sgpr_count 2
		.amdhsa_user_sgpr_dispatch_ptr 0
		.amdhsa_user_sgpr_queue_ptr 0
		.amdhsa_user_sgpr_kernarg_segment_ptr 1
		.amdhsa_user_sgpr_dispatch_id 0
		.amdhsa_user_sgpr_kernarg_preload_length 0
		.amdhsa_user_sgpr_kernarg_preload_offset 0
		.amdhsa_user_sgpr_private_segment_size 0
		.amdhsa_uses_dynamic_stack 0
		.amdhsa_enable_private_segment 0
		.amdhsa_system_sgpr_workgroup_id_x 1
		.amdhsa_system_sgpr_workgroup_id_y 0
		.amdhsa_system_sgpr_workgroup_id_z 0
		.amdhsa_system_sgpr_workgroup_info 0
		.amdhsa_system_vgpr_workitem_id 0
		.amdhsa_next_free_vgpr 34
		.amdhsa_next_free_sgpr 42
		.amdhsa_accum_offset 36
		.amdhsa_reserve_vcc 1
		.amdhsa_float_round_mode_32 0
		.amdhsa_float_round_mode_16_64 0
		.amdhsa_float_denorm_mode_32 3
		.amdhsa_float_denorm_mode_16_64 3
		.amdhsa_dx10_clamp 1
		.amdhsa_ieee_mode 1
		.amdhsa_fp16_overflow 0
		.amdhsa_tg_split 0
		.amdhsa_exception_fp_ieee_invalid_op 0
		.amdhsa_exception_fp_denorm_src 0
		.amdhsa_exception_fp_ieee_div_zero 0
		.amdhsa_exception_fp_ieee_overflow 0
		.amdhsa_exception_fp_ieee_underflow 0
		.amdhsa_exception_fp_ieee_inexact 0
		.amdhsa_exception_int_div_zero 0
	.end_amdhsa_kernel
	.section	.text._ZN9rocsparseL27csrmvn_symm_adaptive_kernelIiiaaiiEEvbT_S1_PKS1_NS_24const_host_device_scalarIT4_EES3_PKT0_PKT1_PKT2_S6_PT3_21rocsparse_index_base_b,"axG",@progbits,_ZN9rocsparseL27csrmvn_symm_adaptive_kernelIiiaaiiEEvbT_S1_PKS1_NS_24const_host_device_scalarIT4_EES3_PKT0_PKT1_PKT2_S6_PT3_21rocsparse_index_base_b,comdat
.Lfunc_end46:
	.size	_ZN9rocsparseL27csrmvn_symm_adaptive_kernelIiiaaiiEEvbT_S1_PKS1_NS_24const_host_device_scalarIT4_EES3_PKT0_PKT1_PKT2_S6_PT3_21rocsparse_index_base_b, .Lfunc_end46-_ZN9rocsparseL27csrmvn_symm_adaptive_kernelIiiaaiiEEvbT_S1_PKS1_NS_24const_host_device_scalarIT4_EES3_PKT0_PKT1_PKT2_S6_PT3_21rocsparse_index_base_b
                                        ; -- End function
	.set _ZN9rocsparseL27csrmvn_symm_adaptive_kernelIiiaaiiEEvbT_S1_PKS1_NS_24const_host_device_scalarIT4_EES3_PKT0_PKT1_PKT2_S6_PT3_21rocsparse_index_base_b.num_vgpr, 34
	.set _ZN9rocsparseL27csrmvn_symm_adaptive_kernelIiiaaiiEEvbT_S1_PKS1_NS_24const_host_device_scalarIT4_EES3_PKT0_PKT1_PKT2_S6_PT3_21rocsparse_index_base_b.num_agpr, 0
	.set _ZN9rocsparseL27csrmvn_symm_adaptive_kernelIiiaaiiEEvbT_S1_PKS1_NS_24const_host_device_scalarIT4_EES3_PKT0_PKT1_PKT2_S6_PT3_21rocsparse_index_base_b.numbered_sgpr, 42
	.set _ZN9rocsparseL27csrmvn_symm_adaptive_kernelIiiaaiiEEvbT_S1_PKS1_NS_24const_host_device_scalarIT4_EES3_PKT0_PKT1_PKT2_S6_PT3_21rocsparse_index_base_b.num_named_barrier, 0
	.set _ZN9rocsparseL27csrmvn_symm_adaptive_kernelIiiaaiiEEvbT_S1_PKS1_NS_24const_host_device_scalarIT4_EES3_PKT0_PKT1_PKT2_S6_PT3_21rocsparse_index_base_b.private_seg_size, 0
	.set _ZN9rocsparseL27csrmvn_symm_adaptive_kernelIiiaaiiEEvbT_S1_PKS1_NS_24const_host_device_scalarIT4_EES3_PKT0_PKT1_PKT2_S6_PT3_21rocsparse_index_base_b.uses_vcc, 1
	.set _ZN9rocsparseL27csrmvn_symm_adaptive_kernelIiiaaiiEEvbT_S1_PKS1_NS_24const_host_device_scalarIT4_EES3_PKT0_PKT1_PKT2_S6_PT3_21rocsparse_index_base_b.uses_flat_scratch, 0
	.set _ZN9rocsparseL27csrmvn_symm_adaptive_kernelIiiaaiiEEvbT_S1_PKS1_NS_24const_host_device_scalarIT4_EES3_PKT0_PKT1_PKT2_S6_PT3_21rocsparse_index_base_b.has_dyn_sized_stack, 0
	.set _ZN9rocsparseL27csrmvn_symm_adaptive_kernelIiiaaiiEEvbT_S1_PKS1_NS_24const_host_device_scalarIT4_EES3_PKT0_PKT1_PKT2_S6_PT3_21rocsparse_index_base_b.has_recursion, 0
	.set _ZN9rocsparseL27csrmvn_symm_adaptive_kernelIiiaaiiEEvbT_S1_PKS1_NS_24const_host_device_scalarIT4_EES3_PKT0_PKT1_PKT2_S6_PT3_21rocsparse_index_base_b.has_indirect_call, 0
	.section	.AMDGPU.csdata,"",@progbits
; Kernel info:
; codeLenInByte = 6424
; TotalNumSgprs: 48
; NumVgprs: 34
; NumAgprs: 0
; TotalNumVgprs: 34
; ScratchSize: 0
; MemoryBound: 0
; FloatMode: 240
; IeeeMode: 1
; LDSByteSize: 4096 bytes/workgroup (compile time only)
; SGPRBlocks: 5
; VGPRBlocks: 4
; NumSGPRsForWavesPerEU: 48
; NumVGPRsForWavesPerEU: 34
; AccumOffset: 36
; Occupancy: 8
; WaveLimiterHint : 1
; COMPUTE_PGM_RSRC2:SCRATCH_EN: 0
; COMPUTE_PGM_RSRC2:USER_SGPR: 2
; COMPUTE_PGM_RSRC2:TRAP_HANDLER: 0
; COMPUTE_PGM_RSRC2:TGID_X_EN: 1
; COMPUTE_PGM_RSRC2:TGID_Y_EN: 0
; COMPUTE_PGM_RSRC2:TGID_Z_EN: 0
; COMPUTE_PGM_RSRC2:TIDIG_COMP_CNT: 0
; COMPUTE_PGM_RSRC3_GFX90A:ACCUM_OFFSET: 8
; COMPUTE_PGM_RSRC3_GFX90A:TG_SPLIT: 0
	.section	.text._ZL33csrmvn_symm_large_adaptive_kernelIiiaaiiEvbT_PKS0_N9rocsparse24const_host_device_scalarIT4_EES2_PKT0_PKT1_PKT2_S6_PT3_21rocsparse_index_base_b,"axG",@progbits,_ZL33csrmvn_symm_large_adaptive_kernelIiiaaiiEvbT_PKS0_N9rocsparse24const_host_device_scalarIT4_EES2_PKT0_PKT1_PKT2_S6_PT3_21rocsparse_index_base_b,comdat
	.globl	_ZL33csrmvn_symm_large_adaptive_kernelIiiaaiiEvbT_PKS0_N9rocsparse24const_host_device_scalarIT4_EES2_PKT0_PKT1_PKT2_S6_PT3_21rocsparse_index_base_b ; -- Begin function _ZL33csrmvn_symm_large_adaptive_kernelIiiaaiiEvbT_PKS0_N9rocsparse24const_host_device_scalarIT4_EES2_PKT0_PKT1_PKT2_S6_PT3_21rocsparse_index_base_b
	.p2align	8
	.type	_ZL33csrmvn_symm_large_adaptive_kernelIiiaaiiEvbT_PKS0_N9rocsparse24const_host_device_scalarIT4_EES2_PKT0_PKT1_PKT2_S6_PT3_21rocsparse_index_base_b,@function
_ZL33csrmvn_symm_large_adaptive_kernelIiiaaiiEvbT_PKS0_N9rocsparse24const_host_device_scalarIT4_EES2_PKT0_PKT1_PKT2_S6_PT3_21rocsparse_index_base_b: ; @_ZL33csrmvn_symm_large_adaptive_kernelIiiaaiiEvbT_PKS0_N9rocsparse24const_host_device_scalarIT4_EES2_PKT0_PKT1_PKT2_S6_PT3_21rocsparse_index_base_b
; %bb.0:
	s_load_dwordx2 s[16:17], s[0:1], 0x48
	s_load_dwordx2 s[8:9], s[0:1], 0x10
	s_mov_b64 s[10:11], -1
	s_waitcnt lgkmcnt(0)
	s_bitcmp1_b32 s17, 0
	s_cselect_b64 s[4:5], -1, 0
	s_xor_b64 s[6:7], s[4:5], -1
	s_and_b64 vcc, exec, s[6:7]
                                        ; implicit-def: $sgpr17
	s_cbranch_vccnz .LBB47_4
; %bb.1:
	s_load_dwordx2 s[4:5], s[0:1], 0x38
	s_andn2_b64 vcc, exec, s[10:11]
	s_cbranch_vccz .LBB47_5
.LBB47_2:
	s_and_b64 vcc, exec, s[6:7]
	s_cbranch_vccz .LBB47_6
.LBB47_3:
	s_waitcnt lgkmcnt(0)
	s_load_dword s3, s[4:5], 0x0
	s_cbranch_execz .LBB47_7
	s_branch .LBB47_8
.LBB47_4:
	s_load_dword s17, s[8:9], 0x0
	s_load_dwordx2 s[4:5], s[0:1], 0x38
	s_cbranch_execnz .LBB47_2
.LBB47_5:
	s_waitcnt lgkmcnt(0)
	s_mov_b32 s17, s8
	s_and_b64 vcc, exec, s[6:7]
	s_cbranch_vccnz .LBB47_3
.LBB47_6:
                                        ; implicit-def: $sgpr3
.LBB47_7:
	s_waitcnt lgkmcnt(0)
	s_mov_b32 s3, s4
.LBB47_8:
	s_waitcnt lgkmcnt(0)
	s_cmp_lg_u32 s17, 0
	s_cselect_b64 s[4:5], -1, 0
	s_cmp_lg_u32 s3, 1
	s_cselect_b64 s[6:7], -1, 0
	s_or_b64 s[4:5], s[4:5], s[6:7]
	s_andn2_b64 vcc, exec, s[4:5]
	s_cbranch_vccnz .LBB47_42
; %bb.9:
	s_load_dwordx2 s[4:5], s[0:1], 0x8
	s_ashr_i32 s3, s2, 31
	s_lshl_b64 s[2:3], s[2:3], 2
	v_lshlrev_b32_e32 v3, 2, v0
	v_mov_b32_e32 v6, 0
	s_waitcnt lgkmcnt(0)
	s_add_u32 s2, s4, s2
	s_addc_u32 s3, s5, s3
	ds_write2st64_b32 v3, v6, v6 offset1:4
	ds_write2st64_b32 v3, v6, v6 offset0:8 offset1:12
	s_waitcnt lgkmcnt(0)
	s_barrier
	s_load_dwordx2 s[18:19], s[2:3], 0x0
	s_load_dwordx8 s[8:15], s[0:1], 0x18
	s_load_dwordx2 s[20:21], s[0:1], 0x40
	v_subrev_u32_e32 v2, s16, v0
	s_waitcnt lgkmcnt(0)
	s_cmp_ge_i32 s18, s19
	s_cbranch_scc1 .LBB47_33
; %bb.10:
	v_cmp_gt_u32_e32 vcc, 64, v0
	v_cmp_gt_u32_e64 s[0:1], 16, v0
	v_cmp_gt_u32_e64 s[2:3], 4, v0
	v_cmp_eq_u32_e64 s[4:5], 0, v0
	v_xad_u32 v7, v0, -1, s16
	v_add_u32_e32 v8, 0x100, v2
	s_mov_b32 s33, s16
	s_movk_i32 s38, 0xff
	s_mov_b64 s[22:23], 0x100
	s_mov_b64 s[24:25], 0x400
	s_mov_b32 s26, s18
	s_branch .LBB47_12
.LBB47_11:                              ;   in Loop: Header=BB47_12 Depth=1
	s_or_b64 exec, exec, s[30:31]
	s_add_i32 s26, s26, 1
	s_cmp_ge_i32 s26, s19
	s_cbranch_scc1 .LBB47_33
.LBB47_12:                              ; =>This Loop Header: Depth=1
                                        ;     Child Loop BB47_15 Depth 2
                                        ;     Child Loop BB47_19 Depth 2
	s_ashr_i32 s27, s26, 31
	s_lshl_b64 s[28:29], s[26:27], 2
	s_add_u32 s6, s8, s28
	s_addc_u32 s7, s9, s29
	s_load_dwordx2 s[34:35], s[6:7], 0x0
	v_mov_b32_e32 v9, 0
	s_waitcnt lgkmcnt(0)
	v_add_u32_e32 v0, s34, v2
	s_sub_i32 s27, s35, s16
	v_cmp_gt_i32_e64 s[6:7], s27, v0
	s_and_saveexec_b64 s[30:31], s[6:7]
	s_cbranch_execz .LBB47_22
; %bb.13:                               ;   in Loop: Header=BB47_12 Depth=1
	v_add_u32_e32 v1, s34, v8
	v_max_i32_e32 v1, s27, v1
	v_add_u32_e32 v1, v7, v1
	v_subrev_u32_e32 v1, s34, v1
	v_cmp_lt_u32_e64 s[6:7], s38, v1
	s_mov_b64 s[36:37], -1
	v_mov_b32_e32 v9, 0
	s_and_saveexec_b64 s[34:35], s[6:7]
	s_cbranch_execz .LBB47_17
; %bb.14:                               ;   in Loop: Header=BB47_12 Depth=1
	v_lshrrev_b32_e32 v1, 8, v1
	v_add_u32_e32 v10, 1, v1
	v_and_b32_e32 v11, 0x1fffffe, v10
	v_add_u32_e32 v1, 0x100, v0
	v_mov_b32_e32 v9, 0
	s_mov_b64 s[36:37], 0
	v_mov_b32_e32 v12, v11
	v_mov_b64_e32 v[4:5], v[0:1]
	v_mov_b32_e32 v1, 0
.LBB47_15:                              ;   Parent Loop BB47_12 Depth=1
                                        ; =>  This Inner Loop Header: Depth=2
	v_ashrrev_i32_e32 v17, 31, v4
	v_mov_b32_e32 v16, v4
	v_ashrrev_i32_e32 v15, 31, v5
	v_mov_b32_e32 v14, v5
	v_lshl_add_u64 v[18:19], v[16:17], 2, s[10:11]
	v_lshl_add_u64 v[20:21], v[14:15], 2, s[10:11]
	global_load_dword v13, v[18:19], off
	global_load_dword v22, v[20:21], off
	v_lshl_add_u64 v[16:17], s[12:13], 0, v[16:17]
	v_lshl_add_u64 v[14:15], s[12:13], 0, v[14:15]
	global_load_sbyte v18, v[16:17], off
	global_load_sbyte v19, v[14:15], off
	v_add_u32_e32 v12, -2, v12
	v_cmp_eq_u32_e64 s[6:7], 0, v12
	v_add_u32_e32 v5, 0x200, v5
	v_add_u32_e32 v4, 0x200, v4
	s_or_b64 s[36:37], s[6:7], s[36:37]
	s_waitcnt vmcnt(3)
	v_subrev_u32_e32 v14, s16, v13
	s_waitcnt vmcnt(2)
	v_subrev_u32_e32 v16, s33, v22
	v_ashrrev_i32_e32 v17, 31, v16
	v_ashrrev_i32_e32 v15, 31, v14
	v_lshl_add_u64 v[16:17], s[14:15], 0, v[16:17]
	v_lshl_add_u64 v[14:15], s[14:15], 0, v[14:15]
	global_load_sbyte v13, v[16:17], off
	global_load_sbyte v20, v[14:15], off
	s_waitcnt vmcnt(1)
	v_mad_i32_i24 v1, v13, v19, v1
	s_waitcnt vmcnt(0)
	v_mad_i32_i24 v9, v20, v18, v9
	s_andn2_b64 exec, exec, s[36:37]
	s_cbranch_execnz .LBB47_15
; %bb.16:                               ;   in Loop: Header=BB47_12 Depth=1
	s_or_b64 exec, exec, s[36:37]
	v_cmp_ne_u32_e64 s[6:7], v10, v11
	v_lshl_add_u32 v0, v11, 8, v0
	v_add_u32_e32 v9, v9, v1
	s_orn2_b64 s[36:37], s[6:7], exec
.LBB47_17:                              ;   in Loop: Header=BB47_12 Depth=1
	s_or_b64 exec, exec, s[34:35]
	s_and_saveexec_b64 s[34:35], s[36:37]
	s_cbranch_execz .LBB47_21
; %bb.18:                               ;   in Loop: Header=BB47_12 Depth=1
	v_ashrrev_i32_e32 v1, 31, v0
	v_lshl_add_u64 v[4:5], v[0:1], 2, s[10:11]
	s_mov_b64 s[36:37], 0
.LBB47_19:                              ;   Parent Loop BB47_12 Depth=1
                                        ; =>  This Inner Loop Header: Depth=2
	global_load_dword v12, v[4:5], off
	v_lshl_add_u64 v[10:11], s[12:13], 0, v[0:1]
	global_load_sbyte v13, v[10:11], off
	v_lshl_add_u64 v[0:1], v[0:1], 0, s[22:23]
	v_cmp_le_i32_e64 s[6:7], s27, v0
	v_lshl_add_u64 v[4:5], v[4:5], 0, s[24:25]
	s_or_b64 s[36:37], s[6:7], s[36:37]
	s_waitcnt vmcnt(1)
	v_subrev_u32_e32 v10, s16, v12
	v_ashrrev_i32_e32 v11, 31, v10
	v_lshl_add_u64 v[10:11], s[14:15], 0, v[10:11]
	global_load_sbyte v10, v[10:11], off
	s_waitcnt vmcnt(0)
	v_mad_i32_i24 v9, v10, v13, v9
	s_andn2_b64 exec, exec, s[36:37]
	s_cbranch_execnz .LBB47_19
; %bb.20:                               ;   in Loop: Header=BB47_12 Depth=1
	s_or_b64 exec, exec, s[36:37]
.LBB47_21:                              ;   in Loop: Header=BB47_12 Depth=1
	s_or_b64 exec, exec, s[34:35]
.LBB47_22:                              ;   in Loop: Header=BB47_12 Depth=1
	s_or_b64 exec, exec, s[30:31]
	ds_write_b32 v3, v9
	s_waitcnt lgkmcnt(0)
	s_barrier
	ds_read2st64_b32 v[0:1], v3 offset1:4
	ds_read2st64_b32 v[4:5], v3 offset0:8 offset1:12
	s_waitcnt lgkmcnt(0)
	v_add_u32_e32 v1, v4, v1
	v_add3_u32 v0, v1, v5, v0
	ds_write_b32 v3, v0
	s_waitcnt lgkmcnt(0)
	s_barrier
	s_and_saveexec_b64 s[6:7], vcc
	s_cbranch_execz .LBB47_24
; %bb.23:                               ;   in Loop: Header=BB47_12 Depth=1
	ds_read2st64_b32 v[0:1], v3 offset1:1
	ds_read2st64_b32 v[4:5], v3 offset0:2 offset1:3
	s_waitcnt lgkmcnt(0)
	v_add_u32_e32 v1, v4, v1
	v_add3_u32 v0, v1, v5, v0
	ds_write_b32 v3, v0
.LBB47_24:                              ;   in Loop: Header=BB47_12 Depth=1
	s_or_b64 exec, exec, s[6:7]
	s_waitcnt lgkmcnt(0)
	s_barrier
	s_and_saveexec_b64 s[6:7], s[0:1]
	s_cbranch_execz .LBB47_26
; %bb.25:                               ;   in Loop: Header=BB47_12 Depth=1
	ds_read2_b32 v[0:1], v3 offset1:16
	ds_read2_b32 v[4:5], v3 offset0:32 offset1:48
	s_waitcnt lgkmcnt(0)
	v_add_u32_e32 v1, v4, v1
	v_add3_u32 v0, v1, v5, v0
	ds_write_b32 v3, v0
.LBB47_26:                              ;   in Loop: Header=BB47_12 Depth=1
	s_or_b64 exec, exec, s[6:7]
	s_waitcnt lgkmcnt(0)
	s_barrier
	s_and_saveexec_b64 s[6:7], s[2:3]
	s_cbranch_execz .LBB47_28
; %bb.27:                               ;   in Loop: Header=BB47_12 Depth=1
	ds_read2_b32 v[0:1], v3 offset1:4
	ds_read2_b32 v[4:5], v3 offset0:8 offset1:12
	s_waitcnt lgkmcnt(0)
	v_add_u32_e32 v1, v4, v1
	v_add3_u32 v0, v1, v5, v0
	ds_write_b32 v3, v0
.LBB47_28:                              ;   in Loop: Header=BB47_12 Depth=1
	s_or_b64 exec, exec, s[6:7]
	s_waitcnt lgkmcnt(0)
	s_barrier
	s_and_saveexec_b64 s[6:7], s[4:5]
	s_cbranch_execz .LBB47_30
; %bb.29:                               ;   in Loop: Header=BB47_12 Depth=1
	ds_read2_b32 v[0:1], v6 offset0:1 offset1:2
	ds_read_b32 v4, v6 offset:12
	ds_read_b32 v5, v3
	s_waitcnt lgkmcnt(2)
	v_add_u32_e32 v0, v1, v0
	s_waitcnt lgkmcnt(1)
	v_add_u32_e32 v0, v0, v4
	;; [unrolled: 2-line block ×3, first 2 shown]
	ds_write_b32 v3, v0
.LBB47_30:                              ;   in Loop: Header=BB47_12 Depth=1
	s_or_b64 exec, exec, s[6:7]
	s_waitcnt lgkmcnt(0)
	s_barrier
	s_and_saveexec_b64 s[30:31], s[4:5]
	s_cbranch_execz .LBB47_11
; %bb.31:                               ;   in Loop: Header=BB47_12 Depth=1
	s_mov_b64 s[34:35], exec
	v_mbcnt_lo_u32_b32 v0, s34, 0
	v_mbcnt_hi_u32_b32 v0, s35, v0
	v_cmp_eq_u32_e64 s[6:7], 0, v0
	s_and_b64 s[6:7], exec, s[6:7]
	s_mov_b64 exec, s[6:7]
	s_cbranch_execz .LBB47_11
; %bb.32:                               ;   in Loop: Header=BB47_12 Depth=1
	ds_read_b32 v0, v6
	s_add_u32 s6, s20, s28
	s_addc_u32 s7, s21, s29
	s_bcnt1_i32_b64 s27, s[34:35]
	s_waitcnt lgkmcnt(0)
	v_mul_lo_u32 v0, v0, s17
	v_mul_lo_u32 v0, v0, s27
	global_atomic_add v6, v0, s[6:7]
	s_branch .LBB47_11
.LBB47_33:
	s_ashr_i32 s1, s18, 31
	s_mov_b32 s0, s18
	s_lshl_b64 s[0:1], s[0:1], 2
	s_add_u32 s0, s8, s0
	s_addc_u32 s1, s9, s1
	s_ashr_i32 s3, s19, 31
	s_mov_b32 s2, s19
	s_lshl_b64 s[2:3], s[2:3], 2
	s_add_u32 s2, s8, s2
	s_addc_u32 s3, s9, s3
	s_load_dword s4, s[2:3], 0x0
	s_load_dword s5, s[0:1], 0x0
	s_waitcnt lgkmcnt(0)
	s_sub_i32 s22, s4, s16
	v_add_u32_e32 v0, s5, v2
	v_cmp_gt_i32_e32 vcc, s22, v0
	s_and_saveexec_b64 s[0:1], vcc
	s_cbranch_execz .LBB47_42
; %bb.34:
	s_add_i32 s23, s19, -1
	s_cmp_lt_i32 s18, s23
	s_cselect_b64 s[0:1], -1, 0
	s_add_i32 s2, s19, -2
	s_cmp_lg_u32 s18, s2
	s_cselect_b64 s[2:3], -1, 0
	s_and_b64 s[0:1], s[0:1], s[2:3]
	v_cndmask_b32_e64 v1, 0, 1, s[0:1]
	s_mov_b64 s[4:5], 0
	v_cmp_ne_u32_e64 s[0:1], 1, v1
	s_branch .LBB47_36
.LBB47_35:                              ;   in Loop: Header=BB47_36 Depth=1
	s_or_b64 exec, exec, s[2:3]
	v_add_u32_e32 v0, 0x100, v0
	v_cmp_le_i32_e32 vcc, s22, v0
	s_or_b64 s[4:5], vcc, s[4:5]
	s_andn2_b64 exec, exec, s[4:5]
	s_cbranch_execz .LBB47_42
.LBB47_36:                              ; =>This Loop Header: Depth=1
                                        ;     Child Loop BB47_38 Depth 2
	s_and_b64 vcc, exec, s[0:1]
	v_mov_b32_e32 v4, s18
	v_mov_b32_e32 v2, s23
	s_cbranch_vccnz .LBB47_40
; %bb.37:                               ;   in Loop: Header=BB47_36 Depth=1
	s_mov_b64 s[6:7], 0
	v_mov_b32_e32 v4, s18
	v_mov_b32_e32 v2, s23
.LBB47_38:                              ;   Parent Loop BB47_36 Depth=1
                                        ; =>  This Inner Loop Header: Depth=2
	v_add_u32_e32 v1, v2, v4
	v_lshrrev_b32_e32 v3, 31, v1
	v_add_u32_e32 v1, v1, v3
	v_ashrrev_i32_e32 v6, 1, v1
	v_ashrrev_i32_e32 v7, 31, v6
	v_lshl_add_u64 v[8:9], v[6:7], 2, s[8:9]
	global_load_dword v1, v[8:9], off
	s_waitcnt vmcnt(0)
	v_subrev_u32_e32 v1, s16, v1
	v_cmp_lt_i32_e32 vcc, v0, v1
	s_nop 1
	v_cndmask_b32_e32 v2, v2, v6, vcc
	v_cndmask_b32_e32 v4, v6, v4, vcc
	v_add_u32_e32 v1, -1, v2
	v_cmp_ge_i32_e32 vcc, v4, v2
	v_cmp_eq_u32_e64 s[2:3], v4, v1
	s_or_b64 s[2:3], vcc, s[2:3]
	s_and_b64 s[2:3], exec, s[2:3]
	s_or_b64 s[6:7], s[2:3], s[6:7]
	s_andn2_b64 exec, exec, s[6:7]
	s_cbranch_execnz .LBB47_38
; %bb.39:                               ;   in Loop: Header=BB47_36 Depth=1
	s_or_b64 exec, exec, s[6:7]
.LBB47_40:                              ;   in Loop: Header=BB47_36 Depth=1
	v_ashrrev_i32_e32 v3, 31, v2
	v_lshl_add_u64 v[6:7], v[2:3], 2, s[8:9]
	global_load_dword v3, v[6:7], off
	v_ashrrev_i32_e32 v1, 31, v0
	v_lshl_add_u64 v[6:7], v[0:1], 2, s[10:11]
	global_load_dword v5, v[6:7], off
	s_waitcnt vmcnt(1)
	v_subrev_u32_e32 v3, s16, v3
	v_cmp_lt_i32_e32 vcc, v0, v3
	s_nop 1
	v_cndmask_b32_e32 v4, v2, v4, vcc
	s_waitcnt vmcnt(0)
	v_subrev_u32_e32 v2, s16, v5
	v_cmp_ne_u32_e32 vcc, v2, v4
	s_and_saveexec_b64 s[2:3], vcc
	s_cbranch_execz .LBB47_35
; %bb.41:                               ;   in Loop: Header=BB47_36 Depth=1
	v_lshl_add_u64 v[6:7], s[12:13], 0, v[0:1]
	v_ashrrev_i32_e32 v5, 31, v4
	global_load_sbyte v1, v[6:7], off
	v_lshl_add_u64 v[4:5], s[14:15], 0, v[4:5]
	global_load_sbyte v4, v[4:5], off
	v_ashrrev_i32_e32 v3, 31, v2
	v_lshl_add_u64 v[2:3], v[2:3], 2, s[20:21]
	s_waitcnt vmcnt(1)
	v_mul_lo_u32 v1, s17, v1
	s_waitcnt vmcnt(0)
	v_mul_lo_u32 v1, v1, v4
	global_atomic_add v[2:3], v1, off
	s_branch .LBB47_35
.LBB47_42:
	s_endpgm
	.section	.rodata,"a",@progbits
	.p2align	6, 0x0
	.amdhsa_kernel _ZL33csrmvn_symm_large_adaptive_kernelIiiaaiiEvbT_PKS0_N9rocsparse24const_host_device_scalarIT4_EES2_PKT0_PKT1_PKT2_S6_PT3_21rocsparse_index_base_b
		.amdhsa_group_segment_fixed_size 4096
		.amdhsa_private_segment_fixed_size 0
		.amdhsa_kernarg_size 80
		.amdhsa_user_sgpr_count 2
		.amdhsa_user_sgpr_dispatch_ptr 0
		.amdhsa_user_sgpr_queue_ptr 0
		.amdhsa_user_sgpr_kernarg_segment_ptr 1
		.amdhsa_user_sgpr_dispatch_id 0
		.amdhsa_user_sgpr_kernarg_preload_length 0
		.amdhsa_user_sgpr_kernarg_preload_offset 0
		.amdhsa_user_sgpr_private_segment_size 0
		.amdhsa_uses_dynamic_stack 0
		.amdhsa_enable_private_segment 0
		.amdhsa_system_sgpr_workgroup_id_x 1
		.amdhsa_system_sgpr_workgroup_id_y 0
		.amdhsa_system_sgpr_workgroup_id_z 0
		.amdhsa_system_sgpr_workgroup_info 0
		.amdhsa_system_vgpr_workitem_id 0
		.amdhsa_next_free_vgpr 23
		.amdhsa_next_free_sgpr 39
		.amdhsa_accum_offset 24
		.amdhsa_reserve_vcc 1
		.amdhsa_float_round_mode_32 0
		.amdhsa_float_round_mode_16_64 0
		.amdhsa_float_denorm_mode_32 3
		.amdhsa_float_denorm_mode_16_64 3
		.amdhsa_dx10_clamp 1
		.amdhsa_ieee_mode 1
		.amdhsa_fp16_overflow 0
		.amdhsa_tg_split 0
		.amdhsa_exception_fp_ieee_invalid_op 0
		.amdhsa_exception_fp_denorm_src 0
		.amdhsa_exception_fp_ieee_div_zero 0
		.amdhsa_exception_fp_ieee_overflow 0
		.amdhsa_exception_fp_ieee_underflow 0
		.amdhsa_exception_fp_ieee_inexact 0
		.amdhsa_exception_int_div_zero 0
	.end_amdhsa_kernel
	.section	.text._ZL33csrmvn_symm_large_adaptive_kernelIiiaaiiEvbT_PKS0_N9rocsparse24const_host_device_scalarIT4_EES2_PKT0_PKT1_PKT2_S6_PT3_21rocsparse_index_base_b,"axG",@progbits,_ZL33csrmvn_symm_large_adaptive_kernelIiiaaiiEvbT_PKS0_N9rocsparse24const_host_device_scalarIT4_EES2_PKT0_PKT1_PKT2_S6_PT3_21rocsparse_index_base_b,comdat
.Lfunc_end47:
	.size	_ZL33csrmvn_symm_large_adaptive_kernelIiiaaiiEvbT_PKS0_N9rocsparse24const_host_device_scalarIT4_EES2_PKT0_PKT1_PKT2_S6_PT3_21rocsparse_index_base_b, .Lfunc_end47-_ZL33csrmvn_symm_large_adaptive_kernelIiiaaiiEvbT_PKS0_N9rocsparse24const_host_device_scalarIT4_EES2_PKT0_PKT1_PKT2_S6_PT3_21rocsparse_index_base_b
                                        ; -- End function
	.set _ZL33csrmvn_symm_large_adaptive_kernelIiiaaiiEvbT_PKS0_N9rocsparse24const_host_device_scalarIT4_EES2_PKT0_PKT1_PKT2_S6_PT3_21rocsparse_index_base_b.num_vgpr, 23
	.set _ZL33csrmvn_symm_large_adaptive_kernelIiiaaiiEvbT_PKS0_N9rocsparse24const_host_device_scalarIT4_EES2_PKT0_PKT1_PKT2_S6_PT3_21rocsparse_index_base_b.num_agpr, 0
	.set _ZL33csrmvn_symm_large_adaptive_kernelIiiaaiiEvbT_PKS0_N9rocsparse24const_host_device_scalarIT4_EES2_PKT0_PKT1_PKT2_S6_PT3_21rocsparse_index_base_b.numbered_sgpr, 39
	.set _ZL33csrmvn_symm_large_adaptive_kernelIiiaaiiEvbT_PKS0_N9rocsparse24const_host_device_scalarIT4_EES2_PKT0_PKT1_PKT2_S6_PT3_21rocsparse_index_base_b.num_named_barrier, 0
	.set _ZL33csrmvn_symm_large_adaptive_kernelIiiaaiiEvbT_PKS0_N9rocsparse24const_host_device_scalarIT4_EES2_PKT0_PKT1_PKT2_S6_PT3_21rocsparse_index_base_b.private_seg_size, 0
	.set _ZL33csrmvn_symm_large_adaptive_kernelIiiaaiiEvbT_PKS0_N9rocsparse24const_host_device_scalarIT4_EES2_PKT0_PKT1_PKT2_S6_PT3_21rocsparse_index_base_b.uses_vcc, 1
	.set _ZL33csrmvn_symm_large_adaptive_kernelIiiaaiiEvbT_PKS0_N9rocsparse24const_host_device_scalarIT4_EES2_PKT0_PKT1_PKT2_S6_PT3_21rocsparse_index_base_b.uses_flat_scratch, 0
	.set _ZL33csrmvn_symm_large_adaptive_kernelIiiaaiiEvbT_PKS0_N9rocsparse24const_host_device_scalarIT4_EES2_PKT0_PKT1_PKT2_S6_PT3_21rocsparse_index_base_b.has_dyn_sized_stack, 0
	.set _ZL33csrmvn_symm_large_adaptive_kernelIiiaaiiEvbT_PKS0_N9rocsparse24const_host_device_scalarIT4_EES2_PKT0_PKT1_PKT2_S6_PT3_21rocsparse_index_base_b.has_recursion, 0
	.set _ZL33csrmvn_symm_large_adaptive_kernelIiiaaiiEvbT_PKS0_N9rocsparse24const_host_device_scalarIT4_EES2_PKT0_PKT1_PKT2_S6_PT3_21rocsparse_index_base_b.has_indirect_call, 0
	.section	.AMDGPU.csdata,"",@progbits
; Kernel info:
; codeLenInByte = 1740
; TotalNumSgprs: 45
; NumVgprs: 23
; NumAgprs: 0
; TotalNumVgprs: 23
; ScratchSize: 0
; MemoryBound: 0
; FloatMode: 240
; IeeeMode: 1
; LDSByteSize: 4096 bytes/workgroup (compile time only)
; SGPRBlocks: 5
; VGPRBlocks: 2
; NumSGPRsForWavesPerEU: 45
; NumVGPRsForWavesPerEU: 23
; AccumOffset: 24
; Occupancy: 8
; WaveLimiterHint : 1
; COMPUTE_PGM_RSRC2:SCRATCH_EN: 0
; COMPUTE_PGM_RSRC2:USER_SGPR: 2
; COMPUTE_PGM_RSRC2:TRAP_HANDLER: 0
; COMPUTE_PGM_RSRC2:TGID_X_EN: 1
; COMPUTE_PGM_RSRC2:TGID_Y_EN: 0
; COMPUTE_PGM_RSRC2:TGID_Z_EN: 0
; COMPUTE_PGM_RSRC2:TIDIG_COMP_CNT: 0
; COMPUTE_PGM_RSRC3_GFX90A:ACCUM_OFFSET: 5
; COMPUTE_PGM_RSRC3_GFX90A:TG_SPLIT: 0
	.section	.text._ZN9rocsparseL22csrmvn_adaptive_kernelIliaaiiEEvbT_PKS1_PjPKT0_NS_24const_host_device_scalarIT4_EES3_S7_PKT1_PKT2_SA_PT3_21rocsparse_index_base_b,"axG",@progbits,_ZN9rocsparseL22csrmvn_adaptive_kernelIliaaiiEEvbT_PKS1_PjPKT0_NS_24const_host_device_scalarIT4_EES3_S7_PKT1_PKT2_SA_PT3_21rocsparse_index_base_b,comdat
	.globl	_ZN9rocsparseL22csrmvn_adaptive_kernelIliaaiiEEvbT_PKS1_PjPKT0_NS_24const_host_device_scalarIT4_EES3_S7_PKT1_PKT2_SA_PT3_21rocsparse_index_base_b ; -- Begin function _ZN9rocsparseL22csrmvn_adaptive_kernelIliaaiiEEvbT_PKS1_PjPKT0_NS_24const_host_device_scalarIT4_EES3_S7_PKT1_PKT2_SA_PT3_21rocsparse_index_base_b
	.p2align	8
	.type	_ZN9rocsparseL22csrmvn_adaptive_kernelIliaaiiEEvbT_PKS1_PjPKT0_NS_24const_host_device_scalarIT4_EES3_S7_PKT1_PKT2_SA_PT3_21rocsparse_index_base_b,@function
_ZN9rocsparseL22csrmvn_adaptive_kernelIliaaiiEEvbT_PKS1_PjPKT0_NS_24const_host_device_scalarIT4_EES3_S7_PKT1_PKT2_SA_PT3_21rocsparse_index_base_b: ; @_ZN9rocsparseL22csrmvn_adaptive_kernelIliaaiiEEvbT_PKS1_PjPKT0_NS_24const_host_device_scalarIT4_EES3_S7_PKT1_PKT2_SA_PT3_21rocsparse_index_base_b
; %bb.0:
	s_load_dwordx2 s[44:45], s[0:1], 0x60
	s_load_dwordx2 s[8:9], s[0:1], 0x28
	s_mov_b64 s[10:11], -1
                                        ; implicit-def: $sgpr71
	s_waitcnt lgkmcnt(0)
	s_bitcmp1_b32 s45, 0
	s_cselect_b64 s[4:5], -1, 0
	s_xor_b64 s[6:7], s[4:5], -1
	s_and_b64 vcc, exec, s[6:7]
	s_cbranch_vccnz .LBB48_4
; %bb.1:
	s_load_dwordx2 s[4:5], s[0:1], 0x50
	s_andn2_b64 vcc, exec, s[10:11]
	s_cbranch_vccz .LBB48_5
.LBB48_2:
	s_and_b64 vcc, exec, s[6:7]
	s_cbranch_vccz .LBB48_6
.LBB48_3:
	s_waitcnt lgkmcnt(0)
	s_load_dword s33, s[4:5], 0x0
	s_cbranch_execz .LBB48_7
	s_branch .LBB48_8
.LBB48_4:
	s_load_dword s71, s[8:9], 0x0
	s_load_dwordx2 s[4:5], s[0:1], 0x50
	s_cbranch_execnz .LBB48_2
.LBB48_5:
	s_waitcnt lgkmcnt(0)
	s_mov_b32 s71, s8
	s_and_b64 vcc, exec, s[6:7]
	s_cbranch_vccnz .LBB48_3
.LBB48_6:
                                        ; implicit-def: $sgpr33
.LBB48_7:
	s_waitcnt lgkmcnt(0)
	s_mov_b32 s33, s4
.LBB48_8:
	s_waitcnt lgkmcnt(0)
	s_cmp_lg_u32 s71, 0
	s_cselect_b64 s[4:5], -1, 0
	s_cmp_lg_u32 s33, 1
	s_cselect_b64 s[6:7], -1, 0
	s_or_b64 s[4:5], s[4:5], s[6:7]
	s_andn2_b64 vcc, exec, s[4:5]
	s_cbranch_vccnz .LBB48_148
; %bb.9:
	s_load_dwordx2 s[4:5], s[0:1], 0x10
	s_load_dwordx2 s[6:7], s[0:1], 0x20
	s_ashr_i32 s3, s2, 31
	s_lshl_b64 s[8:9], s[2:3], 3
	s_waitcnt lgkmcnt(0)
	s_add_u32 s4, s4, s8
	s_addc_u32 s5, s5, s9
	s_load_dwordx4 s[28:31], s[4:5], 0x0
	s_load_dwordx2 s[34:35], s[0:1], 0x58
	s_load_dwordx8 s[20:27], s[0:1], 0x30
	s_lshl_b64 s[46:47], s[2:3], 2
	s_waitcnt lgkmcnt(0)
	s_sub_i32 s3, s30, s28
	s_add_u32 s4, s6, s46
	s_addc_u32 s5, s7, s47
	s_lshl_b64 s[6:7], s[28:29], 3
	s_add_u32 s40, s20, s6
	s_addc_u32 s41, s21, s7
	s_load_dword s70, s[4:5], 0x0
	s_load_dwordx2 s[42:43], s[40:41], 0x0
	s_cmp_lt_i32 s3, 2
	s_mov_b64 s[4:5], -1
	s_cbranch_scc0 .LBB48_87
; %bb.10:
	s_cmp_lg_u32 s3, 1
	s_cselect_b64 s[4:5], -1, 0
	s_waitcnt lgkmcnt(0)
	s_cmp_lg_u32 s70, 0
	s_cselect_b64 s[6:7], -1, 0
	s_or_b64 s[6:7], s[4:5], s[6:7]
	s_mov_b64 s[4:5], -1
	s_and_b64 vcc, exec, s[6:7]
	s_cbranch_vccnz .LBB48_45
; %bb.11:
	v_mov_b64_e32 v[2:3], s[28:29]
	v_cmp_le_i64_e32 vcc, s[30:31], v[2:3]
	s_cbranch_vccnz .LBB48_44
; %bb.12:
	v_subrev_co_u32_e32 v2, vcc, s44, v0
	s_cmp_lg_u32 s33, 0
	s_nop 0
	v_subb_co_u32_e64 v3, s[4:5], 0, 0, vcc
	v_or_b32_e32 v6, 0x100, v0
	s_mov_b32 s45, 0
	s_movk_i32 s3, 0x80
	s_cselect_b64 s[48:49], -1, 0
	v_mov_b32_e32 v5, -1
	v_not_b32_e32 v4, v0
	v_subrev_co_u32_e32 v6, vcc, s44, v6
	v_lshl_add_u64 v[8:9], s[24:25], 0, v[2:3]
	s_mov_b64 s[50:51], 0x100
	s_add_u32 s54, s22, 0x400
	v_mov_b32_e32 v1, 0
	v_lshlrev_b32_e32 v26, 2, v0
	v_cmp_gt_u32_e64 s[4:5], s3, v0
	v_cmp_gt_u32_e64 s[6:7], 64, v0
	;; [unrolled: 1-line block ×7, first 2 shown]
	v_cmp_eq_u32_e64 s[18:19], 0, v0
	v_lshl_add_u64 v[4:5], v[4:5], 0, s[44:45]
	v_subb_co_u32_e64 v7, s[36:37], 0, 0, vcc
	s_mov_b32 s3, s71
	s_mov_b32 s45, s44
	v_lshl_add_u64 v[8:9], v[8:9], 0, s[50:51]
	s_mov_b64 s[52:53], 0x400
	s_addc_u32 s55, s23, 0
	s_mov_b64 s[56:57], 0xff
	s_mov_b64 s[58:59], 0x200
	;; [unrolled: 1-line block ×4, first 2 shown]
	s_branch .LBB48_15
.LBB48_13:                              ;   in Loop: Header=BB48_15 Depth=1
	s_lshl_b64 s[38:39], s[62:63], 2
	s_add_u32 s38, s34, s38
	s_addc_u32 s39, s35, s39
	s_waitcnt lgkmcnt(0)
	global_store_dword v1, v10, s[38:39]
.LBB48_14:                              ;   in Loop: Header=BB48_15 Depth=1
	s_or_b64 exec, exec, s[36:37]
	s_add_u32 s62, s62, 1
	s_addc_u32 s63, s63, 0
	v_mov_b64_e32 v[10:11], s[30:31]
	v_cmp_ge_i64_e32 vcc, s[62:63], v[10:11]
	s_cbranch_vccnz .LBB48_44
.LBB48_15:                              ; =>This Loop Header: Depth=1
                                        ;     Child Loop BB48_18 Depth 2
                                        ;     Child Loop BB48_22 Depth 2
	s_lshl_b64 s[36:37], s[62:63], 3
	s_add_u32 s64, s20, s36
	s_addc_u32 s65, s21, s37
	s_load_dwordx4 s[36:39], s[64:65], 0x0
	v_mov_b32_e32 v12, 0
	s_waitcnt lgkmcnt(0)
	s_sub_u32 s64, s38, s44
	v_lshl_add_u64 v[10:11], s[36:37], 0, v[2:3]
	s_subb_u32 s65, s39, 0
	v_cmp_gt_i64_e32 vcc, s[64:65], v[10:11]
	s_and_saveexec_b64 s[38:39], vcc
	s_cbranch_execz .LBB48_25
; %bb.16:                               ;   in Loop: Header=BB48_15 Depth=1
	v_lshl_add_u64 v[12:13], v[6:7], 0, s[36:37]
	v_mov_b32_e32 v14, s65
	v_cmp_lt_i64_e32 vcc, s[64:65], v[12:13]
	v_mov_b32_e32 v15, s37
	s_mov_b64 s[68:69], -1
	v_cndmask_b32_e32 v13, v14, v13, vcc
	v_mov_b32_e32 v14, s64
	v_cndmask_b32_e32 v12, v14, v12, vcc
	v_lshl_add_u64 v[12:13], v[4:5], 0, v[12:13]
	v_subrev_co_u32_e32 v14, vcc, s36, v12
	v_mov_b32_e32 v12, 0
	s_nop 0
	v_subb_co_u32_e32 v15, vcc, v13, v15, vcc
	v_cmp_lt_u64_e32 vcc, s[56:57], v[14:15]
	s_and_saveexec_b64 s[66:67], vcc
	s_cbranch_execz .LBB48_20
; %bb.17:                               ;   in Loop: Header=BB48_15 Depth=1
	v_lshrrev_b64 v[12:13], 8, v[14:15]
	v_lshl_add_u64 v[14:15], v[12:13], 0, 1
	v_and_b32_e32 v16, -2, v14
	v_mov_b32_e32 v17, v15
	v_lshl_add_u64 v[18:19], v[8:9], 0, s[36:37]
	v_lshl_add_u64 v[20:21], v[10:11], 2, s[54:55]
	v_mov_b32_e32 v12, 0
	s_mov_b64 s[36:37], 0
	v_mov_b64_e32 v[24:25], v[16:17]
	v_mov_b32_e32 v22, 0
.LBB48_18:                              ;   Parent Loop BB48_15 Depth=1
                                        ; =>  This Inner Loop Header: Depth=2
	global_load_dword v13, v[20:21], off offset:-1024
	global_load_dword v23, v[20:21], off
	global_load_sbyte v27, v[18:19], off
	global_load_sbyte v32, v[18:19], off offset:-256
	v_lshl_add_u64 v[24:25], v[24:25], 0, -2
	v_cmp_eq_u64_e32 vcc, 0, v[24:25]
	v_lshl_add_u64 v[18:19], v[18:19], 0, s[58:59]
	v_lshl_add_u64 v[20:21], v[20:21], 0, s[60:61]
	s_or_b64 s[36:37], vcc, s[36:37]
	s_waitcnt vmcnt(3)
	v_subrev_u32_e32 v28, s44, v13
	s_waitcnt vmcnt(2)
	v_subrev_u32_e32 v30, s45, v23
	v_ashrrev_i32_e32 v31, 31, v30
	v_ashrrev_i32_e32 v29, 31, v28
	v_lshl_add_u64 v[28:29], s[26:27], 0, v[28:29]
	v_lshl_add_u64 v[30:31], s[26:27], 0, v[30:31]
	global_load_sbyte v13, v[30:31], off
	s_nop 0
	global_load_sbyte v28, v[28:29], off
	s_waitcnt vmcnt(2)
	v_mul_lo_u32 v29, s71, v32
	v_mul_lo_u32 v23, s3, v27
	s_waitcnt vmcnt(1)
	v_mad_u64_u32 v[22:23], s[68:69], v23, v13, v[22:23]
	s_waitcnt vmcnt(0)
	v_mad_u64_u32 v[12:13], s[68:69], v29, v28, v[12:13]
	s_andn2_b64 exec, exec, s[36:37]
	s_cbranch_execnz .LBB48_18
; %bb.19:                               ;   in Loop: Header=BB48_15 Depth=1
	s_or_b64 exec, exec, s[36:37]
	v_lshlrev_b64 v[18:19], 8, v[16:17]
	v_cmp_ne_u64_e32 vcc, v[14:15], v[16:17]
	v_lshl_add_u64 v[10:11], v[10:11], 0, v[18:19]
	v_add_u32_e32 v12, v12, v22
	s_orn2_b64 s[68:69], vcc, exec
.LBB48_20:                              ;   in Loop: Header=BB48_15 Depth=1
	s_or_b64 exec, exec, s[66:67]
	s_and_saveexec_b64 s[36:37], s[68:69]
	s_cbranch_execz .LBB48_24
; %bb.21:                               ;   in Loop: Header=BB48_15 Depth=1
	v_lshl_add_u64 v[14:15], v[10:11], 2, s[22:23]
	s_mov_b64 s[66:67], 0
.LBB48_22:                              ;   Parent Loop BB48_15 Depth=1
                                        ; =>  This Inner Loop Header: Depth=2
	global_load_dword v13, v[14:15], off
	v_lshl_add_u64 v[16:17], s[24:25], 0, v[10:11]
	global_load_sbyte v18, v[16:17], off
	v_lshl_add_u64 v[10:11], v[10:11], 0, s[50:51]
	v_cmp_le_i64_e32 vcc, s[64:65], v[10:11]
	v_lshl_add_u64 v[14:15], v[14:15], 0, s[52:53]
	s_or_b64 s[66:67], vcc, s[66:67]
	s_waitcnt vmcnt(1)
	v_subrev_u32_e32 v16, s44, v13
	v_ashrrev_i32_e32 v17, 31, v16
	v_lshl_add_u64 v[16:17], s[26:27], 0, v[16:17]
	global_load_sbyte v13, v[16:17], off
	s_waitcnt vmcnt(1)
	v_mul_lo_u32 v16, s71, v18
	s_waitcnt vmcnt(0)
	v_mad_u64_u32 v[12:13], s[68:69], v16, v13, v[12:13]
	s_andn2_b64 exec, exec, s[66:67]
	s_cbranch_execnz .LBB48_22
; %bb.23:                               ;   in Loop: Header=BB48_15 Depth=1
	s_or_b64 exec, exec, s[66:67]
.LBB48_24:                              ;   in Loop: Header=BB48_15 Depth=1
	s_or_b64 exec, exec, s[36:37]
.LBB48_25:                              ;   in Loop: Header=BB48_15 Depth=1
	s_or_b64 exec, exec, s[38:39]
	ds_write_b32 v26, v12
	s_waitcnt lgkmcnt(0)
	s_barrier
	s_and_saveexec_b64 s[36:37], s[4:5]
	s_cbranch_execz .LBB48_27
; %bb.26:                               ;   in Loop: Header=BB48_15 Depth=1
	ds_read2st64_b32 v[10:11], v26 offset1:2
	s_waitcnt lgkmcnt(0)
	v_add_u32_e32 v10, v11, v10
	ds_write_b32 v26, v10
.LBB48_27:                              ;   in Loop: Header=BB48_15 Depth=1
	s_or_b64 exec, exec, s[36:37]
	s_waitcnt lgkmcnt(0)
	s_barrier
	s_and_saveexec_b64 s[36:37], s[6:7]
	s_cbranch_execz .LBB48_29
; %bb.28:                               ;   in Loop: Header=BB48_15 Depth=1
	ds_read2st64_b32 v[10:11], v26 offset1:1
	s_waitcnt lgkmcnt(0)
	v_add_u32_e32 v10, v11, v10
	ds_write_b32 v26, v10
.LBB48_29:                              ;   in Loop: Header=BB48_15 Depth=1
	s_or_b64 exec, exec, s[36:37]
	s_waitcnt lgkmcnt(0)
	s_barrier
	s_and_saveexec_b64 s[36:37], s[8:9]
	s_cbranch_execz .LBB48_31
; %bb.30:                               ;   in Loop: Header=BB48_15 Depth=1
	ds_read2_b32 v[10:11], v26 offset1:32
	s_waitcnt lgkmcnt(0)
	v_add_u32_e32 v10, v11, v10
	ds_write_b32 v26, v10
.LBB48_31:                              ;   in Loop: Header=BB48_15 Depth=1
	s_or_b64 exec, exec, s[36:37]
	s_waitcnt lgkmcnt(0)
	s_barrier
	s_and_saveexec_b64 s[36:37], s[10:11]
	s_cbranch_execz .LBB48_33
; %bb.32:                               ;   in Loop: Header=BB48_15 Depth=1
	ds_read2_b32 v[10:11], v26 offset1:16
	s_waitcnt lgkmcnt(0)
	v_add_u32_e32 v10, v11, v10
	ds_write_b32 v26, v10
.LBB48_33:                              ;   in Loop: Header=BB48_15 Depth=1
	;; [unrolled: 11-line block ×5, first 2 shown]
	s_or_b64 exec, exec, s[36:37]
	s_waitcnt lgkmcnt(0)
	s_barrier
	s_and_saveexec_b64 s[36:37], s[18:19]
	s_cbranch_execz .LBB48_41
; %bb.40:                               ;   in Loop: Header=BB48_15 Depth=1
	ds_read_b64 v[10:11], v1
	s_waitcnt lgkmcnt(0)
	v_add_u32_e32 v10, v11, v10
	ds_write_b32 v1, v10
.LBB48_41:                              ;   in Loop: Header=BB48_15 Depth=1
	s_or_b64 exec, exec, s[36:37]
	s_waitcnt lgkmcnt(0)
	s_barrier
	s_and_saveexec_b64 s[36:37], s[18:19]
	s_cbranch_execz .LBB48_14
; %bb.42:                               ;   in Loop: Header=BB48_15 Depth=1
	ds_read_b32 v10, v1
	s_andn2_b64 vcc, exec, s[48:49]
	s_cbranch_vccnz .LBB48_13
; %bb.43:                               ;   in Loop: Header=BB48_15 Depth=1
	s_lshl_b64 s[38:39], s[62:63], 2
	s_add_u32 s38, s34, s38
	s_addc_u32 s39, s35, s39
	global_load_dword v11, v1, s[38:39]
	s_waitcnt vmcnt(0)
	v_mul_lo_u32 v11, v11, s33
	s_waitcnt lgkmcnt(0)
	v_add_u32_e32 v10, v11, v10
	s_branch .LBB48_13
.LBB48_44:
	s_mov_b64 s[4:5], 0
.LBB48_45:
	s_andn2_b64 vcc, exec, s[4:5]
	s_cbranch_vccnz .LBB48_86
; %bb.46:
	s_load_dwordx2 s[4:5], s[0:1], 0x18
	s_sub_i32 s6, s2, s70
	v_mov_b32_e32 v1, 0
	v_or_b32_e32 v2, s70, v0
	v_cmp_eq_u32_e32 vcc, 0, v2
	s_waitcnt lgkmcnt(0)
	s_add_u32 s2, s4, s46
	s_addc_u32 s3, s5, s47
	global_load_dword v18, v1, s[2:3]
	v_mov_b32_e32 v2, v1
	s_and_saveexec_b64 s[8:9], vcc
	s_cbranch_execz .LBB48_50
; %bb.47:
	s_lshl_b64 s[12:13], s[28:29], 2
	s_add_u32 s12, s34, s12
	s_addc_u32 s13, s35, s13
	v_mov_b32_e32 v3, 0
	global_load_dword v2, v3, s[12:13]
	s_mov_b64 s[10:11], exec
	v_mbcnt_lo_u32_b32 v4, s10, 0
	v_mbcnt_hi_u32_b32 v4, s11, v4
	s_add_i32 s14, s33, -1
	v_cmp_eq_u32_e32 vcc, 0, v4
	s_waitcnt vmcnt(0) expcnt(0) lgkmcnt(0)
	s_and_saveexec_b64 s[12:13], vcc
	s_cbranch_execz .LBB48_49
; %bb.48:
	s_ashr_i32 s7, s6, 31
	s_lshl_b64 s[16:17], s[6:7], 2
	s_add_u32 s16, s4, s16
	s_addc_u32 s17, s5, s17
	s_bcnt1_i32_b64 s7, s[10:11]
	s_and_b32 s7, s7, 1
	v_mov_b32_e32 v4, s7
	global_atomic_xor v3, v4, s[16:17]
.LBB48_49:
	s_or_b64 exec, exec, s[12:13]
	v_mul_lo_u32 v2, v2, s14
.LBB48_50:
	s_or_b64 exec, exec, s[8:9]
	s_load_dwordx2 s[8:9], s[40:41], 0x8
	s_sub_u32 s10, s42, s44
	s_mul_i32 s14, s70, 0xc00
	s_subb_u32 s11, s43, 0
	s_mul_hi_i32 s7, s70, 0xc00
	s_add_u32 s12, s10, s14
	s_addc_u32 s13, s11, s7
	s_waitcnt lgkmcnt(0)
	s_sub_u32 s10, s8, s44
	s_subb_u32 s11, s9, 0
	v_lshl_add_u64 v[4:5], s[12:13], 0, v[0:1]
	v_cmp_gt_i64_e32 vcc, s[10:11], v[4:5]
	s_and_saveexec_b64 s[8:9], vcc
	s_cbranch_execz .LBB48_60
; %bb.51:
	s_add_u32 s12, s12, 0xc00
	s_addc_u32 s13, s13, 0
	v_mov_b64_e32 v[6:7], s[10:11]
	v_cmp_lt_i64_e32 vcc, s[12:13], v[6:7]
	s_and_b64 s[16:17], vcc, exec
	s_cselect_b32 s11, s13, s11
	s_cselect_b32 s10, s12, s10
	s_add_u32 s12, s42, s14
	s_addc_u32 s13, s43, s7
	v_lshl_add_u64 v[6:7], s[12:13], 0, v[0:1]
	v_subrev_co_u32_e32 v6, vcc, s44, v6
	s_mov_b64 s[12:13], 0x100
	s_nop 0
	v_subbrev_co_u32_e32 v7, vcc, 0, v7, vcc
	v_lshl_add_u64 v[10:11], v[6:7], 0, s[12:13]
	v_mov_b32_e32 v1, s11
	v_cmp_gt_i64_e32 vcc, s[10:11], v[10:11]
	s_not_b64 s[12:13], s[42:43]
	s_add_u32 s12, s12, s44
	v_cndmask_b32_e32 v7, v11, v1, vcc
	v_mov_b32_e32 v1, s10
	v_cndmask_b32_e32 v6, v10, v1, vcc
	s_addc_u32 s13, s13, 0
	v_lshl_add_u64 v[6:7], s[12:13], 0, v[6:7]
	v_or_b32_e32 v1, s14, v0
	v_mov_b32_e32 v3, s7
	v_sub_co_u32_e32 v6, vcc, v6, v1
	s_mov_b64 s[12:13], 0xff
	s_nop 0
	v_subb_co_u32_e32 v7, vcc, v7, v3, vcc
	v_cmp_lt_u64_e32 vcc, s[12:13], v[6:7]
	s_mov_b64 s[14:15], -1
	s_and_saveexec_b64 s[12:13], vcc
	s_cbranch_execz .LBB48_55
; %bb.52:
	v_lshrrev_b64 v[6:7], 8, v[6:7]
	v_lshl_add_u64 v[6:7], v[6:7], 0, 1
	v_and_b32_e32 v8, -2, v6
	v_mov_b32_e32 v9, v7
	v_lshl_add_u64 v[12:13], s[24:25], 0, v[10:11]
	v_lshl_add_u64 v[10:11], v[4:5], 2, s[22:23]
	s_mov_b64 s[14:15], 0x400
	s_mov_b32 s7, s71
	s_mov_b32 s36, s44
	v_lshl_add_u64 v[14:15], v[10:11], 0, s[14:15]
	v_mov_b32_e32 v10, 0
	s_mov_b64 s[14:15], 0
	s_mov_b64 s[16:17], 0x200
	;; [unrolled: 1-line block ×3, first 2 shown]
	v_mov_b64_e32 v[16:17], v[8:9]
.LBB48_53:                              ; =>This Inner Loop Header: Depth=1
	global_load_dword v1, v[14:15], off offset:-1024
	global_load_dword v3, v[14:15], off
	global_load_sbyte v11, v[12:13], off
	global_load_sbyte v19, v[12:13], off offset:-256
	v_lshl_add_u64 v[16:17], v[16:17], 0, -2
	v_cmp_eq_u64_e32 vcc, 0, v[16:17]
	v_lshl_add_u64 v[12:13], v[12:13], 0, s[16:17]
	v_lshl_add_u64 v[14:15], v[14:15], 0, s[18:19]
	s_or_b64 s[14:15], vcc, s[14:15]
	s_waitcnt vmcnt(3)
	v_subrev_u32_e32 v20, s44, v1
	s_waitcnt vmcnt(2)
	v_subrev_u32_e32 v22, s36, v3
	v_ashrrev_i32_e32 v23, 31, v22
	v_ashrrev_i32_e32 v21, 31, v20
	v_lshl_add_u64 v[22:23], s[26:27], 0, v[22:23]
	v_lshl_add_u64 v[20:21], s[26:27], 0, v[20:21]
	global_load_sbyte v1, v[22:23], off
	global_load_sbyte v3, v[20:21], off
	s_waitcnt vmcnt(2)
	v_mul_lo_u32 v19, s71, v19
	v_mul_lo_u32 v11, s7, v11
	s_waitcnt vmcnt(1)
	v_mad_u64_u32 v[10:11], s[38:39], v11, v1, v[10:11]
	s_waitcnt vmcnt(0)
	v_mad_u64_u32 v[2:3], s[38:39], v19, v3, v[2:3]
	s_andn2_b64 exec, exec, s[14:15]
	s_cbranch_execnz .LBB48_53
; %bb.54:
	s_or_b64 exec, exec, s[14:15]
	v_lshlrev_b64 v[12:13], 8, v[8:9]
	v_cmp_ne_u64_e32 vcc, v[6:7], v[8:9]
	v_lshl_add_u64 v[4:5], v[4:5], 0, v[12:13]
	v_add_u32_e32 v2, v2, v10
	s_orn2_b64 s[14:15], vcc, exec
.LBB48_55:
	s_or_b64 exec, exec, s[12:13]
	s_and_saveexec_b64 s[12:13], s[14:15]
	s_cbranch_execz .LBB48_59
; %bb.56:
	v_lshl_add_u64 v[6:7], v[4:5], 2, s[22:23]
	s_mov_b64 s[14:15], 0
	s_mov_b64 s[16:17], 0x100
	;; [unrolled: 1-line block ×3, first 2 shown]
.LBB48_57:                              ; =>This Inner Loop Header: Depth=1
	global_load_dword v1, v[6:7], off
	v_lshl_add_u64 v[8:9], s[24:25], 0, v[4:5]
	global_load_sbyte v3, v[8:9], off
	v_lshl_add_u64 v[4:5], v[4:5], 0, s[16:17]
	v_cmp_le_i64_e32 vcc, s[10:11], v[4:5]
	v_lshl_add_u64 v[6:7], v[6:7], 0, s[18:19]
	s_or_b64 s[14:15], vcc, s[14:15]
	s_waitcnt vmcnt(1)
	v_subrev_u32_e32 v8, s44, v1
	v_ashrrev_i32_e32 v9, 31, v8
	v_lshl_add_u64 v[8:9], s[26:27], 0, v[8:9]
	global_load_sbyte v1, v[8:9], off
	s_waitcnt vmcnt(1)
	v_mul_lo_u32 v3, s71, v3
	s_waitcnt vmcnt(0)
	v_mad_u64_u32 v[2:3], s[36:37], v3, v1, v[2:3]
	s_andn2_b64 exec, exec, s[14:15]
	s_cbranch_execnz .LBB48_57
; %bb.58:
	s_or_b64 exec, exec, s[14:15]
.LBB48_59:
	s_or_b64 exec, exec, s[12:13]
.LBB48_60:
	s_or_b64 exec, exec, s[8:9]
	s_movk_i32 s7, 0x80
	v_lshlrev_b32_e32 v1, 2, v0
	v_cmp_gt_u32_e32 vcc, s7, v0
	ds_write_b32 v1, v2
	s_waitcnt lgkmcnt(0)
	s_barrier
	s_and_saveexec_b64 s[8:9], vcc
	s_cbranch_execz .LBB48_62
; %bb.61:
	ds_read2st64_b32 v[2:3], v1 offset1:2
	s_waitcnt lgkmcnt(0)
	v_add_u32_e32 v2, v3, v2
	ds_write_b32 v1, v2
.LBB48_62:
	s_or_b64 exec, exec, s[8:9]
	v_cmp_gt_u32_e32 vcc, 64, v0
	s_waitcnt lgkmcnt(0)
	s_barrier
	s_and_saveexec_b64 s[8:9], vcc
	s_cbranch_execz .LBB48_64
; %bb.63:
	ds_read2st64_b32 v[2:3], v1 offset1:1
	s_waitcnt lgkmcnt(0)
	v_add_u32_e32 v2, v3, v2
	ds_write_b32 v1, v2
.LBB48_64:
	s_or_b64 exec, exec, s[8:9]
	v_cmp_gt_u32_e32 vcc, 32, v0
	s_waitcnt lgkmcnt(0)
	s_barrier
	s_and_saveexec_b64 s[8:9], vcc
	s_cbranch_execz .LBB48_66
; %bb.65:
	ds_read2_b32 v[2:3], v1 offset1:32
	s_waitcnt lgkmcnt(0)
	v_add_u32_e32 v2, v3, v2
	ds_write_b32 v1, v2
.LBB48_66:
	s_or_b64 exec, exec, s[8:9]
	v_cmp_gt_u32_e32 vcc, 16, v0
	s_waitcnt lgkmcnt(0)
	s_barrier
	s_and_saveexec_b64 s[8:9], vcc
	s_cbranch_execz .LBB48_68
; %bb.67:
	ds_read2_b32 v[2:3], v1 offset1:16
	s_waitcnt lgkmcnt(0)
	v_add_u32_e32 v2, v3, v2
	ds_write_b32 v1, v2
.LBB48_68:
	;; [unrolled: 12-line block ×5, first 2 shown]
	s_or_b64 exec, exec, s[8:9]
	v_cmp_eq_u32_e32 vcc, 0, v0
	s_waitcnt lgkmcnt(0)
	s_barrier
	s_and_saveexec_b64 s[8:9], vcc
	s_cbranch_execz .LBB48_76
; %bb.75:
	v_mov_b32_e32 v1, 0
	ds_read_b64 v[2:3], v1
	s_waitcnt lgkmcnt(0)
	v_add_u32_e32 v2, v3, v2
	ds_write_b32 v1, v2
.LBB48_76:
	s_or_b64 exec, exec, s[8:9]
	s_waitcnt lgkmcnt(0)
	s_barrier
	s_and_saveexec_b64 s[8:9], vcc
	s_cbranch_execz .LBB48_85
; %bb.77:
	s_cmp_eq_u32 s70, 0
	s_cbranch_scc1 .LBB48_83
; %bb.78:
	s_ashr_i32 s7, s6, 31
	s_lshl_b64 s[6:7], s[6:7], 2
	s_add_u32 s4, s4, s6
	s_addc_u32 s5, s5, s7
	v_mov_b32_e32 v1, 0
	s_branch .LBB48_80
.LBB48_79:                              ;   in Loop: Header=BB48_80 Depth=1
	s_or_b64 exec, exec, s[6:7]
	s_waitcnt vmcnt(0)
	v_readfirstlane_b32 s6, v2
	s_nop 1
	v_cmp_eq_u32_e32 vcc, s6, v18
	s_cbranch_vccz .LBB48_82
.LBB48_80:                              ; =>This Inner Loop Header: Depth=1
	v_mbcnt_lo_u32_b32 v2, exec_lo, 0
	v_mbcnt_hi_u32_b32 v2, exec_hi, v2
	v_cmp_eq_u32_e32 vcc, 0, v2
                                        ; implicit-def: $vgpr2
	s_and_saveexec_b64 s[6:7], vcc
	s_cbranch_execz .LBB48_79
; %bb.81:                               ;   in Loop: Header=BB48_80 Depth=1
	global_load_dword v2, v1, s[4:5] sc1
	s_branch .LBB48_79
.LBB48_82:
	v_mov_b32_e32 v1, 0
	global_load_ushort v2, v1, s[2:3]
	s_waitcnt vmcnt(0)
	v_xor_b32_e32 v2, 1, v2
	global_store_short v1, v2, s[2:3]
.LBB48_83:
	s_mov_b64 s[2:3], exec
	v_mbcnt_lo_u32_b32 v1, s2, 0
	v_mbcnt_hi_u32_b32 v1, s3, v1
	v_cmp_eq_u32_e32 vcc, 0, v1
	s_and_b64 s[4:5], exec, vcc
	s_mov_b64 exec, s[4:5]
	s_cbranch_execz .LBB48_85
; %bb.84:
	v_mov_b32_e32 v1, 0
	ds_read_b32 v2, v1
	s_lshl_b64 s[4:5], s[28:29], 2
	s_add_u32 s4, s34, s4
	s_addc_u32 s5, s35, s5
	s_bcnt1_i32_b64 s2, s[2:3]
	s_waitcnt lgkmcnt(0)
	v_mul_lo_u32 v2, v2, s2
	global_atomic_add v1, v2, s[4:5]
.LBB48_85:
	s_or_b64 exec, exec, s[8:9]
.LBB48_86:
	s_mov_b64 s[4:5], 0
.LBB48_87:
	s_andn2_b64 vcc, exec, s[4:5]
	s_cbranch_vccnz .LBB48_148
; %bb.88:
	s_load_dwordx2 s[0:1], s[0:1], 0x8
	v_subrev_co_u32_e32 v2, vcc, s44, v0
	v_mov_b32_e32 v1, 0
	s_nop 0
	v_subb_co_u32_e64 v3, s[2:3], 0, 0, vcc
	s_waitcnt lgkmcnt(0)
	v_lshl_add_u64 v[2:3], s[42:43], 0, v[2:3]
	s_mov_b64 s[2:3], 0x300
	v_lshl_add_u64 v[4:5], v[2:3], 0, s[2:3]
	v_cmp_le_i64_e32 vcc, s[0:1], v[4:5]
	s_and_saveexec_b64 s[0:1], vcc
	s_xor_b64 s[0:1], exec, s[0:1]
	s_cbranch_execz .LBB48_98
; %bb.89:
	s_lshl_b64 s[2:3], s[30:31], 3
	s_add_u32 s2, s20, s2
	s_addc_u32 s3, s21, s3
	s_load_dwordx2 s[2:3], s[2:3], 0x0
	s_waitcnt lgkmcnt(0)
	s_sub_u32 s2, s2, s44
	s_subb_u32 s3, s3, 0
	v_cmp_gt_i64_e32 vcc, s[2:3], v[2:3]
	s_and_saveexec_b64 s[4:5], vcc
	s_cbranch_execz .LBB48_97
; %bb.90:
	v_lshl_add_u64 v[4:5], s[42:43], 0, v[0:1]
	v_subrev_co_u32_e32 v4, vcc, s44, v4
	s_mov_b64 s[6:7], 0x100
	s_nop 0
	v_subbrev_co_u32_e32 v5, vcc, 0, v5, vcc
	v_lshl_add_u64 v[4:5], v[4:5], 0, s[6:7]
	v_mov_b32_e32 v6, s3
	v_cmp_lt_i64_e32 vcc, s[2:3], v[4:5]
	s_not_b64 s[8:9], s[42:43]
	s_add_u32 s8, s8, s44
	v_cndmask_b32_e32 v5, v6, v5, vcc
	v_mov_b32_e32 v6, s2
	v_cndmask_b32_e32 v4, v6, v4, vcc
	s_addc_u32 s9, s9, 0
	v_lshl_add_u64 v[4:5], s[8:9], 0, v[4:5]
	v_sub_co_u32_e32 v4, vcc, v4, v0
	s_mov_b64 s[8:9], 0xff
	s_nop 0
	v_subbrev_co_u32_e32 v5, vcc, 0, v5, vcc
	v_cmp_lt_u64_e32 vcc, s[8:9], v[4:5]
	s_mov_b64 s[10:11], -1
	v_mov_b64_e32 v[8:9], 0
	s_and_saveexec_b64 s[8:9], vcc
	s_cbranch_execz .LBB48_94
; %bb.91:
	v_lshrrev_b64 v[4:5], 8, v[4:5]
	v_lshl_add_u64 v[4:5], v[4:5], 0, 1
	v_and_b32_e32 v6, -2, v4
	v_mov_b32_e32 v7, v5
	v_lshlrev_b32_e32 v12, 2, v0
	v_mov_b32_e32 v8, v2
	v_mov_b32_e32 v9, v3
	s_mov_b32 s14, s71
	s_mov_b32 s15, s44
	s_mov_b64 s[10:11], 0
	v_mov_b64_e32 v[10:11], v[6:7]
	s_mov_b64 s[12:13], 0
.LBB48_92:                              ; =>This Inner Loop Header: Depth=1
	v_lshl_add_u64 v[16:17], s[12:13], 0, v[2:3]
	v_lshl_add_u64 v[14:15], s[6:7], 0, v[8:9]
	s_waitcnt vmcnt(0)
	v_lshl_add_u64 v[18:19], v[16:17], 2, s[22:23]
	v_lshl_add_u64 v[20:21], v[14:15], 2, s[22:23]
	global_load_dword v13, v[18:19], off
	global_load_dword v22, v[20:21], off
	v_lshl_add_u64 v[16:17], s[24:25], 0, v[16:17]
	v_lshl_add_u64 v[14:15], s[24:25], 0, v[14:15]
	global_load_sbyte v18, v[14:15], off
	global_load_sbyte v19, v[16:17], off
	v_lshl_add_u64 v[10:11], v[10:11], 0, -2
	v_cmp_eq_u64_e32 vcc, 0, v[10:11]
	s_waitcnt vmcnt(3)
	v_subrev_u32_e32 v14, s44, v13
	s_waitcnt vmcnt(2)
	v_subrev_u32_e32 v16, s15, v22
	v_ashrrev_i32_e32 v17, 31, v16
	v_ashrrev_i32_e32 v15, 31, v14
	v_lshl_add_u64 v[16:17], s[26:27], 0, v[16:17]
	v_lshl_add_u64 v[14:15], s[26:27], 0, v[14:15]
	global_load_sbyte v13, v[16:17], off
	global_load_sbyte v20, v[14:15], off
	v_lshl_add_u32 v14, s12, 2, v12
	s_add_u32 s12, s12, 0x200
	s_addc_u32 s13, s13, 0
	v_lshl_add_u32 v15, s6, 2, v12
	s_add_u32 s6, s6, 0x200
	s_addc_u32 s7, s7, 0
	s_waitcnt vmcnt(2)
	v_mul_lo_u32 v16, s71, v19
	s_or_b64 s[10:11], vcc, s[10:11]
	v_mul_lo_u32 v17, s14, v18
	s_waitcnt vmcnt(1)
	v_mul_lo_u32 v13, v17, v13
	s_waitcnt vmcnt(0)
	v_mul_lo_u32 v16, v16, v20
	ds_write_b32 v14, v16
	ds_write_b32 v15, v13
	s_andn2_b64 exec, exec, s[10:11]
	s_cbranch_execnz .LBB48_92
; %bb.93:
	s_or_b64 exec, exec, s[10:11]
	v_cmp_ne_u64_e32 vcc, v[4:5], v[6:7]
	v_lshlrev_b64 v[8:9], 8, v[6:7]
	s_orn2_b64 s[10:11], vcc, exec
.LBB48_94:
	s_or_b64 exec, exec, s[8:9]
	s_and_b64 exec, exec, s[10:11]
	s_cbranch_execz .LBB48_97
; %bb.95:
	v_lshl_add_u64 v[2:3], v[8:9], 0, s[42:43]
	v_lshl_add_u64 v[2:3], v[2:3], 0, v[0:1]
	v_subrev_co_u32_e32 v2, vcc, s44, v2
	v_lshlrev_b32_e32 v4, 2, v8
	s_nop 0
	v_subbrev_co_u32_e32 v3, vcc, 0, v3, vcc
	v_lshl_add_u32 v6, v0, 2, v4
	v_lshl_add_u64 v[4:5], v[2:3], 2, s[22:23]
	s_mov_b64 s[6:7], 0
	s_mov_b64 s[8:9], 0x100
	;; [unrolled: 1-line block ×3, first 2 shown]
.LBB48_96:                              ; =>This Inner Loop Header: Depth=1
	global_load_dword v7, v[4:5], off
	v_lshl_add_u64 v[8:9], s[24:25], 0, v[2:3]
	global_load_sbyte v10, v[8:9], off
	v_lshl_add_u64 v[2:3], v[2:3], 0, s[8:9]
	v_cmp_le_i64_e32 vcc, s[2:3], v[2:3]
	v_lshl_add_u64 v[4:5], v[4:5], 0, s[10:11]
	s_or_b64 s[6:7], vcc, s[6:7]
	s_waitcnt vmcnt(1)
	v_subrev_u32_e32 v8, s44, v7
	v_ashrrev_i32_e32 v9, 31, v8
	v_lshl_add_u64 v[8:9], s[26:27], 0, v[8:9]
	global_load_sbyte v7, v[8:9], off
	s_waitcnt vmcnt(1)
	v_mul_lo_u32 v8, s71, v10
	s_waitcnt vmcnt(0)
	v_mul_lo_u32 v7, v8, v7
	ds_write_b32 v6, v7
	v_add_u32_e32 v6, 0x400, v6
	s_andn2_b64 exec, exec, s[6:7]
	s_cbranch_execnz .LBB48_96
.LBB48_97:
	s_or_b64 exec, exec, s[4:5]
                                        ; implicit-def: $vgpr2_vgpr3
.LBB48_98:
	s_or_saveexec_b64 s[0:1], s[0:1]
	v_lshlrev_b32_e32 v10, 2, v0
	s_xor_b64 exec, exec, s[0:1]
	s_cbranch_execz .LBB48_100
; %bb.99:
	v_lshl_add_u64 v[4:5], v[2:3], 2, s[22:23]
	global_load_dword v6, v[4:5], off
	global_load_dword v7, v[4:5], off offset:1024
	global_load_dword v8, v[4:5], off offset:2048
	;; [unrolled: 1-line block ×3, first 2 shown]
	v_lshl_add_u64 v[2:3], s[24:25], 0, v[2:3]
	global_load_sbyte v11, v[2:3], off
	global_load_sbyte v12, v[2:3], off offset:256
	global_load_sbyte v13, v[2:3], off offset:512
	;; [unrolled: 1-line block ×3, first 2 shown]
	s_waitcnt vmcnt(7)
	v_subrev_u32_e32 v2, s44, v6
	s_waitcnt vmcnt(6)
	v_subrev_u32_e32 v4, s44, v7
	;; [unrolled: 2-line block ×4, first 2 shown]
	v_ashrrev_i32_e32 v3, 31, v2
	v_ashrrev_i32_e32 v5, 31, v4
	;; [unrolled: 1-line block ×4, first 2 shown]
	v_lshl_add_u64 v[2:3], s[26:27], 0, v[2:3]
	v_lshl_add_u64 v[4:5], s[26:27], 0, v[4:5]
	;; [unrolled: 1-line block ×4, first 2 shown]
	global_load_sbyte v15, v[2:3], off
	global_load_sbyte v16, v[4:5], off
	;; [unrolled: 1-line block ×4, first 2 shown]
	s_waitcnt vmcnt(7)
	v_mul_lo_u32 v2, s71, v11
	s_waitcnt vmcnt(6)
	v_mul_lo_u32 v3, s71, v12
	;; [unrolled: 2-line block ×8, first 2 shown]
	ds_write2st64_b32 v10, v2, v3 offset1:4
	ds_write2st64_b32 v10, v4, v5 offset0:8 offset1:12
.LBB48_100:
	s_or_b64 exec, exec, s[0:1]
	s_cmp_lt_i32 s70, 2
	s_mov_b64 s[0:1], -1
	s_waitcnt lgkmcnt(0)
	s_barrier
	s_cbranch_scc0 .LBB48_123
; %bb.101:
	v_lshl_add_u64 v[6:7], s[28:29], 0, v[0:1]
	v_cmp_gt_i64_e32 vcc, s[30:31], v[6:7]
	s_and_saveexec_b64 s[0:1], vcc
	s_cbranch_execz .LBB48_122
; %bb.102:
	s_cmp_lg_u32 s33, 0
	s_cselect_b64 s[2:3], -1, 0
	s_lshl_b32 s4, s42, 2
	s_sub_i32 s16, 0, s4
	s_mov_b64 s[4:5], 0
	s_mov_b64 s[6:7], 0x100
	v_mov_b32_e32 v14, 0
	s_branch .LBB48_104
.LBB48_103:                             ;   in Loop: Header=BB48_104 Depth=1
	v_lshl_add_u64 v[6:7], v[6:7], 0, s[6:7]
	v_cmp_le_i64_e32 vcc, s[30:31], v[6:7]
	s_or_b64 s[4:5], vcc, s[4:5]
	global_store_dword v[2:3], v8, off
	s_andn2_b64 exec, exec, s[4:5]
	s_cbranch_execz .LBB48_122
.LBB48_104:                             ; =>This Loop Header: Depth=1
                                        ;     Child Loop BB48_108 Depth 2
                                        ;     Child Loop BB48_112 Depth 2
	;; [unrolled: 1-line block ×3, first 2 shown]
	v_lshl_add_u64 v[2:3], v[6:7], 3, s[20:21]
	global_load_dwordx4 v[2:5], v[2:3], off
	v_mov_b32_e32 v8, 0
	s_waitcnt vmcnt(0)
	v_subrev_u32_e32 v1, s42, v2
	v_subrev_u32_e32 v3, s42, v4
	v_cmp_lt_i32_e32 vcc, v1, v3
	s_and_saveexec_b64 s[8:9], vcc
	s_cbranch_execz .LBB48_120
; %bb.105:                              ;   in Loop: Header=BB48_104 Depth=1
	v_sub_u32_e32 v9, v4, v2
	v_cmp_lt_u32_e32 vcc, 1, v9
	s_mov_b64 s[12:13], -1
	v_mov_b32_e32 v8, 0
	s_and_saveexec_b64 s[10:11], vcc
	s_cbranch_execz .LBB48_115
; %bb.106:                              ;   in Loop: Header=BB48_104 Depth=1
	v_add_u32_e32 v4, -2, v9
	v_lshrrev_b32_e32 v5, 1, v4
	v_mov_b32_e32 v15, v14
	v_add_u32_e32 v8, 1, v5
	v_cmp_lt_u32_e32 vcc, 13, v4
	s_mov_b32 s17, 0
	v_mov_b32_e32 v13, 0
	v_mov_b64_e32 v[4:5], v[14:15]
	s_and_saveexec_b64 s[12:13], vcc
	s_cbranch_execz .LBB48_110
; %bb.107:                              ;   in Loop: Header=BB48_104 Depth=1
	v_and_b32_e32 v11, -8, v8
	v_lshlrev_b32_e32 v12, 2, v1
	s_mov_b64 s[14:15], 0
	v_mov_b32_e32 v4, 0
	v_mov_b32_e32 v5, 0
.LBB48_108:                             ;   Parent Loop BB48_104 Depth=1
                                        ; =>  This Inner Loop Header: Depth=2
	ds_read2_b32 v[16:17], v12 offset1:1
	ds_read2_b32 v[18:19], v12 offset0:2 offset1:3
	ds_read2_b32 v[20:21], v12 offset0:4 offset1:5
	;; [unrolled: 1-line block ×7, first 2 shown]
	s_waitcnt lgkmcnt(6)
	v_add3_u32 v4, v16, v4, v18
	v_add3_u32 v5, v17, v5, v19
	v_add_u32_e32 v11, -8, v11
	s_waitcnt lgkmcnt(4)
	v_add3_u32 v5, v21, v5, v23
	v_add3_u32 v4, v20, v4, v22
	s_add_i32 s17, s17, 16
	v_cmp_eq_u32_e32 vcc, 0, v11
	s_waitcnt lgkmcnt(2)
	v_add3_u32 v4, v24, v4, v26
	v_add3_u32 v5, v25, v5, v27
	v_add_u32_e32 v12, 64, v12
	v_mov_b32_e32 v13, s17
	s_or_b64 s[14:15], vcc, s[14:15]
	s_waitcnt lgkmcnt(0)
	v_add3_u32 v5, v29, v5, v31
	v_add3_u32 v4, v28, v4, v30
	s_andn2_b64 exec, exec, s[14:15]
	s_cbranch_execnz .LBB48_108
; %bb.109:                              ;   in Loop: Header=BB48_104 Depth=1
	s_or_b64 exec, exec, s[14:15]
.LBB48_110:                             ;   in Loop: Header=BB48_104 Depth=1
	s_or_b64 exec, exec, s[12:13]
	v_and_b32_e32 v8, 7, v8
	v_cmp_ne_u32_e32 vcc, 0, v8
	s_and_saveexec_b64 s[12:13], vcc
	s_cbranch_execz .LBB48_114
; %bb.111:                              ;   in Loop: Header=BB48_104 Depth=1
	v_lshlrev_b32_e32 v11, 2, v13
	v_lshlrev_b32_e32 v2, 2, v2
	v_add3_u32 v2, v11, v2, s16
	v_lshlrev_b32_e32 v8, 3, v8
	s_mov_b64 s[14:15], 0
.LBB48_112:                             ;   Parent Loop BB48_104 Depth=1
                                        ; =>  This Inner Loop Header: Depth=2
	ds_read2_b32 v[12:13], v2 offset1:1
	v_add_u32_e32 v8, -8, v8
	v_cmp_eq_u32_e32 vcc, 0, v8
	v_add_u32_e32 v2, 8, v2
	s_or_b64 s[14:15], vcc, s[14:15]
	s_waitcnt lgkmcnt(0)
	v_add_u32_e32 v5, v13, v5
	v_add_u32_e32 v4, v12, v4
	s_andn2_b64 exec, exec, s[14:15]
	s_cbranch_execnz .LBB48_112
; %bb.113:                              ;   in Loop: Header=BB48_104 Depth=1
	s_or_b64 exec, exec, s[14:15]
.LBB48_114:                             ;   in Loop: Header=BB48_104 Depth=1
	s_or_b64 exec, exec, s[12:13]
	v_and_b32_e32 v2, -2, v9
	v_cmp_ne_u32_e32 vcc, v9, v2
	v_add_u32_e32 v1, v2, v1
	v_add_u32_e32 v8, v4, v5
	s_orn2_b64 s[12:13], vcc, exec
.LBB48_115:                             ;   in Loop: Header=BB48_104 Depth=1
	s_or_b64 exec, exec, s[10:11]
	s_and_saveexec_b64 s[10:11], s[12:13]
	s_cbranch_execz .LBB48_119
; %bb.116:                              ;   in Loop: Header=BB48_104 Depth=1
	v_lshlrev_b32_e32 v2, 2, v1
	s_mov_b64 s[12:13], 0
.LBB48_117:                             ;   Parent Loop BB48_104 Depth=1
                                        ; =>  This Inner Loop Header: Depth=2
	ds_read_b32 v4, v2
	v_add_u32_e32 v1, 1, v1
	v_cmp_ge_i32_e32 vcc, v1, v3
	v_add_u32_e32 v2, 4, v2
	s_or_b64 s[12:13], vcc, s[12:13]
	s_waitcnt lgkmcnt(0)
	v_add_u32_e32 v8, v4, v8
	s_andn2_b64 exec, exec, s[12:13]
	s_cbranch_execnz .LBB48_117
; %bb.118:                              ;   in Loop: Header=BB48_104 Depth=1
	s_or_b64 exec, exec, s[12:13]
.LBB48_119:                             ;   in Loop: Header=BB48_104 Depth=1
	s_or_b64 exec, exec, s[10:11]
.LBB48_120:                             ;   in Loop: Header=BB48_104 Depth=1
	s_or_b64 exec, exec, s[8:9]
	s_and_b64 vcc, exec, s[2:3]
	v_lshl_add_u64 v[2:3], v[6:7], 2, s[34:35]
	s_cbranch_vccz .LBB48_103
; %bb.121:                              ;   in Loop: Header=BB48_104 Depth=1
	global_load_dword v1, v[2:3], off
	s_waitcnt vmcnt(0)
	v_mad_u64_u32 v[8:9], s[8:9], v1, s33, v[8:9]
	s_branch .LBB48_103
.LBB48_122:
	s_or_b64 exec, exec, s[0:1]
	s_mov_b64 s[0:1], 0
.LBB48_123:
	s_andn2_b64 vcc, exec, s[0:1]
	s_cbranch_vccnz .LBB48_148
; %bb.124:
	s_flbit_i32_b32 s0, s70
	s_xor_b32 s0, s0, 31
	v_lshrrev_b32_e32 v4, s0, v0
	v_mov_b32_e32 v5, 0
	v_lshl_add_u64 v[2:3], s[28:29], 0, v[4:5]
	s_add_i32 s0, s70, -1
	v_and_b32_e32 v1, s0, v0
	v_cmp_le_i64_e32 vcc, s[30:31], v[2:3]
	v_cmp_gt_i64_e64 s[0:1], s[30:31], v[2:3]
	s_and_saveexec_b64 s[2:3], s[0:1]
	s_cbranch_execz .LBB48_130
; %bb.125:
	v_lshlrev_b32_e32 v0, 3, v4
	global_load_dword v4, v0, s[40:41] offset:8
	global_load_dword v5, v0, s[40:41]
	s_waitcnt vmcnt(1)
	v_subrev_u32_e32 v0, s42, v4
	s_waitcnt vmcnt(0)
	v_subrev_u32_e32 v4, s42, v5
	v_add_u32_e32 v4, v1, v4
	v_cmp_lt_i32_e64 s[0:1], v4, v0
	v_mov_b32_e32 v5, 0
	s_and_saveexec_b64 s[4:5], s[0:1]
	s_cbranch_execz .LBB48_129
; %bb.126:
	v_lshlrev_b32_e32 v6, 2, v4
	s_lshl_b32 s8, s70, 2
	v_mov_b32_e32 v5, 0
	s_mov_b64 s[6:7], 0
.LBB48_127:                             ; =>This Inner Loop Header: Depth=1
	ds_read_b32 v7, v6
	v_add_u32_e32 v4, s70, v4
	v_cmp_ge_i32_e64 s[0:1], v4, v0
	v_add_u32_e32 v6, s8, v6
	s_or_b64 s[6:7], s[0:1], s[6:7]
	s_waitcnt lgkmcnt(0)
	v_add_u32_e32 v5, v7, v5
	s_andn2_b64 exec, exec, s[6:7]
	s_cbranch_execnz .LBB48_127
; %bb.128:
	s_or_b64 exec, exec, s[6:7]
.LBB48_129:
	s_or_b64 exec, exec, s[4:5]
.LBB48_130:
	s_or_b64 exec, exec, s[2:3]
	s_cmpk_lt_u32 s70, 0x81
	s_barrier
	ds_write_b32 v10, v5
	s_waitcnt lgkmcnt(0)
	s_barrier
	s_cbranch_scc1 .LBB48_132
; %bb.131:
	ds_read_b32 v0, v10 offset:512
	s_waitcnt lgkmcnt(0)
	s_barrier
	v_add_u32_e32 v5, v0, v5
	ds_write_b32 v10, v5
.LBB48_132:
	s_cmpk_lt_u32 s70, 0x41
	s_waitcnt lgkmcnt(0)
	s_barrier
	s_cbranch_scc1 .LBB48_134
; %bb.133:
	ds_read_b32 v0, v10 offset:256
	s_waitcnt lgkmcnt(0)
	s_barrier
	v_add_u32_e32 v5, v0, v5
	ds_write_b32 v10, v5
.LBB48_134:
	s_cmp_lt_u32 s70, 33
	s_waitcnt lgkmcnt(0)
	s_barrier
	s_cbranch_scc1 .LBB48_136
; %bb.135:
	ds_read_b32 v0, v10 offset:128
	s_waitcnt lgkmcnt(0)
	s_barrier
	v_add_u32_e32 v5, v0, v5
	ds_write_b32 v10, v5
.LBB48_136:
	s_cmp_lt_u32 s70, 17
	;; [unrolled: 11-line block ×4, first 2 shown]
	s_waitcnt lgkmcnt(0)
	s_barrier
	s_cbranch_scc1 .LBB48_142
; %bb.141:
	ds_read_b32 v0, v10 offset:16
	s_waitcnt lgkmcnt(0)
	s_barrier
	v_add_u32_e32 v5, v0, v5
	ds_write_b32 v10, v5
.LBB48_142:
	s_cmp_eq_u32 s70, 2
	s_waitcnt lgkmcnt(0)
	s_barrier
	s_cbranch_scc1 .LBB48_144
; %bb.143:
	ds_read_b32 v0, v10 offset:8
	s_waitcnt lgkmcnt(0)
	s_barrier
	v_add_u32_e32 v5, v0, v5
	ds_write_b32 v10, v5
.LBB48_144:
	s_waitcnt lgkmcnt(0)
	s_barrier
	ds_read_b32 v0, v10 offset:4
	v_cmp_eq_u32_e64 s[0:1], 0, v1
	s_xor_b64 s[2:3], vcc, -1
	s_and_b64 s[0:1], s[0:1], s[2:3]
	s_waitcnt lgkmcnt(0)
	v_add_u32_e32 v0, v0, v5
	s_barrier
	ds_write_b32 v10, v0
	s_and_saveexec_b64 s[2:3], s[0:1]
	s_cbranch_execz .LBB48_148
; %bb.145:
	s_cmp_eq_u32 s33, 0
	v_lshl_add_u64 v[2:3], v[2:3], 2, s[34:35]
	s_cbranch_scc1 .LBB48_147
; %bb.146:
	global_load_dword v1, v[2:3], off
	s_waitcnt vmcnt(0)
	v_mad_u64_u32 v[0:1], s[0:1], v1, s33, v[0:1]
.LBB48_147:
	global_store_dword v[2:3], v0, off
.LBB48_148:
	s_endpgm
	.section	.rodata,"a",@progbits
	.p2align	6, 0x0
	.amdhsa_kernel _ZN9rocsparseL22csrmvn_adaptive_kernelIliaaiiEEvbT_PKS1_PjPKT0_NS_24const_host_device_scalarIT4_EES3_S7_PKT1_PKT2_SA_PT3_21rocsparse_index_base_b
		.amdhsa_group_segment_fixed_size 4096
		.amdhsa_private_segment_fixed_size 0
		.amdhsa_kernarg_size 104
		.amdhsa_user_sgpr_count 2
		.amdhsa_user_sgpr_dispatch_ptr 0
		.amdhsa_user_sgpr_queue_ptr 0
		.amdhsa_user_sgpr_kernarg_segment_ptr 1
		.amdhsa_user_sgpr_dispatch_id 0
		.amdhsa_user_sgpr_kernarg_preload_length 0
		.amdhsa_user_sgpr_kernarg_preload_offset 0
		.amdhsa_user_sgpr_private_segment_size 0
		.amdhsa_uses_dynamic_stack 0
		.amdhsa_enable_private_segment 0
		.amdhsa_system_sgpr_workgroup_id_x 1
		.amdhsa_system_sgpr_workgroup_id_y 0
		.amdhsa_system_sgpr_workgroup_id_z 0
		.amdhsa_system_sgpr_workgroup_info 0
		.amdhsa_system_vgpr_workitem_id 0
		.amdhsa_next_free_vgpr 33
		.amdhsa_next_free_sgpr 72
		.amdhsa_accum_offset 36
		.amdhsa_reserve_vcc 1
		.amdhsa_float_round_mode_32 0
		.amdhsa_float_round_mode_16_64 0
		.amdhsa_float_denorm_mode_32 3
		.amdhsa_float_denorm_mode_16_64 3
		.amdhsa_dx10_clamp 1
		.amdhsa_ieee_mode 1
		.amdhsa_fp16_overflow 0
		.amdhsa_tg_split 0
		.amdhsa_exception_fp_ieee_invalid_op 0
		.amdhsa_exception_fp_denorm_src 0
		.amdhsa_exception_fp_ieee_div_zero 0
		.amdhsa_exception_fp_ieee_overflow 0
		.amdhsa_exception_fp_ieee_underflow 0
		.amdhsa_exception_fp_ieee_inexact 0
		.amdhsa_exception_int_div_zero 0
	.end_amdhsa_kernel
	.section	.text._ZN9rocsparseL22csrmvn_adaptive_kernelIliaaiiEEvbT_PKS1_PjPKT0_NS_24const_host_device_scalarIT4_EES3_S7_PKT1_PKT2_SA_PT3_21rocsparse_index_base_b,"axG",@progbits,_ZN9rocsparseL22csrmvn_adaptive_kernelIliaaiiEEvbT_PKS1_PjPKT0_NS_24const_host_device_scalarIT4_EES3_S7_PKT1_PKT2_SA_PT3_21rocsparse_index_base_b,comdat
.Lfunc_end48:
	.size	_ZN9rocsparseL22csrmvn_adaptive_kernelIliaaiiEEvbT_PKS1_PjPKT0_NS_24const_host_device_scalarIT4_EES3_S7_PKT1_PKT2_SA_PT3_21rocsparse_index_base_b, .Lfunc_end48-_ZN9rocsparseL22csrmvn_adaptive_kernelIliaaiiEEvbT_PKS1_PjPKT0_NS_24const_host_device_scalarIT4_EES3_S7_PKT1_PKT2_SA_PT3_21rocsparse_index_base_b
                                        ; -- End function
	.set _ZN9rocsparseL22csrmvn_adaptive_kernelIliaaiiEEvbT_PKS1_PjPKT0_NS_24const_host_device_scalarIT4_EES3_S7_PKT1_PKT2_SA_PT3_21rocsparse_index_base_b.num_vgpr, 33
	.set _ZN9rocsparseL22csrmvn_adaptive_kernelIliaaiiEEvbT_PKS1_PjPKT0_NS_24const_host_device_scalarIT4_EES3_S7_PKT1_PKT2_SA_PT3_21rocsparse_index_base_b.num_agpr, 0
	.set _ZN9rocsparseL22csrmvn_adaptive_kernelIliaaiiEEvbT_PKS1_PjPKT0_NS_24const_host_device_scalarIT4_EES3_S7_PKT1_PKT2_SA_PT3_21rocsparse_index_base_b.numbered_sgpr, 72
	.set _ZN9rocsparseL22csrmvn_adaptive_kernelIliaaiiEEvbT_PKS1_PjPKT0_NS_24const_host_device_scalarIT4_EES3_S7_PKT1_PKT2_SA_PT3_21rocsparse_index_base_b.num_named_barrier, 0
	.set _ZN9rocsparseL22csrmvn_adaptive_kernelIliaaiiEEvbT_PKS1_PjPKT0_NS_24const_host_device_scalarIT4_EES3_S7_PKT1_PKT2_SA_PT3_21rocsparse_index_base_b.private_seg_size, 0
	.set _ZN9rocsparseL22csrmvn_adaptive_kernelIliaaiiEEvbT_PKS1_PjPKT0_NS_24const_host_device_scalarIT4_EES3_S7_PKT1_PKT2_SA_PT3_21rocsparse_index_base_b.uses_vcc, 1
	.set _ZN9rocsparseL22csrmvn_adaptive_kernelIliaaiiEEvbT_PKS1_PjPKT0_NS_24const_host_device_scalarIT4_EES3_S7_PKT1_PKT2_SA_PT3_21rocsparse_index_base_b.uses_flat_scratch, 0
	.set _ZN9rocsparseL22csrmvn_adaptive_kernelIliaaiiEEvbT_PKS1_PjPKT0_NS_24const_host_device_scalarIT4_EES3_S7_PKT1_PKT2_SA_PT3_21rocsparse_index_base_b.has_dyn_sized_stack, 0
	.set _ZN9rocsparseL22csrmvn_adaptive_kernelIliaaiiEEvbT_PKS1_PjPKT0_NS_24const_host_device_scalarIT4_EES3_S7_PKT1_PKT2_SA_PT3_21rocsparse_index_base_b.has_recursion, 0
	.set _ZN9rocsparseL22csrmvn_adaptive_kernelIliaaiiEEvbT_PKS1_PjPKT0_NS_24const_host_device_scalarIT4_EES3_S7_PKT1_PKT2_SA_PT3_21rocsparse_index_base_b.has_indirect_call, 0
	.section	.AMDGPU.csdata,"",@progbits
; Kernel info:
; codeLenInByte = 5468
; TotalNumSgprs: 78
; NumVgprs: 33
; NumAgprs: 0
; TotalNumVgprs: 33
; ScratchSize: 0
; MemoryBound: 0
; FloatMode: 240
; IeeeMode: 1
; LDSByteSize: 4096 bytes/workgroup (compile time only)
; SGPRBlocks: 9
; VGPRBlocks: 4
; NumSGPRsForWavesPerEU: 78
; NumVGPRsForWavesPerEU: 33
; AccumOffset: 36
; Occupancy: 8
; WaveLimiterHint : 1
; COMPUTE_PGM_RSRC2:SCRATCH_EN: 0
; COMPUTE_PGM_RSRC2:USER_SGPR: 2
; COMPUTE_PGM_RSRC2:TRAP_HANDLER: 0
; COMPUTE_PGM_RSRC2:TGID_X_EN: 1
; COMPUTE_PGM_RSRC2:TGID_Y_EN: 0
; COMPUTE_PGM_RSRC2:TGID_Z_EN: 0
; COMPUTE_PGM_RSRC2:TIDIG_COMP_CNT: 0
; COMPUTE_PGM_RSRC3_GFX90A:ACCUM_OFFSET: 8
; COMPUTE_PGM_RSRC3_GFX90A:TG_SPLIT: 0
	.section	.text._ZN9rocsparseL27csrmvn_symm_adaptive_kernelIliaaiiEEvbT_S1_PKS1_NS_24const_host_device_scalarIT4_EES3_PKT0_PKT1_PKT2_S6_PT3_21rocsparse_index_base_b,"axG",@progbits,_ZN9rocsparseL27csrmvn_symm_adaptive_kernelIliaaiiEEvbT_S1_PKS1_NS_24const_host_device_scalarIT4_EES3_PKT0_PKT1_PKT2_S6_PT3_21rocsparse_index_base_b,comdat
	.globl	_ZN9rocsparseL27csrmvn_symm_adaptive_kernelIliaaiiEEvbT_S1_PKS1_NS_24const_host_device_scalarIT4_EES3_PKT0_PKT1_PKT2_S6_PT3_21rocsparse_index_base_b ; -- Begin function _ZN9rocsparseL27csrmvn_symm_adaptive_kernelIliaaiiEEvbT_S1_PKS1_NS_24const_host_device_scalarIT4_EES3_PKT0_PKT1_PKT2_S6_PT3_21rocsparse_index_base_b
	.p2align	8
	.type	_ZN9rocsparseL27csrmvn_symm_adaptive_kernelIliaaiiEEvbT_S1_PKS1_NS_24const_host_device_scalarIT4_EES3_PKT0_PKT1_PKT2_S6_PT3_21rocsparse_index_base_b,@function
_ZN9rocsparseL27csrmvn_symm_adaptive_kernelIliaaiiEEvbT_S1_PKS1_NS_24const_host_device_scalarIT4_EES3_PKT0_PKT1_PKT2_S6_PT3_21rocsparse_index_base_b: ; @_ZN9rocsparseL27csrmvn_symm_adaptive_kernelIliaaiiEEvbT_S1_PKS1_NS_24const_host_device_scalarIT4_EES3_PKT0_PKT1_PKT2_S6_PT3_21rocsparse_index_base_b
; %bb.0:
	s_load_dwordx2 s[34:35], s[0:1], 0x58
	s_load_dwordx2 s[8:9], s[0:1], 0x20
	s_mov_b64 s[10:11], -1
                                        ; implicit-def: $sgpr33
	s_waitcnt lgkmcnt(0)
	s_bitcmp1_b32 s35, 0
	s_cselect_b64 s[4:5], -1, 0
	s_xor_b64 s[6:7], s[4:5], -1
	s_and_b64 vcc, exec, s[6:7]
	s_cbranch_vccnz .LBB49_4
; %bb.1:
	s_load_dwordx2 s[4:5], s[0:1], 0x48
	s_andn2_b64 vcc, exec, s[10:11]
	s_cbranch_vccz .LBB49_5
.LBB49_2:
	s_and_b64 vcc, exec, s[6:7]
	s_cbranch_vccz .LBB49_6
.LBB49_3:
	s_waitcnt lgkmcnt(0)
	s_load_dword s3, s[4:5], 0x0
	s_cbranch_execz .LBB49_7
	s_branch .LBB49_8
.LBB49_4:
	s_load_dword s33, s[8:9], 0x0
	s_load_dwordx2 s[4:5], s[0:1], 0x48
	s_cbranch_execnz .LBB49_2
.LBB49_5:
	s_waitcnt lgkmcnt(0)
	s_mov_b32 s33, s8
	s_and_b64 vcc, exec, s[6:7]
	s_cbranch_vccnz .LBB49_3
.LBB49_6:
                                        ; implicit-def: $sgpr3
.LBB49_7:
	s_waitcnt lgkmcnt(0)
	s_mov_b32 s3, s4
.LBB49_8:
	s_waitcnt lgkmcnt(0)
	s_cmp_lg_u32 s33, 0
	s_cselect_b64 s[4:5], -1, 0
	s_cmp_lg_u32 s3, 1
	s_cselect_b64 s[6:7], -1, 0
	s_or_b64 s[4:5], s[4:5], s[6:7]
	s_andn2_b64 vcc, exec, s[4:5]
	s_cbranch_vccnz .LBB49_166
; %bb.9:
	s_load_dwordx2 s[4:5], s[0:1], 0x18
	s_ashr_i32 s3, s2, 31
	s_lshl_b64 s[2:3], s[2:3], 3
	v_lshlrev_b32_e32 v22, 2, v0
	v_mov_b32_e32 v1, 0
	s_waitcnt lgkmcnt(0)
	s_add_u32 s2, s4, s2
	s_addc_u32 s3, s5, s3
	ds_write2st64_b32 v22, v1, v1 offset1:4
	ds_write2st64_b32 v22, v1, v1 offset0:8 offset1:12
	s_waitcnt lgkmcnt(0)
	s_barrier
	s_load_dwordx4 s[20:23], s[2:3], 0x0
	s_load_dwordx8 s[12:19], s[0:1], 0x28
	s_load_dwordx2 s[28:29], s[0:1], 0x50
	s_mov_b64 s[2:3], -1
	s_waitcnt lgkmcnt(0)
	s_sub_u32 s30, s22, s20
	s_subb_u32 s31, s23, s21
	v_cmp_gt_i64_e64 s[4:5], s[30:31], 2
	s_and_b64 vcc, exec, s[4:5]
	s_cbranch_vccnz .LBB49_46
; %bb.10:
	v_mov_b64_e32 v[2:3], s[20:21]
	v_cmp_le_i64_e32 vcc, s[22:23], v[2:3]
	v_subrev_co_u32_e64 v2, s[2:3], s34, v0
	s_mov_b32 s35, 0
	s_nop 0
	v_subb_co_u32_e64 v3, s[2:3], 0, 0, s[2:3]
	s_cbranch_vccnz .LBB49_36
; %bb.11:
	v_or_b32_e32 v6, 0x100, v0
	v_subrev_co_u32_e32 v6, vcc, s34, v6
	s_movk_i32 s2, 0x100
	s_nop 0
	v_subb_co_u32_e64 v7, s[24:25], 0, 0, vcc
	v_subrev_co_u32_e32 v8, vcc, s34, v0
	v_mov_b32_e32 v5, -1
	s_nop 0
	v_subb_co_u32_e64 v9, s[24:25], 0, 0, vcc
	v_not_b32_e32 v4, v0
	s_add_u32 s38, s14, 0x400
	v_lshl_add_u64 v[8:9], s[16:17], 0, v[8:9]
	s_mov_b64 s[40:41], 0x100
	v_cmp_gt_u32_e64 s[2:3], s2, v0
	v_cmp_gt_u32_e64 s[4:5], 64, v0
	;; [unrolled: 1-line block ×4, first 2 shown]
	v_cmp_eq_u32_e64 s[10:11], 0, v0
	v_lshl_add_u64 v[4:5], v[4:5], 0, s[34:35]
	v_mov_b32_e32 v1, 0
	s_mov_b32 s35, s34
	s_mov_b64 s[36:37], 0x400
	s_addc_u32 s39, s15, 0
	v_lshl_add_u64 v[8:9], v[8:9], 0, s[40:41]
	s_mov_b64 s[42:43], 0xff
	s_mov_b64 s[44:45], 0x800
	;; [unrolled: 1-line block ×4, first 2 shown]
	s_branch .LBB49_13
.LBB49_12:                              ;   in Loop: Header=BB49_13 Depth=1
	s_or_b64 exec, exec, s[24:25]
	s_add_u32 s48, s48, 1
	s_addc_u32 s49, s49, 0
	v_mov_b64_e32 v[10:11], s[22:23]
	v_cmp_ge_i64_e32 vcc, s[48:49], v[10:11]
	s_cbranch_vccnz .LBB49_36
.LBB49_13:                              ; =>This Loop Header: Depth=1
                                        ;     Child Loop BB49_16 Depth 2
                                        ;     Child Loop BB49_20 Depth 2
	s_lshl_b64 s[24:25], s[48:49], 3
	s_add_u32 s50, s12, s24
	s_addc_u32 s51, s13, s25
	s_load_dwordx4 s[24:27], s[50:51], 0x0
	v_mov_b32_e32 v16, 0
	s_waitcnt lgkmcnt(0)
	s_sub_u32 s50, s26, s34
	v_lshl_add_u64 v[10:11], s[24:25], 0, v[2:3]
	s_subb_u32 s51, s27, 0
	v_cmp_gt_i64_e32 vcc, s[50:51], v[10:11]
	s_and_saveexec_b64 s[26:27], vcc
	s_cbranch_execz .LBB49_23
; %bb.14:                               ;   in Loop: Header=BB49_13 Depth=1
	v_lshl_add_u64 v[12:13], v[6:7], 0, s[24:25]
	v_mov_b32_e32 v14, s51
	v_cmp_lt_i64_e32 vcc, s[50:51], v[12:13]
	s_mov_b64 s[54:55], -1
	v_mov_b32_e32 v16, 0
	v_cndmask_b32_e32 v13, v14, v13, vcc
	v_mov_b32_e32 v14, s50
	v_cndmask_b32_e32 v12, v14, v12, vcc
	v_lshl_add_u64 v[12:13], v[4:5], 0, v[12:13]
	v_mov_b32_e32 v14, s25
	v_subrev_co_u32_e32 v12, vcc, s24, v12
	s_nop 1
	v_subb_co_u32_e32 v13, vcc, v13, v14, vcc
	v_cmp_lt_u64_e32 vcc, s[42:43], v[12:13]
	s_and_saveexec_b64 s[52:53], vcc
	s_cbranch_execz .LBB49_18
; %bb.15:                               ;   in Loop: Header=BB49_13 Depth=1
	v_lshrrev_b64 v[12:13], 8, v[12:13]
	v_lshl_add_u64 v[12:13], v[12:13], 0, 1
	v_and_b32_e32 v14, -2, v12
	v_mov_b32_e32 v15, v13
	v_lshl_add_u64 v[16:17], v[10:11], 2, s[38:39]
	v_lshl_add_u64 v[18:19], v[8:9], 0, s[24:25]
	v_mov_b32_e32 v23, 0
	s_mov_b64 s[24:25], 0
	v_mov_b64_e32 v[20:21], v[14:15]
	v_mov_b32_e32 v24, 0
.LBB49_16:                              ;   Parent Loop BB49_13 Depth=1
                                        ; =>  This Inner Loop Header: Depth=2
	global_load_dword v25, v[16:17], off offset:-1024
	global_load_dword v27, v[16:17], off
	global_load_sbyte v30, v[18:19], off offset:-256
	global_load_sbyte v31, v[18:19], off
	v_lshl_add_u64 v[20:21], v[20:21], 0, -2
	v_cmp_eq_u64_e32 vcc, 0, v[20:21]
	v_lshl_add_u64 v[16:17], v[16:17], 0, s[44:45]
	v_lshl_add_u64 v[18:19], v[18:19], 0, s[46:47]
	s_or_b64 s[24:25], vcc, s[24:25]
	s_waitcnt vmcnt(3)
	v_subrev_u32_e32 v26, s34, v25
	s_waitcnt vmcnt(2)
	v_subrev_u32_e32 v28, s35, v27
	v_ashrrev_i32_e32 v29, 31, v28
	v_ashrrev_i32_e32 v27, 31, v26
	v_lshl_add_u64 v[26:27], s[18:19], 0, v[26:27]
	v_lshl_add_u64 v[28:29], s[18:19], 0, v[28:29]
	global_load_sbyte v25, v[28:29], off
	s_nop 0
	global_load_sbyte v26, v[26:27], off
	s_waitcnt vmcnt(1)
	v_mad_i32_i24 v24, v25, v31, v24
	s_waitcnt vmcnt(0)
	v_mad_i32_i24 v23, v26, v30, v23
	s_andn2_b64 exec, exec, s[24:25]
	s_cbranch_execnz .LBB49_16
; %bb.17:                               ;   in Loop: Header=BB49_13 Depth=1
	s_or_b64 exec, exec, s[24:25]
	v_lshlrev_b64 v[16:17], 8, v[14:15]
	v_cmp_ne_u64_e32 vcc, v[12:13], v[14:15]
	v_lshl_add_u64 v[10:11], v[10:11], 0, v[16:17]
	v_add_u32_e32 v16, v23, v24
	s_orn2_b64 s[54:55], vcc, exec
.LBB49_18:                              ;   in Loop: Header=BB49_13 Depth=1
	s_or_b64 exec, exec, s[52:53]
	s_and_saveexec_b64 s[24:25], s[54:55]
	s_cbranch_execz .LBB49_22
; %bb.19:                               ;   in Loop: Header=BB49_13 Depth=1
	v_lshl_add_u64 v[12:13], v[10:11], 2, s[14:15]
	s_mov_b64 s[52:53], 0
.LBB49_20:                              ;   Parent Loop BB49_13 Depth=1
                                        ; =>  This Inner Loop Header: Depth=2
	global_load_dword v17, v[12:13], off
	v_lshl_add_u64 v[14:15], s[16:17], 0, v[10:11]
	global_load_sbyte v18, v[14:15], off
	v_lshl_add_u64 v[10:11], v[10:11], 0, s[40:41]
	v_cmp_le_i64_e32 vcc, s[50:51], v[10:11]
	v_lshl_add_u64 v[12:13], v[12:13], 0, s[36:37]
	s_or_b64 s[52:53], vcc, s[52:53]
	s_waitcnt vmcnt(1)
	v_subrev_u32_e32 v14, s34, v17
	v_ashrrev_i32_e32 v15, 31, v14
	v_lshl_add_u64 v[14:15], s[18:19], 0, v[14:15]
	global_load_sbyte v14, v[14:15], off
	s_waitcnt vmcnt(0)
	v_mad_i32_i24 v16, v14, v18, v16
	s_andn2_b64 exec, exec, s[52:53]
	s_cbranch_execnz .LBB49_20
; %bb.21:                               ;   in Loop: Header=BB49_13 Depth=1
	s_or_b64 exec, exec, s[52:53]
.LBB49_22:                              ;   in Loop: Header=BB49_13 Depth=1
	s_or_b64 exec, exec, s[24:25]
.LBB49_23:                              ;   in Loop: Header=BB49_13 Depth=1
	s_or_b64 exec, exec, s[26:27]
	ds_write_b32 v22, v16
	s_waitcnt lgkmcnt(0)
	s_barrier
	s_and_saveexec_b64 s[24:25], s[2:3]
	s_cbranch_execz .LBB49_25
; %bb.24:                               ;   in Loop: Header=BB49_13 Depth=1
	ds_read2st64_b32 v[10:11], v22 offset1:4
	ds_read2st64_b32 v[12:13], v22 offset0:8 offset1:12
	s_waitcnt lgkmcnt(0)
	v_add_u32_e32 v11, v12, v11
	v_add3_u32 v10, v11, v13, v10
	ds_write_b32 v22, v10
.LBB49_25:                              ;   in Loop: Header=BB49_13 Depth=1
	s_or_b64 exec, exec, s[24:25]
	s_waitcnt lgkmcnt(0)
	s_barrier
	s_and_saveexec_b64 s[24:25], s[4:5]
	s_cbranch_execz .LBB49_27
; %bb.26:                               ;   in Loop: Header=BB49_13 Depth=1
	ds_read2st64_b32 v[10:11], v22 offset1:1
	ds_read2st64_b32 v[12:13], v22 offset0:2 offset1:3
	s_waitcnt lgkmcnt(0)
	v_add_u32_e32 v11, v12, v11
	v_add3_u32 v10, v11, v13, v10
	ds_write_b32 v22, v10
.LBB49_27:                              ;   in Loop: Header=BB49_13 Depth=1
	s_or_b64 exec, exec, s[24:25]
	s_waitcnt lgkmcnt(0)
	s_barrier
	s_and_saveexec_b64 s[24:25], s[6:7]
	s_cbranch_execz .LBB49_29
; %bb.28:                               ;   in Loop: Header=BB49_13 Depth=1
	ds_read2_b32 v[10:11], v22 offset1:16
	ds_read2_b32 v[12:13], v22 offset0:32 offset1:48
	s_waitcnt lgkmcnt(0)
	v_add_u32_e32 v11, v12, v11
	v_add3_u32 v10, v11, v13, v10
	ds_write_b32 v22, v10
.LBB49_29:                              ;   in Loop: Header=BB49_13 Depth=1
	s_or_b64 exec, exec, s[24:25]
	s_waitcnt lgkmcnt(0)
	s_barrier
	s_and_saveexec_b64 s[24:25], s[8:9]
	s_cbranch_execz .LBB49_31
; %bb.30:                               ;   in Loop: Header=BB49_13 Depth=1
	ds_read2_b32 v[10:11], v22 offset1:4
	ds_read2_b32 v[12:13], v22 offset0:8 offset1:12
	s_waitcnt lgkmcnt(0)
	v_add_u32_e32 v11, v12, v11
	v_add3_u32 v10, v11, v13, v10
	ds_write_b32 v22, v10
.LBB49_31:                              ;   in Loop: Header=BB49_13 Depth=1
	s_or_b64 exec, exec, s[24:25]
	s_waitcnt lgkmcnt(0)
	s_barrier
	s_and_saveexec_b64 s[24:25], s[10:11]
	s_cbranch_execz .LBB49_33
; %bb.32:                               ;   in Loop: Header=BB49_13 Depth=1
	ds_read2_b32 v[10:11], v1 offset0:1 offset1:2
	ds_read_b32 v12, v1 offset:12
	ds_read_b32 v13, v22
	s_waitcnt lgkmcnt(2)
	v_add_u32_e32 v10, v11, v10
	s_waitcnt lgkmcnt(1)
	v_add_u32_e32 v10, v10, v12
	;; [unrolled: 2-line block ×3, first 2 shown]
	ds_write_b32 v22, v10
.LBB49_33:                              ;   in Loop: Header=BB49_13 Depth=1
	s_or_b64 exec, exec, s[24:25]
	s_waitcnt lgkmcnt(0)
	s_barrier
	s_and_saveexec_b64 s[24:25], s[10:11]
	s_cbranch_execz .LBB49_12
; %bb.34:                               ;   in Loop: Header=BB49_13 Depth=1
	s_mov_b64 s[26:27], exec
	v_mbcnt_lo_u32_b32 v10, s26, 0
	v_mbcnt_hi_u32_b32 v10, s27, v10
	v_cmp_eq_u32_e32 vcc, 0, v10
	s_and_b64 s[50:51], exec, vcc
	s_mov_b64 exec, s[50:51]
	s_cbranch_execz .LBB49_12
; %bb.35:                               ;   in Loop: Header=BB49_13 Depth=1
	ds_read_b32 v10, v1
	s_lshl_b64 s[50:51], s[48:49], 2
	s_add_u32 s50, s28, s50
	s_addc_u32 s51, s29, s51
	s_bcnt1_i32_b64 s26, s[26:27]
	s_waitcnt lgkmcnt(0)
	v_mul_lo_u32 v10, v10, s33
	v_mul_lo_u32 v10, v10, s26
	global_atomic_add v1, v10, s[50:51]
	s_branch .LBB49_12
.LBB49_36:
	s_lshl_b64 s[2:3], s[20:21], 3
	s_add_u32 s2, s12, s2
	s_addc_u32 s3, s13, s3
	s_lshl_b64 s[4:5], s[22:23], 3
	s_add_u32 s4, s12, s4
	s_addc_u32 s5, s13, s5
	s_load_dwordx2 s[6:7], s[4:5], 0x0
	s_load_dwordx2 s[8:9], s[2:3], 0x0
	s_waitcnt lgkmcnt(0)
	s_sub_u32 s6, s6, s34
	s_subb_u32 s7, s7, 0
	v_lshl_add_u64 v[2:3], s[8:9], 0, v[2:3]
	v_cmp_gt_i64_e32 vcc, s[6:7], v[2:3]
	s_and_saveexec_b64 s[8:9], vcc
	s_cbranch_execz .LBB49_45
; %bb.37:
	s_add_u32 s10, s22, -1
	s_addc_u32 s11, s23, -1
	s_add_u32 s2, s22, -2
	s_addc_u32 s3, s23, -1
	v_mov_b64_e32 v[4:5], s[10:11]
	s_cmp_lg_u64 s[20:21], s[2:3]
	v_cmp_lt_i64_e32 vcc, s[20:21], v[4:5]
	s_cselect_b64 s[2:3], -1, 0
	s_and_b64 s[2:3], vcc, s[2:3]
	v_cndmask_b32_e64 v1, 0, 1, s[2:3]
	s_mov_b64 s[24:25], 0
	v_cmp_ne_u32_e64 s[2:3], 1, v1
	v_mov_b32_e32 v5, 0
	s_mov_b64 s[26:27], 0x100
	s_branch .LBB49_39
.LBB49_38:                              ;   in Loop: Header=BB49_39 Depth=1
	s_or_b64 exec, exec, s[4:5]
	v_lshl_add_u64 v[2:3], v[2:3], 0, s[26:27]
	v_cmp_le_i64_e32 vcc, s[6:7], v[2:3]
	s_or_b64 s[24:25], vcc, s[24:25]
	s_andn2_b64 exec, exec, s[24:25]
	s_cbranch_execz .LBB49_45
.LBB49_39:                              ; =>This Loop Header: Depth=1
                                        ;     Child Loop BB49_41 Depth 2
	s_and_b64 vcc, exec, s[2:3]
	v_mov_b64_e32 v[6:7], s[20:21]
	v_mov_b64_e32 v[8:9], s[10:11]
	s_cbranch_vccnz .LBB49_43
; %bb.40:                               ;   in Loop: Header=BB49_39 Depth=1
	s_mov_b64 s[36:37], 0
	v_mov_b64_e32 v[6:7], s[20:21]
	v_mov_b64_e32 v[8:9], s[10:11]
.LBB49_41:                              ;   Parent Loop BB49_39 Depth=1
                                        ; =>  This Inner Loop Header: Depth=2
	v_lshl_add_u64 v[10:11], v[8:9], 0, v[6:7]
	v_lshrrev_b32_e32 v4, 31, v11
	v_lshl_add_u64 v[10:11], v[10:11], 0, v[4:5]
	v_ashrrev_i64 v[10:11], 1, v[10:11]
	v_lshl_add_u64 v[12:13], v[10:11], 3, s[12:13]
	global_load_dwordx2 v[12:13], v[12:13], off
	s_waitcnt vmcnt(0)
	v_subrev_co_u32_e32 v12, vcc, s34, v12
	s_nop 1
	v_subbrev_co_u32_e32 v13, vcc, 0, v13, vcc
	v_cmp_lt_i64_e32 vcc, v[2:3], v[12:13]
	s_nop 1
	v_cndmask_b32_e32 v9, v9, v11, vcc
	v_cndmask_b32_e32 v8, v8, v10, vcc
	;; [unrolled: 1-line block ×4, first 2 shown]
	v_lshl_add_u64 v[10:11], v[8:9], 0, -1
	v_cmp_ge_i64_e32 vcc, v[6:7], v[8:9]
	v_cmp_eq_u64_e64 s[4:5], v[6:7], v[10:11]
	s_or_b64 s[4:5], vcc, s[4:5]
	s_and_b64 s[4:5], exec, s[4:5]
	s_or_b64 s[36:37], s[4:5], s[36:37]
	s_andn2_b64 exec, exec, s[36:37]
	s_cbranch_execnz .LBB49_41
; %bb.42:                               ;   in Loop: Header=BB49_39 Depth=1
	s_or_b64 exec, exec, s[36:37]
.LBB49_43:                              ;   in Loop: Header=BB49_39 Depth=1
	v_lshl_add_u64 v[10:11], v[8:9], 3, s[12:13]
	global_load_dwordx2 v[10:11], v[10:11], off
	v_lshl_add_u64 v[12:13], v[2:3], 2, s[14:15]
	global_load_dword v1, v[12:13], off
	s_waitcnt vmcnt(1)
	v_subrev_co_u32_e32 v12, vcc, s34, v10
	s_nop 1
	v_subbrev_co_u32_e32 v13, vcc, 0, v11, vcc
	s_waitcnt vmcnt(0)
	v_subrev_u32_e32 v10, s34, v1
	v_cmp_lt_i64_e32 vcc, v[2:3], v[12:13]
	v_ashrrev_i32_e32 v11, 31, v10
	s_nop 0
	v_cndmask_b32_e32 v7, v9, v7, vcc
	v_cndmask_b32_e32 v6, v8, v6, vcc
	v_cmp_ne_u64_e32 vcc, v[6:7], v[10:11]
	s_and_saveexec_b64 s[4:5], vcc
	s_cbranch_execz .LBB49_38
; %bb.44:                               ;   in Loop: Header=BB49_39 Depth=1
	v_lshl_add_u64 v[8:9], s[16:17], 0, v[2:3]
	global_load_sbyte v1, v[8:9], off
	v_lshl_add_u64 v[6:7], s[18:19], 0, v[6:7]
	global_load_sbyte v4, v[6:7], off
	v_lshl_add_u64 v[6:7], v[10:11], 2, s[28:29]
	s_waitcnt vmcnt(1)
	v_mul_lo_u32 v1, s33, v1
	s_waitcnt vmcnt(0)
	v_mul_lo_u32 v1, v1, v4
	global_atomic_add v[6:7], v1, off
	s_branch .LBB49_38
.LBB49_45:
	s_or_b64 exec, exec, s[8:9]
	s_mov_b64 s[2:3], 0
.LBB49_46:
	s_and_b64 vcc, exec, s[2:3]
	s_cbranch_vccz .LBB49_166
; %bb.47:
	s_load_dword s2, s[0:1], 0x6c
	s_mov_b32 s25, 0
	v_mov_b64_e32 v[2:3], s[30:31]
	s_mov_b64 s[26:27], 0
	s_waitcnt lgkmcnt(0)
	s_and_b32 s24, s2, 0xffff
	v_cmp_lt_u64_e32 vcc, s[24:25], v[2:3]
	s_cbranch_vccnz .LBB49_49
; %bb.48:
	v_cvt_f32_u32_e32 v1, s30
	s_sub_i32 s2, 0, s30
	v_rcp_iflag_f32_e32 v1, v1
	s_nop 0
	v_mul_f32_e32 v1, 0x4f7ffffe, v1
	v_cvt_u32_f32_e32 v1, v1
	s_nop 0
	v_readfirstlane_b32 s3, v1
	s_mul_i32 s2, s2, s3
	s_mul_hi_u32 s2, s3, s2
	s_add_i32 s3, s3, s2
	s_mul_hi_u32 s2, s24, s3
	s_mul_i32 s4, s2, s30
	s_sub_i32 s4, s24, s4
	s_add_i32 s3, s2, 1
	s_sub_i32 s5, s4, s30
	s_cmp_ge_u32 s4, s30
	s_cselect_b32 s2, s3, s2
	s_cselect_b32 s4, s5, s4
	s_add_i32 s3, s2, 1
	s_cmp_ge_u32 s4, s30
	s_cselect_b32 s26, s3, s2
.LBB49_49:
	s_load_dwordx4 s[4:7], s[0:1], 0x8
	s_lshl_b64 s[0:1], s[20:21], 3
	s_add_u32 s10, s12, s0
	s_addc_u32 s11, s13, s1
	s_load_dwordx2 s[8:9], s[10:11], 0x0
	v_subrev_co_u32_e32 v2, vcc, s34, v0
	v_mov_b32_e32 v1, 0
	s_nop 0
	v_subb_co_u32_e64 v3, s[0:1], 0, 0, vcc
	s_waitcnt lgkmcnt(0)
	v_lshl_add_u64 v[10:11], s[8:9], 0, v[2:3]
	s_mov_b64 s[0:1], 0x300
	v_lshl_add_u64 v[8:9], v[10:11], 0, s[0:1]
	v_cmp_le_i64_e32 vcc, s[4:5], v[8:9]
	s_and_saveexec_b64 s[0:1], vcc
	s_xor_b64 s[2:3], exec, s[0:1]
	s_cbranch_execnz .LBB49_52
; %bb.50:
	s_andn2_saveexec_b64 s[0:1], s[2:3]
	s_cbranch_execnz .LBB49_61
.LBB49_51:
	s_or_b64 exec, exec, s[0:1]
	v_cmp_gt_i64_e64 s[0:1], s[6:7], v[0:1]
	s_and_saveexec_b64 s[2:3], s[0:1]
	s_cbranch_execnz .LBB49_62
	s_branch .LBB49_69
.LBB49_52:
	s_lshl_b64 s[0:1], s[22:23], 3
	s_add_u32 s0, s12, s0
	s_addc_u32 s1, s13, s1
	s_load_dwordx2 s[38:39], s[0:1], 0x0
	s_waitcnt lgkmcnt(0)
	s_sub_u32 s4, s38, s8
	s_subb_u32 s5, s39, s9
	v_cmp_gt_i64_e64 s[0:1], s[4:5], v[0:1]
	s_and_saveexec_b64 s[36:37], s[0:1]
	s_cbranch_execz .LBB49_60
; %bb.53:
	s_not_b64 s[0:1], s[8:9]
	s_add_u32 s0, s38, s0
	s_addc_u32 s1, s39, s1
	v_mov_b32_e32 v3, s1
	v_sub_co_u32_e64 v2, s[0:1], s0, v0
	s_mov_b64 s[40:41], -1
	s_nop 0
	v_subbrev_co_u32_e64 v3, s[0:1], 0, v3, s[0:1]
	s_mov_b64 s[0:1], 0xff
	s_nop 0
	v_cmp_lt_u64_e64 s[0:1], s[0:1], v[2:3]
	v_mov_b64_e32 v[6:7], 0
	s_and_saveexec_b64 s[38:39], s[0:1]
	s_cbranch_execz .LBB49_57
; %bb.54:
	v_lshl_add_u64 v[6:7], s[8:9], 0, v[0:1]
	v_lshrrev_b64 v[2:3], 8, v[2:3]
	v_subrev_co_u32_e64 v6, s[0:1], s34, v6
	v_lshl_add_u64 v[2:3], v[2:3], 0, 1
	s_nop 0
	v_subbrev_co_u32_e64 v7, s[0:1], 0, v7, s[0:1]
	v_and_b32_e32 v4, -2, v2
	v_mov_b32_e32 v5, v3
	v_lshl_add_u64 v[6:7], s[16:17], 0, v[6:7]
	s_mov_b64 s[40:41], 0x100
	s_mov_b32 s27, s33
	v_lshl_add_u64 v[6:7], v[6:7], 0, s[40:41]
	s_mov_b64 s[42:43], 0
	s_mov_b64 s[44:45], 0x200
	v_mov_b64_e32 v[12:13], v[4:5]
	s_mov_b64 s[46:47], 0
.LBB49_55:                              ; =>This Inner Loop Header: Depth=1
	global_load_sbyte v14, v[6:7], off
	global_load_sbyte v15, v[6:7], off offset:-256
	v_lshl_add_u32 v16, s46, 2, v22
	s_add_u32 s46, s46, 0x200
	s_addc_u32 s47, s47, 0
	v_lshl_add_u32 v17, s40, 2, v22
	v_lshl_add_u64 v[12:13], v[12:13], 0, -2
	s_add_u32 s40, s40, 0x200
	v_cmp_eq_u64_e64 s[0:1], 0, v[12:13]
	s_addc_u32 s41, s41, 0
	v_lshl_add_u64 v[6:7], v[6:7], 0, s[44:45]
	s_or_b64 s[42:43], s[0:1], s[42:43]
	s_waitcnt vmcnt(1)
	v_mul_lo_u32 v14, s27, v14
	s_waitcnt vmcnt(0)
	v_mul_lo_u32 v15, s33, v15
	ds_write_b32 v16, v15
	ds_write_b32 v17, v14
	s_andn2_b64 exec, exec, s[42:43]
	s_cbranch_execnz .LBB49_55
; %bb.56:
	s_or_b64 exec, exec, s[42:43]
	v_cmp_ne_u64_e64 s[0:1], v[2:3], v[4:5]
	v_lshlrev_b64 v[6:7], 8, v[4:5]
	s_orn2_b64 s[40:41], s[0:1], exec
.LBB49_57:
	s_or_b64 exec, exec, s[38:39]
	s_and_b64 exec, exec, s[40:41]
	s_cbranch_execz .LBB49_60
; %bb.58:
	s_sub_u32 s0, s8, s34
	s_subb_u32 s1, s9, 0
	s_add_u32 s38, s16, s0
	v_lshlrev_b32_e32 v4, 2, v6
	s_addc_u32 s39, s17, s1
	v_lshl_add_u64 v[2:3], v[6:7], 0, v[0:1]
	v_lshl_add_u32 v4, v0, 2, v4
	s_mov_b64 s[40:41], 0
	s_mov_b64 s[42:43], 0x100
.LBB49_59:                              ; =>This Inner Loop Header: Depth=1
	v_lshl_add_u64 v[6:7], s[38:39], 0, v[2:3]
	global_load_sbyte v5, v[6:7], off
	v_lshl_add_u64 v[2:3], v[2:3], 0, s[42:43]
	v_cmp_le_i64_e64 s[0:1], s[4:5], v[2:3]
	s_or_b64 s[40:41], s[0:1], s[40:41]
	s_waitcnt vmcnt(0)
	v_mul_lo_u32 v5, s33, v5
	ds_write_b32 v4, v5
	v_add_u32_e32 v4, 0x400, v4
	s_andn2_b64 exec, exec, s[40:41]
	s_cbranch_execnz .LBB49_59
.LBB49_60:
	s_or_b64 exec, exec, s[36:37]
	s_andn2_saveexec_b64 s[0:1], s[2:3]
	s_cbranch_execz .LBB49_51
.LBB49_61:
	v_lshl_add_u64 v[2:3], s[16:17], 0, v[10:11]
	global_load_sbyte v4, v[2:3], off
	global_load_sbyte v5, v[2:3], off offset:256
	global_load_sbyte v6, v[2:3], off offset:512
	;; [unrolled: 1-line block ×3, first 2 shown]
	s_waitcnt vmcnt(3)
	v_mul_lo_u32 v2, s33, v4
	s_waitcnt vmcnt(2)
	v_mul_lo_u32 v3, s33, v5
	;; [unrolled: 2-line block ×4, first 2 shown]
	ds_write2st64_b32 v22, v2, v3 offset1:4
	ds_write2st64_b32 v22, v4, v5 offset0:8 offset1:12
	s_or_b64 exec, exec, s[0:1]
	v_cmp_gt_i64_e64 s[0:1], s[6:7], v[0:1]
	s_and_saveexec_b64 s[2:3], s[0:1]
	s_cbranch_execz .LBB49_69
.LBB49_62:
	v_mov_b32_e32 v3, -1
	v_not_b32_e32 v2, v0
	v_lshl_add_u64 v[4:5], s[6:7], 0, v[2:3]
	s_mov_b64 s[0:1], 0xff
	v_cmp_lt_u64_e64 s[0:1], s[0:1], v[4:5]
	s_mov_b64 s[16:17], -1
	v_mov_b64_e32 v[2:3], v[0:1]
	s_and_saveexec_b64 s[4:5], s[0:1]
	s_cbranch_execz .LBB49_66
; %bb.63:
	v_lshrrev_b64 v[2:3], 8, v[4:5]
	v_lshl_add_u64 v[12:13], v[2:3], 0, 1
	v_mov_b32_e32 v3, 0
	v_or_b32_e32 v4, 0x100, v0
	v_mov_b32_e32 v5, v3
	v_and_b32_e32 v14, -2, v12
	v_mov_b32_e32 v15, v13
	v_mov_b32_e32 v2, v0
	v_mov_b64_e32 v[6:7], v[4:5]
	s_mov_b64 s[16:17], 0
	v_mov_b32_e32 v18, 0x1000
	s_mov_b64 s[36:37], 0x200
	v_mov_b64_e32 v[16:17], v[14:15]
	v_mov_b64_e32 v[4:5], v[2:3]
.LBB49_64:                              ; =>This Inner Loop Header: Depth=1
	v_lshl_add_u64 v[16:17], v[16:17], 0, -2
	v_cmp_eq_u64_e64 s[0:1], 0, v[16:17]
	v_lshl_add_u32 v2, v4, 2, v18
	v_lshl_add_u32 v19, v6, 2, v18
	v_lshl_add_u64 v[6:7], v[6:7], 0, s[36:37]
	v_lshl_add_u64 v[4:5], v[4:5], 0, s[36:37]
	s_or_b64 s[16:17], s[0:1], s[16:17]
	ds_write_b32 v2, v3
	ds_write_b32 v19, v3
	s_andn2_b64 exec, exec, s[16:17]
	s_cbranch_execnz .LBB49_64
; %bb.65:
	s_or_b64 exec, exec, s[16:17]
	v_lshlrev_b64 v[2:3], 8, v[14:15]
	v_cmp_ne_u64_e64 s[0:1], v[12:13], v[14:15]
	v_or_b32_e32 v2, v2, v0
	s_orn2_b64 s[16:17], s[0:1], exec
.LBB49_66:
	s_or_b64 exec, exec, s[4:5]
	s_and_b64 exec, exec, s[16:17]
	s_cbranch_execz .LBB49_69
; %bb.67:
	v_mov_b32_e32 v4, 0x1000
	v_lshl_add_u32 v4, v2, 2, v4
	s_mov_b64 s[4:5], 0
	v_mov_b32_e32 v5, 0
	s_mov_b64 s[16:17], 0x100
.LBB49_68:                              ; =>This Inner Loop Header: Depth=1
	v_lshl_add_u64 v[2:3], v[2:3], 0, s[16:17]
	v_cmp_le_i64_e64 s[0:1], s[6:7], v[2:3]
	ds_write_b32 v4, v5
	s_or_b64 s[4:5], s[0:1], s[4:5]
	v_add_u32_e32 v4, 0x400, v4
	s_andn2_b64 exec, exec, s[4:5]
	s_cbranch_execnz .LBB49_68
.LBB49_69:
	s_or_b64 exec, exec, s[2:3]
	s_sub_u32 s2, s22, s6
	v_mov_b64_e32 v[2:3], s[6:7]
	s_subb_u32 s3, s23, s7
	v_cmp_ge_i64_e64 s[0:1], s[22:23], v[2:3]
	s_and_b64 s[0:1], s[0:1], exec
	s_cselect_b32 s5, s3, 0
	s_cselect_b32 s4, s2, 0
	s_waitcnt lgkmcnt(0)
	s_barrier
	s_and_saveexec_b64 s[0:1], vcc
	s_xor_b64 s[16:17], exec, s[0:1]
	s_cbranch_execz .LBB49_86
; %bb.70:
	s_lshl_b64 s[0:1], s[22:23], 3
	s_add_u32 s0, s12, s0
	s_addc_u32 s1, s13, s1
	s_load_dwordx2 s[0:1], s[0:1], 0x0
	s_waitcnt lgkmcnt(0)
	s_sub_u32 s36, s0, s8
	s_subb_u32 s37, s1, s9
	v_cmp_gt_i64_e32 vcc, s[36:37], v[0:1]
	s_and_saveexec_b64 s[38:39], vcc
	s_cbranch_execz .LBB49_85
; %bb.71:
	s_add_u32 s40, s22, -1
	s_addc_u32 s41, s23, -1
	s_add_u32 s2, s22, -2
	s_addc_u32 s3, s23, -1
	s_cmp_lg_u64 s[20:21], s[2:3]
	s_cselect_b64 s[2:3], -1, 0
	s_sub_u32 s42, s0, s34
	v_cndmask_b32_e64 v2, 0, 1, s[2:3]
	s_subb_u32 s43, s1, 0
	s_mov_b64 s[44:45], 0
	v_cmp_ne_u32_e64 s[0:1], 1, v2
	v_mov_b32_e32 v3, 0
	v_mov_b32_e32 v16, 0x1000
	s_mov_b64 s[46:47], 0
	s_branch .LBB49_74
.LBB49_72:                              ;   in Loop: Header=BB49_74 Depth=1
	s_or_b64 exec, exec, s[2:3]
.LBB49_73:                              ;   in Loop: Header=BB49_74 Depth=1
	s_or_b64 exec, exec, s[48:49]
	v_lshl_add_u64 v[6:7], s[18:19], 0, v[6:7]
	global_load_sbyte v6, v[6:7], off
	s_add_u32 s46, s46, 0x100
	s_addc_u32 s47, s47, 0
	v_lshlrev_b32_e32 v7, 2, v4
	v_lshl_add_u64 v[4:5], s[46:47], 0, v[0:1]
	v_cmp_le_i64_e32 vcc, s[36:37], v[4:5]
	s_or_b64 s[44:45], vcc, s[44:45]
	s_waitcnt vmcnt(0) lgkmcnt(0)
	v_mul_lo_u32 v2, v2, v6
	ds_write_b32 v7, v2
	s_andn2_b64 exec, exec, s[44:45]
	s_cbranch_execz .LBB49_85
.LBB49_74:                              ; =>This Loop Header: Depth=1
                                        ;     Child Loop BB49_76 Depth 2
	v_lshl_add_u64 v[8:9], s[46:47], 0, v[10:11]
	s_and_b64 vcc, exec, s[0:1]
	v_mov_b64_e32 v[12:13], s[20:21]
	v_mov_b64_e32 v[14:15], s[40:41]
	s_cbranch_vccnz .LBB49_78
; %bb.75:                               ;   in Loop: Header=BB49_74 Depth=1
	s_mov_b64 s[48:49], 0
	v_mov_b64_e32 v[12:13], s[20:21]
	v_mov_b64_e32 v[14:15], s[40:41]
.LBB49_76:                              ;   Parent Loop BB49_74 Depth=1
                                        ; =>  This Inner Loop Header: Depth=2
	v_lshl_add_u64 v[4:5], v[14:15], 0, v[12:13]
	v_lshrrev_b32_e32 v2, 31, v5
	v_lshl_add_u64 v[4:5], v[4:5], 0, v[2:3]
	v_ashrrev_i64 v[4:5], 1, v[4:5]
	v_lshl_add_u64 v[6:7], v[4:5], 3, s[12:13]
	global_load_dwordx2 v[6:7], v[6:7], off
	s_waitcnt vmcnt(0)
	v_subrev_co_u32_e32 v6, vcc, s34, v6
	s_nop 1
	v_subbrev_co_u32_e32 v7, vcc, 0, v7, vcc
	v_cmp_lt_i64_e32 vcc, v[8:9], v[6:7]
	s_nop 1
	v_cndmask_b32_e32 v15, v15, v5, vcc
	v_cndmask_b32_e32 v14, v14, v4, vcc
	;; [unrolled: 1-line block ×4, first 2 shown]
	v_lshl_add_u64 v[4:5], v[14:15], 0, -1
	v_cmp_ge_i64_e32 vcc, v[12:13], v[14:15]
	v_cmp_eq_u64_e64 s[2:3], v[12:13], v[4:5]
	s_or_b64 s[2:3], vcc, s[2:3]
	s_and_b64 s[2:3], exec, s[2:3]
	s_or_b64 s[48:49], s[2:3], s[48:49]
	s_andn2_b64 exec, exec, s[48:49]
	s_cbranch_execnz .LBB49_76
; %bb.77:                               ;   in Loop: Header=BB49_74 Depth=1
	s_or_b64 exec, exec, s[48:49]
.LBB49_78:                              ;   in Loop: Header=BB49_74 Depth=1
	v_lshl_add_u64 v[4:5], v[14:15], 3, s[12:13]
	global_load_dwordx2 v[6:7], v[4:5], off
	v_lshl_add_u64 v[4:5], v[8:9], 2, s[14:15]
	global_load_dword v2, v[4:5], off
	v_cmp_le_i64_e32 vcc, s[42:43], v[8:9]
	v_lshl_add_u64 v[4:5], s[46:47], 0, v[0:1]
	v_lshlrev_b32_e32 v5, 2, v4
	s_waitcnt vmcnt(1)
	v_subrev_co_u32_e64 v18, s[2:3], s34, v6
	s_nop 1
	v_subbrev_co_u32_e64 v19, s[2:3], 0, v7, s[2:3]
	s_waitcnt vmcnt(0)
	v_subrev_u32_e32 v6, s34, v2
	v_cmp_lt_i64_e64 s[2:3], v[8:9], v[18:19]
	v_ashrrev_i32_e32 v7, 31, v6
                                        ; implicit-def: $vgpr2
	s_nop 0
	v_cndmask_b32_e64 v9, v15, v13, s[2:3]
	v_cndmask_b32_e64 v8, v14, v12, s[2:3]
	v_cmp_eq_u64_e64 s[2:3], v[8:9], v[6:7]
	s_or_b64 s[2:3], s[2:3], vcc
	s_and_saveexec_b64 s[48:49], s[2:3]
	s_xor_b64 s[2:3], exec, s[48:49]
; %bb.79:                               ;   in Loop: Header=BB49_74 Depth=1
	ds_read_b32 v2, v5
                                        ; implicit-def: $vgpr5
                                        ; implicit-def: $vgpr8_vgpr9
; %bb.80:                               ;   in Loop: Header=BB49_74 Depth=1
	s_andn2_saveexec_b64 s[48:49], s[2:3]
	s_cbranch_execz .LBB49_73
; %bb.81:                               ;   in Loop: Header=BB49_74 Depth=1
	v_cmp_gt_i64_e32 vcc, s[4:5], v[6:7]
	v_cmp_le_i64_e64 s[2:3], s[22:23], v[6:7]
	s_or_b64 s[2:3], vcc, s[2:3]
	v_lshl_add_u64 v[8:9], s[18:19], 0, v[8:9]
                                        ; implicit-def: $vgpr2
	s_and_saveexec_b64 s[50:51], s[2:3]
	s_xor_b64 s[2:3], exec, s[50:51]
	s_cbranch_execz .LBB49_83
; %bb.82:                               ;   in Loop: Header=BB49_74 Depth=1
	global_load_sbyte v12, v[8:9], off
	s_waitcnt lgkmcnt(0)
	ds_read_b32 v2, v5
	v_lshl_add_u64 v[8:9], v[6:7], 2, s[28:29]
	s_waitcnt vmcnt(0) lgkmcnt(0)
	v_mul_lo_u32 v5, v2, v12
	global_atomic_add v[8:9], v5, off
                                        ; implicit-def: $vgpr5
                                        ; implicit-def: $vgpr8_vgpr9
.LBB49_83:                              ;   in Loop: Header=BB49_74 Depth=1
	s_andn2_saveexec_b64 s[2:3], s[2:3]
	s_cbranch_execz .LBB49_72
; %bb.84:                               ;   in Loop: Header=BB49_74 Depth=1
	global_load_sbyte v8, v[8:9], off
	s_waitcnt lgkmcnt(0)
	ds_read_b32 v2, v5
	v_subrev_u32_e32 v5, s4, v6
	v_lshl_add_u32 v5, v5, 2, v16
	s_waitcnt vmcnt(0) lgkmcnt(0)
	v_mul_lo_u32 v8, v2, v8
	ds_add_u32 v5, v8
	s_branch .LBB49_72
.LBB49_85:
	s_or_b64 exec, exec, s[38:39]
                                        ; implicit-def: $vgpr8_vgpr9
                                        ; implicit-def: $vgpr10_vgpr11
.LBB49_86:
	s_andn2_saveexec_b64 s[16:17], s[16:17]
	s_cbranch_execz .LBB49_128
; %bb.87:
	s_add_u32 s36, s22, -1
	s_addc_u32 s37, s23, -1
	s_add_u32 s0, s22, -2
	s_addc_u32 s1, s23, -1
	s_cmp_lg_u64 s[20:21], s[0:1]
	s_cselect_b64 s[2:3], -1, 0
	s_cmp_eq_u64 s[20:21], s[0:1]
	v_mov_b64_e32 v[4:5], s[20:21]
	v_mov_b64_e32 v[6:7], s[36:37]
	s_cbranch_scc1 .LBB49_91
; %bb.88:
	s_mov_b64 s[38:39], 0
	v_mov_b64_e32 v[4:5], s[20:21]
	v_mov_b64_e32 v[6:7], s[36:37]
	v_mov_b32_e32 v3, 0
.LBB49_89:                              ; =>This Inner Loop Header: Depth=1
	v_lshl_add_u64 v[12:13], v[6:7], 0, v[4:5]
	v_lshrrev_b32_e32 v2, 31, v13
	v_lshl_add_u64 v[12:13], v[12:13], 0, v[2:3]
	v_ashrrev_i64 v[12:13], 1, v[12:13]
	v_lshl_add_u64 v[14:15], v[12:13], 3, s[12:13]
	global_load_dwordx2 v[14:15], v[14:15], off
	s_waitcnt vmcnt(0)
	v_subrev_co_u32_e32 v14, vcc, s34, v14
	s_nop 1
	v_subbrev_co_u32_e32 v15, vcc, 0, v15, vcc
	v_cmp_lt_i64_e32 vcc, v[10:11], v[14:15]
	s_nop 1
	v_cndmask_b32_e32 v7, v7, v13, vcc
	v_cndmask_b32_e32 v6, v6, v12, vcc
	;; [unrolled: 1-line block ×4, first 2 shown]
	v_lshl_add_u64 v[12:13], v[6:7], 0, -1
	v_cmp_ge_i64_e32 vcc, v[4:5], v[6:7]
	v_cmp_eq_u64_e64 s[0:1], v[4:5], v[12:13]
	s_or_b64 s[0:1], vcc, s[0:1]
	s_and_b64 s[0:1], exec, s[0:1]
	s_or_b64 s[38:39], s[0:1], s[38:39]
	s_andn2_b64 exec, exec, s[38:39]
	s_cbranch_execnz .LBB49_89
; %bb.90:
	s_or_b64 exec, exec, s[38:39]
.LBB49_91:
	v_lshl_add_u64 v[2:3], v[6:7], 3, s[12:13]
	global_load_dwordx2 v[12:13], v[2:3], off
	v_lshl_add_u64 v[2:3], v[10:11], 2, s[14:15]
	global_load_dword v16, v[2:3], off
	s_lshl_b64 s[0:1], s[22:23], 3
	s_add_u32 s14, s12, s0
	s_addc_u32 s15, s13, s1
	s_waitcnt vmcnt(1)
	v_subrev_co_u32_e32 v14, vcc, s34, v12
	s_nop 1
	v_subbrev_co_u32_e32 v15, vcc, 0, v13, vcc
	s_waitcnt vmcnt(0)
	v_subrev_u32_e32 v12, s34, v16
	v_cmp_lt_i64_e32 vcc, v[10:11], v[14:15]
	v_ashrrev_i32_e32 v13, 31, v12
	s_nop 0
	v_cndmask_b32_e32 v5, v7, v5, vcc
	v_cndmask_b32_e32 v4, v6, v4, vcc
	v_cmp_ne_u64_e32 vcc, v[4:5], v[12:13]
	s_and_saveexec_b64 s[38:39], vcc
	s_cbranch_execz .LBB49_97
; %bb.92:
	s_load_dwordx2 s[0:1], s[14:15], 0x0
	s_waitcnt lgkmcnt(0)
	s_sub_u32 s0, s0, s34
	s_subb_u32 s1, s1, 0
	v_cmp_gt_i64_e32 vcc, s[0:1], v[10:11]
	s_and_b64 exec, exec, vcc
	s_cbranch_execz .LBB49_97
; %bb.93:
	v_cmp_gt_i64_e32 vcc, s[4:5], v[12:13]
	v_cmp_le_i64_e64 s[0:1], s[22:23], v[12:13]
	s_or_b64 s[0:1], vcc, s[0:1]
	v_lshl_add_u64 v[4:5], s[18:19], 0, v[4:5]
	s_and_saveexec_b64 s[40:41], s[0:1]
	s_xor_b64 s[0:1], exec, s[40:41]
	s_cbranch_execz .LBB49_95
; %bb.94:
	global_load_sbyte v6, v[4:5], off
	ds_read_b32 v7, v22
	v_lshl_add_u64 v[4:5], v[12:13], 2, s[28:29]
	s_waitcnt vmcnt(0) lgkmcnt(0)
	v_mul_lo_u32 v6, v7, v6
	global_atomic_add v[4:5], v6, off
                                        ; implicit-def: $vgpr4_vgpr5
.LBB49_95:
	s_andn2_saveexec_b64 s[0:1], s[0:1]
	s_cbranch_execz .LBB49_97
; %bb.96:
	global_load_sbyte v4, v[4:5], off
	ds_read_b32 v5, v22
	v_subrev_u32_e32 v6, s4, v12
	v_mov_b32_e32 v7, 0x1000
	v_lshl_add_u32 v6, v6, 2, v7
	s_waitcnt vmcnt(0) lgkmcnt(0)
	v_mul_lo_u32 v4, v5, v4
	ds_add_u32 v6, v4
.LBB49_97:
	s_or_b64 exec, exec, s[38:39]
	v_lshl_add_u64 v[4:5], s[18:19], 0, v[12:13]
	global_load_sbyte v12, v[4:5], off
	ds_read_b32 v13, v22
	s_mov_b64 s[0:1], 0x100
	v_cndmask_b32_e64 v14, 0, 1, s[2:3]
	v_mov_b64_e32 v[6:7], s[20:21]
	v_lshl_add_u64 v[4:5], v[10:11], 0, s[0:1]
	v_cmp_ne_u32_e64 s[0:1], 1, v14
	s_andn2_b64 vcc, exec, s[2:3]
	s_waitcnt vmcnt(0) lgkmcnt(0)
	v_mul_lo_u32 v12, v13, v12
	ds_write_b32 v22, v12
	v_mov_b64_e32 v[12:13], s[36:37]
	s_cbranch_vccnz .LBB49_101
; %bb.98:
	s_mov_b64 s[38:39], 0
	v_mov_b64_e32 v[6:7], s[20:21]
	v_mov_b64_e32 v[12:13], s[36:37]
	v_mov_b32_e32 v15, 0
.LBB49_99:                              ; =>This Inner Loop Header: Depth=1
	v_lshl_add_u64 v[16:17], v[12:13], 0, v[6:7]
	v_lshrrev_b32_e32 v14, 31, v17
	v_lshl_add_u64 v[16:17], v[16:17], 0, v[14:15]
	v_ashrrev_i64 v[16:17], 1, v[16:17]
	v_lshl_add_u64 v[18:19], v[16:17], 3, s[12:13]
	global_load_dwordx2 v[18:19], v[18:19], off
	s_waitcnt vmcnt(0)
	v_subrev_co_u32_e32 v18, vcc, s34, v18
	s_nop 1
	v_subbrev_co_u32_e32 v19, vcc, 0, v19, vcc
	v_cmp_lt_i64_e32 vcc, v[4:5], v[18:19]
	s_nop 1
	v_cndmask_b32_e32 v13, v13, v17, vcc
	v_cndmask_b32_e32 v12, v12, v16, vcc
	;; [unrolled: 1-line block ×4, first 2 shown]
	v_lshl_add_u64 v[16:17], v[12:13], 0, -1
	v_cmp_ge_i64_e32 vcc, v[6:7], v[12:13]
	v_cmp_eq_u64_e64 s[2:3], v[6:7], v[16:17]
	s_or_b64 s[2:3], vcc, s[2:3]
	s_and_b64 s[2:3], exec, s[2:3]
	s_or_b64 s[38:39], s[2:3], s[38:39]
	s_andn2_b64 exec, exec, s[38:39]
	s_cbranch_execnz .LBB49_99
; %bb.100:
	s_or_b64 exec, exec, s[38:39]
.LBB49_101:
	v_lshl_add_u64 v[14:15], v[12:13], 3, s[12:13]
	global_load_dwordx2 v[16:17], v[14:15], off
	global_load_dword v18, v[2:3], off offset:1024
	s_waitcnt vmcnt(1)
	v_subrev_co_u32_e32 v16, vcc, s34, v16
	s_nop 1
	v_subbrev_co_u32_e32 v17, vcc, 0, v17, vcc
	s_waitcnt vmcnt(0)
	v_subrev_u32_e32 v14, s34, v18
	v_cmp_lt_i64_e32 vcc, v[4:5], v[16:17]
	v_ashrrev_i32_e32 v15, 31, v14
	s_nop 0
	v_cndmask_b32_e32 v7, v13, v7, vcc
	v_cndmask_b32_e32 v6, v12, v6, vcc
	v_cmp_ne_u64_e32 vcc, v[6:7], v[14:15]
	s_and_saveexec_b64 s[38:39], vcc
	s_cbranch_execz .LBB49_107
; %bb.102:
	s_load_dwordx2 s[2:3], s[14:15], 0x0
	s_waitcnt lgkmcnt(0)
	s_sub_u32 s2, s2, s34
	s_subb_u32 s3, s3, 0
	v_cmp_gt_i64_e32 vcc, s[2:3], v[4:5]
	s_and_b64 exec, exec, vcc
	s_cbranch_execz .LBB49_107
; %bb.103:
	v_cmp_gt_i64_e32 vcc, s[4:5], v[14:15]
	v_cmp_le_i64_e64 s[2:3], s[22:23], v[14:15]
	s_or_b64 s[2:3], vcc, s[2:3]
	v_lshl_add_u64 v[4:5], s[18:19], 0, v[6:7]
	s_and_saveexec_b64 s[40:41], s[2:3]
	s_xor_b64 s[2:3], exec, s[40:41]
	s_cbranch_execz .LBB49_105
; %bb.104:
	global_load_sbyte v6, v[4:5], off
	ds_read_b32 v7, v22 offset:1024
	v_lshl_add_u64 v[4:5], v[14:15], 2, s[28:29]
	s_waitcnt vmcnt(0) lgkmcnt(0)
	v_mul_lo_u32 v6, v7, v6
	global_atomic_add v[4:5], v6, off
                                        ; implicit-def: $vgpr4_vgpr5
.LBB49_105:
	s_andn2_saveexec_b64 s[2:3], s[2:3]
	s_cbranch_execz .LBB49_107
; %bb.106:
	global_load_sbyte v4, v[4:5], off
	ds_read_b32 v5, v22 offset:1024
	v_subrev_u32_e32 v6, s4, v14
	v_mov_b32_e32 v7, 0x1000
	v_lshl_add_u32 v6, v6, 2, v7
	s_waitcnt vmcnt(0) lgkmcnt(0)
	v_mul_lo_u32 v4, v5, v4
	ds_add_u32 v6, v4
.LBB49_107:
	s_or_b64 exec, exec, s[38:39]
	v_lshl_add_u64 v[4:5], s[18:19], 0, v[14:15]
	global_load_sbyte v12, v[4:5], off
	ds_read_b32 v13, v22 offset:1024
	s_mov_b64 s[2:3], 0x200
	v_lshl_add_u64 v[4:5], v[10:11], 0, s[2:3]
	s_and_b64 vcc, exec, s[0:1]
	v_mov_b64_e32 v[6:7], s[20:21]
	s_waitcnt vmcnt(0) lgkmcnt(0)
	v_mul_lo_u32 v10, v13, v12
	ds_write_b32 v22, v10 offset:1024
	v_mov_b64_e32 v[10:11], s[36:37]
	s_cbranch_vccnz .LBB49_111
; %bb.108:
	s_mov_b64 s[38:39], 0
	v_mov_b64_e32 v[6:7], s[20:21]
	v_mov_b64_e32 v[10:11], s[36:37]
	v_mov_b32_e32 v13, 0
.LBB49_109:                             ; =>This Inner Loop Header: Depth=1
	v_lshl_add_u64 v[14:15], v[10:11], 0, v[6:7]
	v_lshrrev_b32_e32 v12, 31, v15
	v_lshl_add_u64 v[14:15], v[14:15], 0, v[12:13]
	v_ashrrev_i64 v[14:15], 1, v[14:15]
	v_lshl_add_u64 v[16:17], v[14:15], 3, s[12:13]
	global_load_dwordx2 v[16:17], v[16:17], off
	s_waitcnt vmcnt(0)
	v_subrev_co_u32_e32 v16, vcc, s34, v16
	s_nop 1
	v_subbrev_co_u32_e32 v17, vcc, 0, v17, vcc
	v_cmp_lt_i64_e32 vcc, v[4:5], v[16:17]
	s_nop 1
	v_cndmask_b32_e32 v11, v11, v15, vcc
	v_cndmask_b32_e32 v10, v10, v14, vcc
	;; [unrolled: 1-line block ×4, first 2 shown]
	v_lshl_add_u64 v[14:15], v[10:11], 0, -1
	v_cmp_ge_i64_e32 vcc, v[6:7], v[10:11]
	v_cmp_eq_u64_e64 s[2:3], v[6:7], v[14:15]
	s_or_b64 s[2:3], vcc, s[2:3]
	s_and_b64 s[2:3], exec, s[2:3]
	s_or_b64 s[38:39], s[2:3], s[38:39]
	s_andn2_b64 exec, exec, s[38:39]
	s_cbranch_execnz .LBB49_109
; %bb.110:
	s_or_b64 exec, exec, s[38:39]
.LBB49_111:
	v_lshl_add_u64 v[12:13], v[10:11], 3, s[12:13]
	global_load_dwordx2 v[14:15], v[12:13], off
	global_load_dword v16, v[2:3], off offset:2048
	s_waitcnt vmcnt(1)
	v_subrev_co_u32_e32 v14, vcc, s34, v14
	s_nop 1
	v_subbrev_co_u32_e32 v15, vcc, 0, v15, vcc
	s_waitcnt vmcnt(0)
	v_subrev_u32_e32 v12, s34, v16
	v_cmp_lt_i64_e32 vcc, v[4:5], v[14:15]
	v_ashrrev_i32_e32 v13, 31, v12
	s_nop 0
	v_cndmask_b32_e32 v7, v11, v7, vcc
	v_cndmask_b32_e32 v6, v10, v6, vcc
	v_cmp_ne_u64_e32 vcc, v[6:7], v[12:13]
	s_and_saveexec_b64 s[38:39], vcc
	s_cbranch_execz .LBB49_117
; %bb.112:
	s_load_dwordx2 s[2:3], s[14:15], 0x0
	s_waitcnt lgkmcnt(0)
	s_sub_u32 s2, s2, s34
	s_subb_u32 s3, s3, 0
	v_cmp_gt_i64_e32 vcc, s[2:3], v[4:5]
	s_and_b64 exec, exec, vcc
	s_cbranch_execz .LBB49_117
; %bb.113:
	v_cmp_gt_i64_e32 vcc, s[4:5], v[12:13]
	v_cmp_le_i64_e64 s[2:3], s[22:23], v[12:13]
	s_or_b64 s[2:3], vcc, s[2:3]
	v_lshl_add_u64 v[4:5], s[18:19], 0, v[6:7]
	s_and_saveexec_b64 s[40:41], s[2:3]
	s_xor_b64 s[2:3], exec, s[40:41]
	s_cbranch_execz .LBB49_115
; %bb.114:
	global_load_sbyte v6, v[4:5], off
	ds_read_b32 v7, v22 offset:2048
	v_lshl_add_u64 v[4:5], v[12:13], 2, s[28:29]
	s_waitcnt vmcnt(0) lgkmcnt(0)
	v_mul_lo_u32 v6, v7, v6
	global_atomic_add v[4:5], v6, off
                                        ; implicit-def: $vgpr4_vgpr5
.LBB49_115:
	s_andn2_saveexec_b64 s[2:3], s[2:3]
	s_cbranch_execz .LBB49_117
; %bb.116:
	global_load_sbyte v4, v[4:5], off
	ds_read_b32 v5, v22 offset:2048
	v_subrev_u32_e32 v6, s4, v12
	v_mov_b32_e32 v7, 0x1000
	v_lshl_add_u32 v6, v6, 2, v7
	s_waitcnt vmcnt(0) lgkmcnt(0)
	v_mul_lo_u32 v4, v5, v4
	ds_add_u32 v6, v4
.LBB49_117:
	s_or_b64 exec, exec, s[38:39]
	v_lshl_add_u64 v[4:5], s[18:19], 0, v[12:13]
	global_load_sbyte v6, v[4:5], off
	ds_read_b32 v7, v22 offset:2048
	s_and_b64 vcc, exec, s[0:1]
	v_mov_b64_e32 v[4:5], s[20:21]
	s_waitcnt vmcnt(0) lgkmcnt(0)
	v_mul_lo_u32 v6, v7, v6
	ds_write_b32 v22, v6 offset:2048
	v_mov_b64_e32 v[6:7], s[36:37]
	s_cbranch_vccnz .LBB49_121
; %bb.118:
	s_mov_b64 s[2:3], 0
	v_mov_b64_e32 v[4:5], s[20:21]
	v_mov_b64_e32 v[6:7], s[36:37]
	v_mov_b32_e32 v11, 0
.LBB49_119:                             ; =>This Inner Loop Header: Depth=1
	v_lshl_add_u64 v[12:13], v[6:7], 0, v[4:5]
	v_lshrrev_b32_e32 v10, 31, v13
	v_lshl_add_u64 v[12:13], v[12:13], 0, v[10:11]
	v_ashrrev_i64 v[12:13], 1, v[12:13]
	v_lshl_add_u64 v[14:15], v[12:13], 3, s[12:13]
	global_load_dwordx2 v[14:15], v[14:15], off
	s_waitcnt vmcnt(0)
	v_subrev_co_u32_e32 v14, vcc, s34, v14
	s_nop 1
	v_subbrev_co_u32_e32 v15, vcc, 0, v15, vcc
	v_cmp_lt_i64_e32 vcc, v[8:9], v[14:15]
	s_nop 1
	v_cndmask_b32_e32 v7, v7, v13, vcc
	v_cndmask_b32_e32 v6, v6, v12, vcc
	;; [unrolled: 1-line block ×4, first 2 shown]
	v_lshl_add_u64 v[12:13], v[6:7], 0, -1
	v_cmp_ge_i64_e32 vcc, v[4:5], v[6:7]
	v_cmp_eq_u64_e64 s[0:1], v[4:5], v[12:13]
	s_or_b64 s[0:1], vcc, s[0:1]
	s_and_b64 s[0:1], exec, s[0:1]
	s_or_b64 s[2:3], s[0:1], s[2:3]
	s_andn2_b64 exec, exec, s[2:3]
	s_cbranch_execnz .LBB49_119
; %bb.120:
	s_or_b64 exec, exec, s[2:3]
.LBB49_121:
	global_load_dword v12, v[2:3], off offset:3072
	v_lshl_add_u64 v[2:3], v[6:7], 3, s[12:13]
	global_load_dwordx2 v[10:11], v[2:3], off
	s_waitcnt vmcnt(1)
	v_subrev_u32_e32 v2, s34, v12
	v_ashrrev_i32_e32 v3, 31, v2
	s_waitcnt vmcnt(0)
	v_subrev_co_u32_e32 v10, vcc, s34, v10
	s_nop 1
	v_subbrev_co_u32_e32 v11, vcc, 0, v11, vcc
	v_cmp_lt_i64_e32 vcc, v[8:9], v[10:11]
	s_nop 1
	v_cndmask_b32_e32 v5, v7, v5, vcc
	v_cndmask_b32_e32 v4, v6, v4, vcc
	v_cmp_ne_u64_e32 vcc, v[4:5], v[2:3]
	s_and_saveexec_b64 s[2:3], vcc
	s_cbranch_execz .LBB49_127
; %bb.122:
	s_load_dwordx2 s[0:1], s[14:15], 0x0
	s_waitcnt lgkmcnt(0)
	s_sub_u32 s0, s0, s34
	s_subb_u32 s1, s1, 0
	v_cmp_gt_i64_e32 vcc, s[0:1], v[8:9]
	s_and_b64 exec, exec, vcc
	s_cbranch_execz .LBB49_127
; %bb.123:
	v_cmp_gt_i64_e32 vcc, s[4:5], v[2:3]
	v_cmp_le_i64_e64 s[0:1], s[22:23], v[2:3]
	s_or_b64 s[0:1], vcc, s[0:1]
	v_lshl_add_u64 v[4:5], s[18:19], 0, v[4:5]
	s_and_saveexec_b64 s[14:15], s[0:1]
	s_xor_b64 s[0:1], exec, s[14:15]
	s_cbranch_execz .LBB49_125
; %bb.124:
	global_load_sbyte v6, v[4:5], off
	ds_read_b32 v7, v22 offset:3072
	v_lshl_add_u64 v[4:5], v[2:3], 2, s[28:29]
	s_waitcnt vmcnt(0) lgkmcnt(0)
	v_mul_lo_u32 v6, v7, v6
	global_atomic_add v[4:5], v6, off
                                        ; implicit-def: $vgpr4_vgpr5
.LBB49_125:
	s_andn2_saveexec_b64 s[0:1], s[0:1]
	s_cbranch_execz .LBB49_127
; %bb.126:
	global_load_sbyte v4, v[4:5], off
	ds_read_b32 v5, v22 offset:3072
	v_subrev_u32_e32 v6, s4, v2
	v_mov_b32_e32 v7, 0x1000
	v_lshl_add_u32 v6, v6, 2, v7
	s_waitcnt vmcnt(0) lgkmcnt(0)
	v_mul_lo_u32 v4, v5, v4
	ds_add_u32 v6, v4
.LBB49_127:
	s_or_b64 exec, exec, s[2:3]
	v_lshl_add_u64 v[2:3], s[18:19], 0, v[2:3]
	global_load_sbyte v2, v[2:3], off
	ds_read_b32 v3, v22 offset:3072
	s_waitcnt vmcnt(0) lgkmcnt(0)
	v_mul_lo_u32 v2, v3, v2
	ds_write_b32 v22, v2 offset:3072
.LBB49_128:
	s_or_b64 exec, exec, s[16:17]
	v_mov_b64_e32 v[2:3], s[6:7]
	v_cmp_lt_i64_e32 vcc, s[22:23], v[2:3]
	s_and_b64 s[0:1], vcc, exec
	s_cselect_b32 s16, s22, s6
	s_cselect_b32 s0, s23, s7
	s_sub_u32 s2, s16, s30
	s_subb_u32 s3, s0, s31
	v_cmp_gt_i64_e32 vcc, s[2:3], v[0:1]
	s_waitcnt lgkmcnt(0)
	s_barrier
	s_and_saveexec_b64 s[0:1], vcc
	s_cbranch_execz .LBB49_131
; %bb.129:
	v_mov_b64_e32 v[2:3], s[6:7]
	v_cmp_gt_i64_e32 vcc, s[22:23], v[2:3]
	s_and_b64 s[4:5], vcc, exec
	s_cselect_b32 s5, s23, s7
	s_cselect_b32 s4, s22, s6
	v_lshlrev_b32_e32 v2, 2, v0
	v_mov_b32_e32 v3, 0
	v_lshl_add_u64 v[2:3], s[4:5], 2, v[2:3]
	s_lshl_b64 s[4:5], s[6:7], 2
	v_mov_b32_e32 v4, s5
	v_subrev_co_u32_e32 v2, vcc, s4, v2
	s_mov_b64 s[4:5], 0
	s_nop 0
	v_subb_co_u32_e32 v3, vcc, v3, v4, vcc
	v_mov_b32_e32 v4, 0x1000
	v_lshl_add_u64 v[2:3], s[28:29], 0, v[2:3]
	v_lshl_add_u32 v6, v0, 2, v4
	s_mov_b64 s[6:7], 0x100
	s_mov_b64 s[14:15], 0x400
	v_mov_b64_e32 v[4:5], v[0:1]
.LBB49_130:                             ; =>This Inner Loop Header: Depth=1
	ds_read_b32 v7, v6
	v_lshl_add_u64 v[4:5], v[4:5], 0, s[6:7]
	v_cmp_le_i64_e32 vcc, s[2:3], v[4:5]
	v_add_u32_e32 v6, 0x400, v6
	s_or_b64 s[4:5], vcc, s[4:5]
	s_waitcnt lgkmcnt(0)
	global_atomic_add v[2:3], v7, off
	v_lshl_add_u64 v[2:3], v[2:3], 0, s[14:15]
	s_andn2_b64 exec, exec, s[4:5]
	s_cbranch_execnz .LBB49_130
.LBB49_131:
	s_or_b64 exec, exec, s[0:1]
	s_add_i32 s0, s26, -1
	s_ashr_i32 s1, s0, 1
	s_or_b32 s0, s1, s0
	s_ashr_i32 s1, s0, 2
	s_or_b32 s0, s1, s0
	;; [unrolled: 2-line block ×5, first 2 shown]
	s_add_i32 s0, s0, 1
	s_ashr_i32 s3, s0, 1
	v_lshl_add_u64 v[6:7], s[20:21], 0, v[0:1]
	s_cmp_gt_i32 s3, 1
	s_mov_b64 s[0:1], -1
	s_barrier
	s_cbranch_scc1 .LBB49_146
; %bb.132:
	v_cmp_gt_i64_e32 vcc, s[22:23], v[6:7]
	s_and_saveexec_b64 s[0:1], vcc
	s_cbranch_execz .LBB49_145
; %bb.133:
	s_sub_i32 s4, s16, s22
	s_lshl_b32 s4, s4, 2
	s_add_i32 s18, s4, 0x1000
	s_lshl_b32 s4, s8, 2
	s_sub_i32 s19, 0, s4
	s_mov_b64 s[4:5], 0
	v_mov_b64_e32 v[8:9], v[6:7]
	s_branch .LBB49_136
.LBB49_134:                             ;   in Loop: Header=BB49_136 Depth=1
	s_or_b64 exec, exec, s[14:15]
.LBB49_135:                             ;   in Loop: Header=BB49_136 Depth=1
	s_or_b64 exec, exec, s[6:7]
	v_lshl_add_u32 v2, v8, 2, s18
	ds_read_b32 v2, v2
	s_waitcnt lgkmcnt(0)
	v_add_u32_e32 v4, v2, v16
	v_lshl_add_u64 v[2:3], v[8:9], 2, s[28:29]
	global_atomic_add v[2:3], v4, off
	v_lshl_add_u64 v[8:9], v[8:9], 0, s[24:25]
	v_cmp_le_i64_e32 vcc, s[22:23], v[8:9]
	s_or_b64 s[4:5], vcc, s[4:5]
	s_andn2_b64 exec, exec, s[4:5]
	s_cbranch_execz .LBB49_145
.LBB49_136:                             ; =>This Loop Header: Depth=1
                                        ;     Child Loop BB49_139 Depth 2
                                        ;     Child Loop BB49_143 Depth 2
	v_lshl_add_u64 v[2:3], v[8:9], 3, s[12:13]
	global_load_dwordx4 v[2:5], v[2:3], off
	v_mov_b32_e32 v16, 0
	s_waitcnt vmcnt(0)
	v_cmp_lt_i64_e32 vcc, v[2:3], v[4:5]
	s_and_saveexec_b64 s[6:7], vcc
	s_cbranch_execz .LBB49_135
; %bb.137:                              ;   in Loop: Header=BB49_136 Depth=1
	v_mov_b32_e32 v10, s9
	v_subrev_co_u32_e32 v4, vcc, s8, v4
	v_mov_b32_e32 v11, s9
	s_nop 0
	v_subb_co_u32_e32 v5, vcc, v5, v10, vcc
	v_subrev_co_u32_e32 v10, vcc, s8, v2
	s_mov_b64 s[16:17], -1
	s_nop 0
	v_subb_co_u32_e32 v11, vcc, v3, v11, vcc
	v_lshl_add_u64 v[12:13], v[10:11], 0, 1
	v_cmp_gt_i64_e32 vcc, v[12:13], v[4:5]
	v_mov_b32_e32 v16, 0
	s_nop 0
	v_cndmask_b32_e32 v13, v5, v13, vcc
	v_cndmask_b32_e32 v12, v4, v12, vcc
	v_lshl_add_u64 v[12:13], s[8:9], 0, v[12:13]
	v_sub_co_u32_e32 v12, vcc, v12, v2
	s_nop 1
	v_subb_co_u32_e32 v13, vcc, v13, v3, vcc
	v_cmp_lt_u64_e32 vcc, 1, v[12:13]
	s_and_saveexec_b64 s[14:15], vcc
	s_cbranch_execz .LBB49_141
; %bb.138:                              ;   in Loop: Header=BB49_136 Depth=1
	v_and_b32_e32 v14, -2, v12
	v_mov_b32_e32 v15, v13
	v_lshl_add_u32 v17, v2, 2, s19
	v_mov_b32_e32 v16, 0
	s_mov_b64 s[16:17], 0
	v_mov_b64_e32 v[2:3], v[14:15]
	v_mov_b32_e32 v18, 0
.LBB49_139:                             ;   Parent Loop BB49_136 Depth=1
                                        ; =>  This Inner Loop Header: Depth=2
	ds_read2_b32 v[20:21], v17 offset1:1
	v_lshl_add_u64 v[2:3], v[2:3], 0, -2
	v_cmp_eq_u64_e32 vcc, 0, v[2:3]
	v_add_u32_e32 v17, 8, v17
	s_or_b64 s[16:17], vcc, s[16:17]
	s_waitcnt lgkmcnt(0)
	v_add_u32_e32 v18, v21, v18
	v_add_u32_e32 v16, v20, v16
	s_andn2_b64 exec, exec, s[16:17]
	s_cbranch_execnz .LBB49_139
; %bb.140:                              ;   in Loop: Header=BB49_136 Depth=1
	s_or_b64 exec, exec, s[16:17]
	v_cmp_ne_u64_e32 vcc, v[12:13], v[14:15]
	v_lshl_add_u64 v[10:11], v[10:11], 0, v[14:15]
	v_add_u32_e32 v16, v16, v18
	s_orn2_b64 s[16:17], vcc, exec
.LBB49_141:                             ;   in Loop: Header=BB49_136 Depth=1
	s_or_b64 exec, exec, s[14:15]
	s_and_saveexec_b64 s[14:15], s[16:17]
	s_cbranch_execz .LBB49_134
; %bb.142:                              ;   in Loop: Header=BB49_136 Depth=1
	v_lshlrev_b32_e32 v2, 2, v10
	s_mov_b64 s[16:17], 0
.LBB49_143:                             ;   Parent Loop BB49_136 Depth=1
                                        ; =>  This Inner Loop Header: Depth=2
	ds_read_b32 v3, v2
	v_lshl_add_u64 v[10:11], v[10:11], 0, 1
	v_cmp_ge_i64_e32 vcc, v[10:11], v[4:5]
	v_add_u32_e32 v2, 4, v2
	s_or_b64 s[16:17], vcc, s[16:17]
	s_waitcnt lgkmcnt(0)
	v_add_u32_e32 v16, v3, v16
	s_andn2_b64 exec, exec, s[16:17]
	s_cbranch_execnz .LBB49_143
; %bb.144:                              ;   in Loop: Header=BB49_136 Depth=1
	s_or_b64 exec, exec, s[16:17]
	s_branch .LBB49_134
.LBB49_145:
	s_or_b64 exec, exec, s[0:1]
	s_mov_b64 s[0:1], 0
.LBB49_146:
	s_andn2_b64 vcc, exec, s[0:1]
	s_cbranch_vccnz .LBB49_166
; %bb.147:
	v_cvt_f32_u32_e32 v2, s3
	s_sub_i32 s12, 0, s3
	v_mov_b32_e32 v5, 0
	v_mov_b32_e32 v13, s9
	v_rcp_iflag_f32_e32 v2, v2
	s_nop 0
	v_mul_f32_e32 v2, 0x4f7ffffe, v2
	v_cvt_u32_f32_e32 v2, v2
	v_mul_lo_u32 v3, s12, v2
	v_mul_hi_u32 v3, v2, v3
	v_add_u32_e32 v2, v2, v3
	v_mul_hi_u32 v2, v0, v2
	v_mul_lo_u32 v3, v2, s3
	v_sub_u32_e32 v3, v0, v3
	v_add_u32_e32 v4, 1, v2
	v_cmp_le_u32_e32 vcc, s3, v3
	s_nop 1
	v_cndmask_b32_e32 v2, v2, v4, vcc
	v_subrev_u32_e32 v4, s3, v3
	v_cndmask_b32_e32 v3, v3, v4, vcc
	v_add_u32_e32 v4, 1, v2
	v_cmp_le_u32_e32 vcc, s3, v3
	s_nop 1
	v_cndmask_b32_e32 v4, v2, v4, vcc
	v_lshl_add_u64 v[2:3], v[4:5], 3, s[10:11]
	global_load_dwordx4 v[8:11], v[2:3], off
	v_mov_b32_e32 v3, s9
	s_waitcnt vmcnt(0)
	v_subrev_co_u32_e32 v2, vcc, s8, v8
	s_nop 1
	v_subb_co_u32_e32 v3, vcc, v9, v3, vcc
	v_subrev_co_u32_e32 v12, vcc, s8, v10
	v_mov_b32_e32 v10, v5
	s_nop 0
	v_subb_co_u32_e32 v13, vcc, v11, v13, vcc
	v_sub_co_u32_e32 v8, vcc, v12, v2
	s_nop 1
	v_subb_co_u32_e32 v9, vcc, v13, v3, vcc
	v_mov_b32_e32 v11, v9
	v_cmp_ne_u64_e32 vcc, 0, v[10:11]
                                        ; implicit-def: $vgpr10_vgpr11
	s_and_saveexec_b64 s[0:1], vcc
	s_xor_b64 s[4:5], exec, s[0:1]
	s_cbranch_execz .LBB49_149
; %bb.148:
	s_add_u32 s0, s3, 0
	s_addc_u32 s1, 0, 0
	s_xor_b64 s[6:7], s[0:1], 0
	v_cvt_f32_u32_e32 v10, s6
	v_cvt_f32_u32_e32 v11, s7
	s_sub_u32 s8, 0, s6
	s_subb_u32 s9, 0, s7
	v_ashrrev_i32_e32 v14, 31, v9
	v_fmamk_f32 v10, v11, 0x4f800000, v10
	v_rcp_f32_e32 v10, v10
	v_mov_b32_e32 v15, v14
	v_lshl_add_u64 v[8:9], v[8:9], 0, v[14:15]
	v_xor_b32_e32 v18, v8, v14
	v_mul_f32_e32 v10, 0x5f7ffffc, v10
	v_mul_f32_e32 v11, 0x2f800000, v10
	v_trunc_f32_e32 v11, v11
	v_fmamk_f32 v10, v11, 0xcf800000, v10
	v_cvt_u32_f32_e32 v11, v11
	v_cvt_u32_f32_e32 v10, v10
	v_xor_b32_e32 v15, v9, v14
	v_readfirstlane_b32 s10, v11
	v_readfirstlane_b32 s0, v10
	s_mul_i32 s1, s8, s10
	s_mul_hi_u32 s13, s8, s0
	s_mul_i32 s11, s9, s0
	s_add_i32 s1, s13, s1
	s_mul_i32 s14, s8, s0
	s_add_i32 s1, s1, s11
	s_mul_i32 s13, s0, s1
	s_mul_hi_u32 s15, s0, s14
	s_mul_hi_u32 s11, s0, s1
	s_add_u32 s13, s15, s13
	s_addc_u32 s11, 0, s11
	s_mul_hi_u32 s16, s10, s14
	s_mul_i32 s14, s10, s14
	s_add_u32 s13, s13, s14
	s_mul_hi_u32 s15, s10, s1
	s_addc_u32 s11, s11, s16
	s_addc_u32 s13, s15, 0
	s_mul_i32 s1, s10, s1
	s_add_u32 s1, s11, s1
	s_addc_u32 s11, 0, s13
	s_add_u32 s13, s0, s1
	s_cselect_b64 s[0:1], -1, 0
	s_cmp_lg_u64 s[0:1], 0
	s_addc_u32 s10, s10, s11
	s_mul_i32 s0, s8, s10
	s_mul_hi_u32 s1, s8, s13
	s_add_i32 s0, s1, s0
	s_mul_i32 s9, s9, s13
	s_add_i32 s0, s0, s9
	s_mul_i32 s8, s8, s13
	s_mul_hi_u32 s9, s10, s8
	s_mul_i32 s11, s10, s8
	s_mul_i32 s15, s13, s0
	s_mul_hi_u32 s8, s13, s8
	s_mul_hi_u32 s14, s13, s0
	s_add_u32 s8, s8, s15
	s_addc_u32 s14, 0, s14
	s_add_u32 s8, s8, s11
	s_mul_hi_u32 s1, s10, s0
	s_addc_u32 s8, s14, s9
	s_addc_u32 s1, s1, 0
	s_mul_i32 s0, s10, s0
	s_add_u32 s0, s8, s0
	s_addc_u32 s8, 0, s1
	s_add_u32 s9, s13, s0
	s_cselect_b64 s[0:1], -1, 0
	s_cmp_lg_u64 s[0:1], 0
	s_addc_u32 s8, s10, s8
	v_mad_u64_u32 v[8:9], s[0:1], v18, s8, 0
	v_mul_hi_u32 v10, v18, s9
	v_mov_b32_e32 v11, v5
	v_lshl_add_u64 v[8:9], v[10:11], 0, v[8:9]
	v_mad_u64_u32 v[16:17], s[0:1], v15, s9, 0
	v_add_co_u32_e32 v8, vcc, v8, v16
	v_mad_u64_u32 v[10:11], s[0:1], v15, s8, 0
	s_nop 0
	v_addc_co_u32_e32 v8, vcc, v9, v17, vcc
	v_mov_b32_e32 v9, v5
	s_nop 0
	v_addc_co_u32_e32 v11, vcc, 0, v11, vcc
	v_lshl_add_u64 v[8:9], v[8:9], 0, v[10:11]
	v_mul_lo_u32 v16, s7, v8
	v_mul_lo_u32 v17, s6, v9
	v_mad_u64_u32 v[10:11], s[0:1], s6, v8, 0
	v_add3_u32 v19, v11, v17, v16
	v_sub_u32_e32 v11, v15, v19
	v_mov_b32_e32 v16, s7
	v_sub_co_u32_e32 v18, vcc, v18, v10
	s_nop 1
	v_subb_co_u32_e64 v10, s[0:1], v11, v16, vcc
	v_subrev_co_u32_e64 v11, s[0:1], s6, v18
	v_subb_co_u32_e32 v15, vcc, v15, v19, vcc
	s_nop 0
	v_subbrev_co_u32_e64 v10, s[0:1], 0, v10, s[0:1]
	v_cmp_le_u32_e64 s[0:1], s7, v10
	v_cmp_le_u32_e32 vcc, s7, v15
	s_nop 0
	v_cndmask_b32_e64 v16, 0, -1, s[0:1]
	v_cmp_le_u32_e64 s[0:1], s6, v11
	s_nop 1
	v_cndmask_b32_e64 v11, 0, -1, s[0:1]
	v_cmp_eq_u32_e64 s[0:1], s7, v10
	s_nop 1
	v_cndmask_b32_e64 v20, v16, v11, s[0:1]
	v_lshl_add_u64 v[10:11], v[8:9], 0, 2
	v_lshl_add_u64 v[16:17], v[8:9], 0, 1
	v_cmp_ne_u32_e64 s[0:1], 0, v20
	s_nop 1
	v_cndmask_b32_e64 v11, v17, v11, s[0:1]
	v_cndmask_b32_e64 v17, 0, -1, vcc
	v_cmp_le_u32_e32 vcc, s6, v18
	v_cndmask_b32_e64 v10, v16, v10, s[0:1]
	s_nop 0
	v_cndmask_b32_e64 v18, 0, -1, vcc
	v_cmp_eq_u32_e32 vcc, s7, v15
	s_nop 1
	v_cndmask_b32_e32 v15, v17, v18, vcc
	v_cmp_ne_u32_e32 vcc, 0, v15
	s_nop 1
	v_cndmask_b32_e32 v8, v8, v10, vcc
	v_cndmask_b32_e32 v9, v9, v11, vcc
	v_xor_b32_e32 v8, v8, v14
	v_xor_b32_e32 v9, v9, v14
	v_sub_co_u32_e32 v10, vcc, v8, v14
                                        ; implicit-def: $vgpr8
	s_nop 1
	v_subb_co_u32_e32 v11, vcc, v9, v14, vcc
.LBB49_149:
	s_andn2_saveexec_b64 s[0:1], s[4:5]
	s_cbranch_execz .LBB49_151
; %bb.150:
	v_cvt_f32_u32_e32 v9, s3
	v_rcp_iflag_f32_e32 v9, v9
	s_nop 0
	v_mul_f32_e32 v9, 0x4f7ffffe, v9
	v_cvt_u32_f32_e32 v9, v9
	v_mul_lo_u32 v10, s12, v9
	v_mul_hi_u32 v10, v9, v10
	v_add_u32_e32 v9, v9, v10
	v_mul_hi_u32 v9, v8, v9
	v_mul_lo_u32 v10, v9, s3
	v_sub_u32_e32 v8, v8, v10
	v_add_u32_e32 v11, 1, v9
	v_subrev_u32_e32 v10, s3, v8
	v_cmp_le_u32_e32 vcc, s3, v8
	s_nop 1
	v_cndmask_b32_e32 v8, v8, v10, vcc
	v_cndmask_b32_e32 v9, v9, v11, vcc
	v_add_u32_e32 v10, 1, v9
	v_cmp_le_u32_e32 vcc, s3, v8
	v_mov_b32_e32 v11, 0
	s_nop 0
	v_cndmask_b32_e32 v10, v9, v10, vcc
.LBB49_151:
	s_or_b64 exec, exec, s[0:1]
	v_cmp_gt_i64_e32 vcc, s[30:31], v[4:5]
	v_mov_b32_e32 v14, 0
	s_and_saveexec_b64 s[0:1], vcc
	s_cbranch_execz .LBB49_159
; %bb.152:
	s_add_i32 s4, s3, -1
	v_and_b32_e32 v4, s4, v0
	s_mov_b64 s[4:5], 0
	v_cmp_lt_i64_e32 vcc, 0, v[10:11]
	v_mov_b32_e32 v14, 0
	v_lshlrev_b32_e32 v15, 2, v4
	s_and_saveexec_b64 s[6:7], vcc
	s_cbranch_execz .LBB49_156
; %bb.153:
	v_lshl_add_u32 v5, v2, 2, v15
	s_lshl_b32 s8, s3, 2
	v_mov_b32_e32 v14, 0
	v_mov_b64_e32 v[8:9], v[10:11]
.LBB49_154:                             ; =>This Inner Loop Header: Depth=1
	ds_read_b32 v16, v5
	v_lshl_add_u64 v[8:9], v[8:9], 0, -1
	v_cmp_eq_u64_e32 vcc, 0, v[8:9]
	v_add_u32_e32 v5, s8, v5
	s_or_b64 s[4:5], vcc, s[4:5]
	s_waitcnt lgkmcnt(0)
	v_add_u32_e32 v14, v16, v14
	s_andn2_b64 exec, exec, s[4:5]
	s_cbranch_execnz .LBB49_154
; %bb.155:
	s_or_b64 exec, exec, s[4:5]
.LBB49_156:
	s_or_b64 exec, exec, s[6:7]
	v_mad_u64_u32 v[2:3], s[4:5], v10, s3, v[2:3]
	v_mov_b32_e32 v8, v3
	v_mad_u64_u32 v[8:9], s[4:5], v11, s3, v[8:9]
	v_sub_co_u32_e32 v10, vcc, v12, v2
	v_mov_b32_e32 v5, 0
	s_nop 0
	v_subb_co_u32_e32 v11, vcc, v13, v8, vcc
	v_cmp_gt_i64_e32 vcc, v[10:11], v[4:5]
	s_and_saveexec_b64 s[4:5], vcc
	s_cbranch_execz .LBB49_158
; %bb.157:
	v_lshl_add_u32 v2, v2, 2, v15
	ds_read_b32 v2, v2
	s_waitcnt lgkmcnt(0)
	v_add_u32_e32 v14, v2, v14
.LBB49_158:
	s_or_b64 exec, exec, s[4:5]
.LBB49_159:
	s_or_b64 exec, exec, s[0:1]
	v_cmp_gt_i64_e32 vcc, s[30:31], v[0:1]
	s_barrier
	ds_write_b32 v22, v14
	s_waitcnt lgkmcnt(0)
	s_barrier
	s_and_saveexec_b64 s[0:1], vcc
	s_cbranch_execz .LBB49_166
; %bb.160:
	v_mul_lo_u32 v2, s3, v0
	s_and_b32 s0, s3, 0x7ffffffe
	v_lshlrev_b32_e32 v3, 2, v2
	v_mov_b32_e32 v1, 0
	s_mov_b32 s1, s0
	v_mov_b32_e32 v4, 0
.LBB49_161:                             ; =>This Inner Loop Header: Depth=1
	ds_read2_b32 v[8:9], v3 offset1:1
	s_add_i32 s1, s1, -2
	v_add_u32_e32 v3, 8, v3
	s_cmp_lg_u32 s1, 0
	s_waitcnt lgkmcnt(0)
	v_add_u32_e32 v4, v9, v4
	v_add_u32_e32 v1, v8, v1
	s_cbranch_scc1 .LBB49_161
; %bb.162:
	s_cmp_eq_u32 s3, s0
	v_add_u32_e32 v1, v1, v4
	s_cbranch_scc1 .LBB49_165
; %bb.163:
	s_lshl_b32 s1, s3, 2
	s_and_b32 s1, s1, -8
	s_sub_i32 s0, s3, s0
	v_lshl_add_u32 v2, v2, 2, s1
.LBB49_164:                             ; =>This Inner Loop Header: Depth=1
	ds_read_b32 v3, v2
	s_add_i32 s0, s0, -1
	v_add_u32_e32 v2, 4, v2
	s_cmp_eq_u32 s0, 0
	s_waitcnt lgkmcnt(0)
	v_add_u32_e32 v1, v3, v1
	s_cbranch_scc0 .LBB49_164
.LBB49_165:
	s_lshl_b32 s0, s2, 2
	s_addk_i32 s0, 0x1000
	v_lshl_add_u32 v0, v0, 2, s0
	ds_read_b32 v0, v0
	s_waitcnt lgkmcnt(0)
	v_add_u32_e32 v2, v0, v1
	v_lshl_add_u64 v[0:1], v[6:7], 2, s[28:29]
	global_atomic_add v[0:1], v2, off
.LBB49_166:
	s_endpgm
	.section	.rodata,"a",@progbits
	.p2align	6, 0x0
	.amdhsa_kernel _ZN9rocsparseL27csrmvn_symm_adaptive_kernelIliaaiiEEvbT_S1_PKS1_NS_24const_host_device_scalarIT4_EES3_PKT0_PKT1_PKT2_S6_PT3_21rocsparse_index_base_b
		.amdhsa_group_segment_fixed_size 4096
		.amdhsa_private_segment_fixed_size 0
		.amdhsa_kernarg_size 352
		.amdhsa_user_sgpr_count 2
		.amdhsa_user_sgpr_dispatch_ptr 0
		.amdhsa_user_sgpr_queue_ptr 0
		.amdhsa_user_sgpr_kernarg_segment_ptr 1
		.amdhsa_user_sgpr_dispatch_id 0
		.amdhsa_user_sgpr_kernarg_preload_length 0
		.amdhsa_user_sgpr_kernarg_preload_offset 0
		.amdhsa_user_sgpr_private_segment_size 0
		.amdhsa_uses_dynamic_stack 0
		.amdhsa_enable_private_segment 0
		.amdhsa_system_sgpr_workgroup_id_x 1
		.amdhsa_system_sgpr_workgroup_id_y 0
		.amdhsa_system_sgpr_workgroup_id_z 0
		.amdhsa_system_sgpr_workgroup_info 0
		.amdhsa_system_vgpr_workitem_id 0
		.amdhsa_next_free_vgpr 32
		.amdhsa_next_free_sgpr 56
		.amdhsa_accum_offset 32
		.amdhsa_reserve_vcc 1
		.amdhsa_float_round_mode_32 0
		.amdhsa_float_round_mode_16_64 0
		.amdhsa_float_denorm_mode_32 3
		.amdhsa_float_denorm_mode_16_64 3
		.amdhsa_dx10_clamp 1
		.amdhsa_ieee_mode 1
		.amdhsa_fp16_overflow 0
		.amdhsa_tg_split 0
		.amdhsa_exception_fp_ieee_invalid_op 0
		.amdhsa_exception_fp_denorm_src 0
		.amdhsa_exception_fp_ieee_div_zero 0
		.amdhsa_exception_fp_ieee_overflow 0
		.amdhsa_exception_fp_ieee_underflow 0
		.amdhsa_exception_fp_ieee_inexact 0
		.amdhsa_exception_int_div_zero 0
	.end_amdhsa_kernel
	.section	.text._ZN9rocsparseL27csrmvn_symm_adaptive_kernelIliaaiiEEvbT_S1_PKS1_NS_24const_host_device_scalarIT4_EES3_PKT0_PKT1_PKT2_S6_PT3_21rocsparse_index_base_b,"axG",@progbits,_ZN9rocsparseL27csrmvn_symm_adaptive_kernelIliaaiiEEvbT_S1_PKS1_NS_24const_host_device_scalarIT4_EES3_PKT0_PKT1_PKT2_S6_PT3_21rocsparse_index_base_b,comdat
.Lfunc_end49:
	.size	_ZN9rocsparseL27csrmvn_symm_adaptive_kernelIliaaiiEEvbT_S1_PKS1_NS_24const_host_device_scalarIT4_EES3_PKT0_PKT1_PKT2_S6_PT3_21rocsparse_index_base_b, .Lfunc_end49-_ZN9rocsparseL27csrmvn_symm_adaptive_kernelIliaaiiEEvbT_S1_PKS1_NS_24const_host_device_scalarIT4_EES3_PKT0_PKT1_PKT2_S6_PT3_21rocsparse_index_base_b
                                        ; -- End function
	.set _ZN9rocsparseL27csrmvn_symm_adaptive_kernelIliaaiiEEvbT_S1_PKS1_NS_24const_host_device_scalarIT4_EES3_PKT0_PKT1_PKT2_S6_PT3_21rocsparse_index_base_b.num_vgpr, 32
	.set _ZN9rocsparseL27csrmvn_symm_adaptive_kernelIliaaiiEEvbT_S1_PKS1_NS_24const_host_device_scalarIT4_EES3_PKT0_PKT1_PKT2_S6_PT3_21rocsparse_index_base_b.num_agpr, 0
	.set _ZN9rocsparseL27csrmvn_symm_adaptive_kernelIliaaiiEEvbT_S1_PKS1_NS_24const_host_device_scalarIT4_EES3_PKT0_PKT1_PKT2_S6_PT3_21rocsparse_index_base_b.numbered_sgpr, 56
	.set _ZN9rocsparseL27csrmvn_symm_adaptive_kernelIliaaiiEEvbT_S1_PKS1_NS_24const_host_device_scalarIT4_EES3_PKT0_PKT1_PKT2_S6_PT3_21rocsparse_index_base_b.num_named_barrier, 0
	.set _ZN9rocsparseL27csrmvn_symm_adaptive_kernelIliaaiiEEvbT_S1_PKS1_NS_24const_host_device_scalarIT4_EES3_PKT0_PKT1_PKT2_S6_PT3_21rocsparse_index_base_b.private_seg_size, 0
	.set _ZN9rocsparseL27csrmvn_symm_adaptive_kernelIliaaiiEEvbT_S1_PKS1_NS_24const_host_device_scalarIT4_EES3_PKT0_PKT1_PKT2_S6_PT3_21rocsparse_index_base_b.uses_vcc, 1
	.set _ZN9rocsparseL27csrmvn_symm_adaptive_kernelIliaaiiEEvbT_S1_PKS1_NS_24const_host_device_scalarIT4_EES3_PKT0_PKT1_PKT2_S6_PT3_21rocsparse_index_base_b.uses_flat_scratch, 0
	.set _ZN9rocsparseL27csrmvn_symm_adaptive_kernelIliaaiiEEvbT_S1_PKS1_NS_24const_host_device_scalarIT4_EES3_PKT0_PKT1_PKT2_S6_PT3_21rocsparse_index_base_b.has_dyn_sized_stack, 0
	.set _ZN9rocsparseL27csrmvn_symm_adaptive_kernelIliaaiiEEvbT_S1_PKS1_NS_24const_host_device_scalarIT4_EES3_PKT0_PKT1_PKT2_S6_PT3_21rocsparse_index_base_b.has_recursion, 0
	.set _ZN9rocsparseL27csrmvn_symm_adaptive_kernelIliaaiiEEvbT_S1_PKS1_NS_24const_host_device_scalarIT4_EES3_PKT0_PKT1_PKT2_S6_PT3_21rocsparse_index_base_b.has_indirect_call, 0
	.section	.AMDGPU.csdata,"",@progbits
; Kernel info:
; codeLenInByte = 7972
; TotalNumSgprs: 62
; NumVgprs: 32
; NumAgprs: 0
; TotalNumVgprs: 32
; ScratchSize: 0
; MemoryBound: 0
; FloatMode: 240
; IeeeMode: 1
; LDSByteSize: 4096 bytes/workgroup (compile time only)
; SGPRBlocks: 7
; VGPRBlocks: 3
; NumSGPRsForWavesPerEU: 62
; NumVGPRsForWavesPerEU: 32
; AccumOffset: 32
; Occupancy: 8
; WaveLimiterHint : 1
; COMPUTE_PGM_RSRC2:SCRATCH_EN: 0
; COMPUTE_PGM_RSRC2:USER_SGPR: 2
; COMPUTE_PGM_RSRC2:TRAP_HANDLER: 0
; COMPUTE_PGM_RSRC2:TGID_X_EN: 1
; COMPUTE_PGM_RSRC2:TGID_Y_EN: 0
; COMPUTE_PGM_RSRC2:TGID_Z_EN: 0
; COMPUTE_PGM_RSRC2:TIDIG_COMP_CNT: 0
; COMPUTE_PGM_RSRC3_GFX90A:ACCUM_OFFSET: 7
; COMPUTE_PGM_RSRC3_GFX90A:TG_SPLIT: 0
	.section	.text._ZL33csrmvn_symm_large_adaptive_kernelIliaaiiEvbT_PKS0_N9rocsparse24const_host_device_scalarIT4_EES2_PKT0_PKT1_PKT2_S6_PT3_21rocsparse_index_base_b,"axG",@progbits,_ZL33csrmvn_symm_large_adaptive_kernelIliaaiiEvbT_PKS0_N9rocsparse24const_host_device_scalarIT4_EES2_PKT0_PKT1_PKT2_S6_PT3_21rocsparse_index_base_b,comdat
	.globl	_ZL33csrmvn_symm_large_adaptive_kernelIliaaiiEvbT_PKS0_N9rocsparse24const_host_device_scalarIT4_EES2_PKT0_PKT1_PKT2_S6_PT3_21rocsparse_index_base_b ; -- Begin function _ZL33csrmvn_symm_large_adaptive_kernelIliaaiiEvbT_PKS0_N9rocsparse24const_host_device_scalarIT4_EES2_PKT0_PKT1_PKT2_S6_PT3_21rocsparse_index_base_b
	.p2align	8
	.type	_ZL33csrmvn_symm_large_adaptive_kernelIliaaiiEvbT_PKS0_N9rocsparse24const_host_device_scalarIT4_EES2_PKT0_PKT1_PKT2_S6_PT3_21rocsparse_index_base_b,@function
_ZL33csrmvn_symm_large_adaptive_kernelIliaaiiEvbT_PKS0_N9rocsparse24const_host_device_scalarIT4_EES2_PKT0_PKT1_PKT2_S6_PT3_21rocsparse_index_base_b: ; @_ZL33csrmvn_symm_large_adaptive_kernelIliaaiiEvbT_PKS0_N9rocsparse24const_host_device_scalarIT4_EES2_PKT0_PKT1_PKT2_S6_PT3_21rocsparse_index_base_b
; %bb.0:
	s_load_dwordx2 s[24:25], s[0:1], 0x50
	s_load_dwordx2 s[8:9], s[0:1], 0x18
	s_mov_b64 s[10:11], -1
                                        ; implicit-def: $sgpr33
	s_waitcnt lgkmcnt(0)
	s_bitcmp1_b32 s25, 0
	s_cselect_b64 s[4:5], -1, 0
	s_xor_b64 s[6:7], s[4:5], -1
	s_and_b64 vcc, exec, s[6:7]
	s_cbranch_vccnz .LBB50_4
; %bb.1:
	s_load_dwordx2 s[4:5], s[0:1], 0x40
	s_andn2_b64 vcc, exec, s[10:11]
	s_cbranch_vccz .LBB50_5
.LBB50_2:
	s_and_b64 vcc, exec, s[6:7]
	s_cbranch_vccz .LBB50_6
.LBB50_3:
	s_waitcnt lgkmcnt(0)
	s_load_dword s3, s[4:5], 0x0
	s_cbranch_execz .LBB50_7
	s_branch .LBB50_8
.LBB50_4:
	s_load_dword s33, s[8:9], 0x0
	s_load_dwordx2 s[4:5], s[0:1], 0x40
	s_cbranch_execnz .LBB50_2
.LBB50_5:
	s_waitcnt lgkmcnt(0)
	s_mov_b32 s33, s8
	s_and_b64 vcc, exec, s[6:7]
	s_cbranch_vccnz .LBB50_3
.LBB50_6:
                                        ; implicit-def: $sgpr3
.LBB50_7:
	s_waitcnt lgkmcnt(0)
	s_mov_b32 s3, s4
.LBB50_8:
	s_waitcnt lgkmcnt(0)
	s_cmp_lg_u32 s33, 0
	s_cselect_b64 s[4:5], -1, 0
	s_cmp_lg_u32 s3, 1
	s_cselect_b64 s[6:7], -1, 0
	s_or_b64 s[4:5], s[4:5], s[6:7]
	s_andn2_b64 vcc, exec, s[4:5]
	s_mov_b32 s25, 0
	s_cbranch_vccnz .LBB50_42
; %bb.9:
	s_load_dwordx2 s[4:5], s[0:1], 0x10
	s_ashr_i32 s3, s2, 31
	s_lshl_b64 s[2:3], s[2:3], 3
	v_lshlrev_b32_e32 v20, 2, v0
	v_mov_b32_e32 v21, 0
	s_waitcnt lgkmcnt(0)
	s_add_u32 s2, s4, s2
	s_addc_u32 s3, s5, s3
	ds_write2st64_b32 v20, v21, v21 offset1:4
	ds_write2st64_b32 v20, v21, v21 offset0:8 offset1:12
	s_waitcnt lgkmcnt(0)
	s_barrier
	s_load_dwordx4 s[16:19], s[2:3], 0x0
	s_load_dwordx8 s[8:15], s[0:1], 0x20
	s_load_dwordx2 s[26:27], s[0:1], 0x48
	s_waitcnt lgkmcnt(0)
	v_mov_b64_e32 v[2:3], s[18:19]
	v_cmp_ge_i64_e32 vcc, s[16:17], v[2:3]
	v_subrev_co_u32_e64 v2, s[0:1], s24, v0
	s_nop 1
	v_subb_co_u32_e64 v3, s[0:1], 0, 0, s[0:1]
	s_cbranch_vccnz .LBB50_33
; %bb.10:
	v_or_b32_e32 v1, 0x100, v0
	v_subrev_co_u32_e32 v6, vcc, s24, v1
	v_cmp_gt_u32_e64 s[0:1], 64, v0
	v_cmp_gt_u32_e64 s[2:3], 16, v0
	;; [unrolled: 1-line block ×3, first 2 shown]
	v_cmp_eq_u32_e64 s[6:7], 0, v0
	v_not_b32_e32 v4, v0
	v_subb_co_u32_e64 v7, s[20:21], 0, 0, vcc
	v_subrev_co_u32_e32 v0, vcc, s24, v0
	v_mov_b32_e32 v5, -1
	s_nop 0
	v_subb_co_u32_e64 v1, s[20:21], 0, 0, vcc
	s_add_u32 s30, s10, 0x400
	v_lshl_add_u64 v[0:1], s[12:13], 0, v[0:1]
	s_mov_b64 s[34:35], 0x100
	v_lshl_add_u64 v[4:5], v[4:5], 0, s[24:25]
	s_mov_b32 s25, s24
	s_mov_b64 s[28:29], 0x400
	s_addc_u32 s31, s11, 0
	v_lshl_add_u64 v[0:1], v[0:1], 0, s[34:35]
	s_mov_b64 s[36:37], 0xff
	s_mov_b64 s[38:39], 0x800
	;; [unrolled: 1-line block ×4, first 2 shown]
	s_branch .LBB50_12
.LBB50_11:                              ;   in Loop: Header=BB50_12 Depth=1
	s_or_b64 exec, exec, s[20:21]
	s_add_u32 s42, s42, 1
	s_addc_u32 s43, s43, 0
	v_mov_b64_e32 v[8:9], s[18:19]
	v_cmp_ge_i64_e32 vcc, s[42:43], v[8:9]
	s_cbranch_vccnz .LBB50_33
.LBB50_12:                              ; =>This Loop Header: Depth=1
                                        ;     Child Loop BB50_15 Depth 2
                                        ;     Child Loop BB50_19 Depth 2
	s_lshl_b64 s[20:21], s[42:43], 3
	s_add_u32 s44, s8, s20
	s_addc_u32 s45, s9, s21
	s_load_dwordx4 s[20:23], s[44:45], 0x0
	v_mov_b32_e32 v14, 0
	s_waitcnt lgkmcnt(0)
	s_sub_u32 s44, s22, s24
	v_lshl_add_u64 v[8:9], s[20:21], 0, v[2:3]
	s_subb_u32 s45, s23, 0
	v_cmp_gt_i64_e32 vcc, s[44:45], v[8:9]
	s_and_saveexec_b64 s[22:23], vcc
	s_cbranch_execz .LBB50_22
; %bb.13:                               ;   in Loop: Header=BB50_12 Depth=1
	v_lshl_add_u64 v[10:11], v[6:7], 0, s[20:21]
	v_mov_b32_e32 v12, s45
	v_cmp_lt_i64_e32 vcc, s[44:45], v[10:11]
	s_mov_b64 s[48:49], -1
	v_mov_b32_e32 v14, 0
	v_cndmask_b32_e32 v11, v12, v11, vcc
	v_mov_b32_e32 v12, s44
	v_cndmask_b32_e32 v10, v12, v10, vcc
	v_lshl_add_u64 v[10:11], v[4:5], 0, v[10:11]
	v_mov_b32_e32 v12, s21
	v_subrev_co_u32_e32 v10, vcc, s20, v10
	s_nop 1
	v_subb_co_u32_e32 v11, vcc, v11, v12, vcc
	v_cmp_lt_u64_e32 vcc, s[36:37], v[10:11]
	s_and_saveexec_b64 s[46:47], vcc
	s_cbranch_execz .LBB50_17
; %bb.14:                               ;   in Loop: Header=BB50_12 Depth=1
	v_lshrrev_b64 v[10:11], 8, v[10:11]
	v_lshl_add_u64 v[10:11], v[10:11], 0, 1
	v_and_b32_e32 v12, -2, v10
	v_mov_b32_e32 v13, v11
	v_lshl_add_u64 v[14:15], v[8:9], 2, s[30:31]
	v_lshl_add_u64 v[16:17], v[0:1], 0, s[20:21]
	v_mov_b32_e32 v22, 0
	s_mov_b64 s[20:21], 0
	v_mov_b64_e32 v[18:19], v[12:13]
	v_mov_b32_e32 v23, 0
.LBB50_15:                              ;   Parent Loop BB50_12 Depth=1
                                        ; =>  This Inner Loop Header: Depth=2
	global_load_dword v24, v[14:15], off offset:-1024
	global_load_dword v25, v[14:15], off
	global_load_sbyte v28, v[16:17], off offset:-256
	global_load_sbyte v29, v[16:17], off
	v_lshl_add_u64 v[18:19], v[18:19], 0, -2
	v_cmp_eq_u64_e32 vcc, 0, v[18:19]
	v_lshl_add_u64 v[14:15], v[14:15], 0, s[38:39]
	v_lshl_add_u64 v[16:17], v[16:17], 0, s[40:41]
	s_or_b64 s[20:21], vcc, s[20:21]
	s_waitcnt vmcnt(3)
	v_subrev_u32_e32 v24, s24, v24
	s_waitcnt vmcnt(2)
	v_subrev_u32_e32 v26, s25, v25
	v_ashrrev_i32_e32 v27, 31, v26
	v_ashrrev_i32_e32 v25, 31, v24
	v_lshl_add_u64 v[26:27], s[14:15], 0, v[26:27]
	v_lshl_add_u64 v[24:25], s[14:15], 0, v[24:25]
	global_load_sbyte v30, v[26:27], off
	global_load_sbyte v31, v[24:25], off
	s_waitcnt vmcnt(1)
	v_mad_i32_i24 v23, v30, v29, v23
	s_waitcnt vmcnt(0)
	v_mad_i32_i24 v22, v31, v28, v22
	s_andn2_b64 exec, exec, s[20:21]
	s_cbranch_execnz .LBB50_15
; %bb.16:                               ;   in Loop: Header=BB50_12 Depth=1
	s_or_b64 exec, exec, s[20:21]
	v_lshlrev_b64 v[14:15], 8, v[12:13]
	v_cmp_ne_u64_e32 vcc, v[10:11], v[12:13]
	v_lshl_add_u64 v[8:9], v[8:9], 0, v[14:15]
	v_add_u32_e32 v14, v22, v23
	s_orn2_b64 s[48:49], vcc, exec
.LBB50_17:                              ;   in Loop: Header=BB50_12 Depth=1
	s_or_b64 exec, exec, s[46:47]
	s_and_saveexec_b64 s[20:21], s[48:49]
	s_cbranch_execz .LBB50_21
; %bb.18:                               ;   in Loop: Header=BB50_12 Depth=1
	v_lshl_add_u64 v[10:11], v[8:9], 2, s[10:11]
	s_mov_b64 s[46:47], 0
.LBB50_19:                              ;   Parent Loop BB50_12 Depth=1
                                        ; =>  This Inner Loop Header: Depth=2
	global_load_dword v15, v[10:11], off
	v_lshl_add_u64 v[12:13], s[12:13], 0, v[8:9]
	global_load_sbyte v16, v[12:13], off
	v_lshl_add_u64 v[8:9], v[8:9], 0, s[34:35]
	v_cmp_le_i64_e32 vcc, s[44:45], v[8:9]
	v_lshl_add_u64 v[10:11], v[10:11], 0, s[28:29]
	s_or_b64 s[46:47], vcc, s[46:47]
	s_waitcnt vmcnt(1)
	v_subrev_u32_e32 v12, s24, v15
	v_ashrrev_i32_e32 v13, 31, v12
	v_lshl_add_u64 v[12:13], s[14:15], 0, v[12:13]
	global_load_sbyte v12, v[12:13], off
	s_waitcnt vmcnt(0)
	v_mad_i32_i24 v14, v12, v16, v14
	s_andn2_b64 exec, exec, s[46:47]
	s_cbranch_execnz .LBB50_19
; %bb.20:                               ;   in Loop: Header=BB50_12 Depth=1
	s_or_b64 exec, exec, s[46:47]
.LBB50_21:                              ;   in Loop: Header=BB50_12 Depth=1
	s_or_b64 exec, exec, s[20:21]
.LBB50_22:                              ;   in Loop: Header=BB50_12 Depth=1
	s_or_b64 exec, exec, s[22:23]
	ds_write_b32 v20, v14
	s_waitcnt lgkmcnt(0)
	s_barrier
	ds_read2st64_b32 v[8:9], v20 offset1:4
	ds_read2st64_b32 v[10:11], v20 offset0:8 offset1:12
	s_waitcnt lgkmcnt(0)
	v_add_u32_e32 v9, v10, v9
	v_add3_u32 v8, v9, v11, v8
	ds_write_b32 v20, v8
	s_waitcnt lgkmcnt(0)
	s_barrier
	s_and_saveexec_b64 s[20:21], s[0:1]
	s_cbranch_execz .LBB50_24
; %bb.23:                               ;   in Loop: Header=BB50_12 Depth=1
	ds_read2st64_b32 v[8:9], v20 offset1:1
	ds_read2st64_b32 v[10:11], v20 offset0:2 offset1:3
	s_waitcnt lgkmcnt(0)
	v_add_u32_e32 v9, v10, v9
	v_add3_u32 v8, v9, v11, v8
	ds_write_b32 v20, v8
.LBB50_24:                              ;   in Loop: Header=BB50_12 Depth=1
	s_or_b64 exec, exec, s[20:21]
	s_waitcnt lgkmcnt(0)
	s_barrier
	s_and_saveexec_b64 s[20:21], s[2:3]
	s_cbranch_execz .LBB50_26
; %bb.25:                               ;   in Loop: Header=BB50_12 Depth=1
	ds_read2_b32 v[8:9], v20 offset1:16
	ds_read2_b32 v[10:11], v20 offset0:32 offset1:48
	s_waitcnt lgkmcnt(0)
	v_add_u32_e32 v9, v10, v9
	v_add3_u32 v8, v9, v11, v8
	ds_write_b32 v20, v8
.LBB50_26:                              ;   in Loop: Header=BB50_12 Depth=1
	s_or_b64 exec, exec, s[20:21]
	s_waitcnt lgkmcnt(0)
	s_barrier
	s_and_saveexec_b64 s[20:21], s[4:5]
	s_cbranch_execz .LBB50_28
; %bb.27:                               ;   in Loop: Header=BB50_12 Depth=1
	ds_read2_b32 v[8:9], v20 offset1:4
	ds_read2_b32 v[10:11], v20 offset0:8 offset1:12
	s_waitcnt lgkmcnt(0)
	v_add_u32_e32 v9, v10, v9
	v_add3_u32 v8, v9, v11, v8
	ds_write_b32 v20, v8
.LBB50_28:                              ;   in Loop: Header=BB50_12 Depth=1
	s_or_b64 exec, exec, s[20:21]
	s_waitcnt lgkmcnt(0)
	s_barrier
	s_and_saveexec_b64 s[20:21], s[6:7]
	s_cbranch_execz .LBB50_30
; %bb.29:                               ;   in Loop: Header=BB50_12 Depth=1
	ds_read2_b32 v[8:9], v21 offset0:1 offset1:2
	ds_read_b32 v10, v21 offset:12
	ds_read_b32 v11, v20
	s_waitcnt lgkmcnt(2)
	v_add_u32_e32 v8, v9, v8
	s_waitcnt lgkmcnt(1)
	v_add_u32_e32 v8, v8, v10
	;; [unrolled: 2-line block ×3, first 2 shown]
	ds_write_b32 v20, v8
.LBB50_30:                              ;   in Loop: Header=BB50_12 Depth=1
	s_or_b64 exec, exec, s[20:21]
	s_waitcnt lgkmcnt(0)
	s_barrier
	s_and_saveexec_b64 s[20:21], s[6:7]
	s_cbranch_execz .LBB50_11
; %bb.31:                               ;   in Loop: Header=BB50_12 Depth=1
	s_mov_b64 s[22:23], exec
	v_mbcnt_lo_u32_b32 v8, s22, 0
	v_mbcnt_hi_u32_b32 v8, s23, v8
	v_cmp_eq_u32_e32 vcc, 0, v8
	s_and_b64 s[44:45], exec, vcc
	s_mov_b64 exec, s[44:45]
	s_cbranch_execz .LBB50_11
; %bb.32:                               ;   in Loop: Header=BB50_12 Depth=1
	ds_read_b32 v8, v21
	s_lshl_b64 s[44:45], s[42:43], 2
	s_add_u32 s44, s26, s44
	s_addc_u32 s45, s27, s45
	s_bcnt1_i32_b64 s22, s[22:23]
	s_waitcnt lgkmcnt(0)
	v_mul_lo_u32 v8, v8, s33
	v_mul_lo_u32 v8, v8, s22
	global_atomic_add v21, v8, s[44:45]
	s_branch .LBB50_11
.LBB50_33:
	s_lshl_b64 s[0:1], s[16:17], 3
	s_add_u32 s0, s8, s0
	s_addc_u32 s1, s9, s1
	s_lshl_b64 s[2:3], s[18:19], 3
	s_add_u32 s2, s8, s2
	s_addc_u32 s3, s9, s3
	s_load_dwordx2 s[4:5], s[2:3], 0x0
	s_load_dwordx2 s[6:7], s[0:1], 0x0
	s_waitcnt lgkmcnt(0)
	s_sub_u32 s4, s4, s24
	s_subb_u32 s5, s5, 0
	v_lshl_add_u64 v[0:1], s[6:7], 0, v[2:3]
	v_cmp_gt_i64_e32 vcc, s[4:5], v[0:1]
	s_and_saveexec_b64 s[0:1], vcc
	s_cbranch_execz .LBB50_42
; %bb.34:
	s_add_u32 s6, s18, -1
	s_addc_u32 s7, s19, -1
	s_add_u32 s0, s18, -2
	s_addc_u32 s1, s19, -1
	v_mov_b64_e32 v[2:3], s[6:7]
	s_cmp_lg_u64 s[16:17], s[0:1]
	v_cmp_lt_i64_e32 vcc, s[16:17], v[2:3]
	s_cselect_b64 s[0:1], -1, 0
	s_and_b64 s[0:1], vcc, s[0:1]
	v_cndmask_b32_e64 v2, 0, 1, s[0:1]
	s_mov_b64 s[18:19], 0
	v_cmp_ne_u32_e64 s[0:1], 1, v2
	v_mov_b32_e32 v3, 0
	s_mov_b64 s[20:21], 0x100
	s_branch .LBB50_36
.LBB50_35:                              ;   in Loop: Header=BB50_36 Depth=1
	s_or_b64 exec, exec, s[2:3]
	v_lshl_add_u64 v[0:1], v[0:1], 0, s[20:21]
	v_cmp_le_i64_e32 vcc, s[4:5], v[0:1]
	s_or_b64 s[18:19], vcc, s[18:19]
	s_andn2_b64 exec, exec, s[18:19]
	s_cbranch_execz .LBB50_42
.LBB50_36:                              ; =>This Loop Header: Depth=1
                                        ;     Child Loop BB50_38 Depth 2
	s_and_b64 vcc, exec, s[0:1]
	v_mov_b64_e32 v[4:5], s[16:17]
	v_mov_b64_e32 v[6:7], s[6:7]
	s_cbranch_vccnz .LBB50_40
; %bb.37:                               ;   in Loop: Header=BB50_36 Depth=1
	s_mov_b64 s[22:23], 0
	v_mov_b64_e32 v[4:5], s[16:17]
	v_mov_b64_e32 v[6:7], s[6:7]
.LBB50_38:                              ;   Parent Loop BB50_36 Depth=1
                                        ; =>  This Inner Loop Header: Depth=2
	v_lshl_add_u64 v[8:9], v[6:7], 0, v[4:5]
	v_lshrrev_b32_e32 v2, 31, v9
	v_lshl_add_u64 v[8:9], v[8:9], 0, v[2:3]
	v_ashrrev_i64 v[8:9], 1, v[8:9]
	v_lshl_add_u64 v[10:11], v[8:9], 3, s[8:9]
	global_load_dwordx2 v[10:11], v[10:11], off
	s_waitcnt vmcnt(0)
	v_subrev_co_u32_e32 v10, vcc, s24, v10
	s_nop 1
	v_subbrev_co_u32_e32 v11, vcc, 0, v11, vcc
	v_cmp_lt_i64_e32 vcc, v[0:1], v[10:11]
	s_nop 1
	v_cndmask_b32_e32 v7, v7, v9, vcc
	v_cndmask_b32_e32 v6, v6, v8, vcc
	;; [unrolled: 1-line block ×4, first 2 shown]
	v_lshl_add_u64 v[8:9], v[6:7], 0, -1
	v_cmp_ge_i64_e32 vcc, v[4:5], v[6:7]
	v_cmp_eq_u64_e64 s[2:3], v[4:5], v[8:9]
	s_or_b64 s[2:3], vcc, s[2:3]
	s_and_b64 s[2:3], exec, s[2:3]
	s_or_b64 s[22:23], s[2:3], s[22:23]
	s_andn2_b64 exec, exec, s[22:23]
	s_cbranch_execnz .LBB50_38
; %bb.39:                               ;   in Loop: Header=BB50_36 Depth=1
	s_or_b64 exec, exec, s[22:23]
.LBB50_40:                              ;   in Loop: Header=BB50_36 Depth=1
	v_lshl_add_u64 v[8:9], v[6:7], 3, s[8:9]
	global_load_dwordx2 v[8:9], v[8:9], off
	v_lshl_add_u64 v[10:11], v[0:1], 2, s[10:11]
	global_load_dword v2, v[10:11], off
	s_waitcnt vmcnt(1)
	v_subrev_co_u32_e32 v10, vcc, s24, v8
	s_nop 1
	v_subbrev_co_u32_e32 v11, vcc, 0, v9, vcc
	s_waitcnt vmcnt(0)
	v_subrev_u32_e32 v8, s24, v2
	v_cmp_lt_i64_e32 vcc, v[0:1], v[10:11]
	v_ashrrev_i32_e32 v9, 31, v8
	s_nop 0
	v_cndmask_b32_e32 v5, v7, v5, vcc
	v_cndmask_b32_e32 v4, v6, v4, vcc
	v_cmp_ne_u64_e32 vcc, v[4:5], v[8:9]
	s_and_saveexec_b64 s[2:3], vcc
	s_cbranch_execz .LBB50_35
; %bb.41:                               ;   in Loop: Header=BB50_36 Depth=1
	v_lshl_add_u64 v[6:7], s[12:13], 0, v[0:1]
	global_load_sbyte v2, v[6:7], off
	v_lshl_add_u64 v[4:5], s[14:15], 0, v[4:5]
	global_load_sbyte v6, v[4:5], off
	v_lshl_add_u64 v[4:5], v[8:9], 2, s[26:27]
	s_waitcnt vmcnt(1)
	v_mul_lo_u32 v2, s33, v2
	s_waitcnt vmcnt(0)
	v_mul_lo_u32 v2, v2, v6
	global_atomic_add v[4:5], v2, off
	s_branch .LBB50_35
.LBB50_42:
	s_endpgm
	.section	.rodata,"a",@progbits
	.p2align	6, 0x0
	.amdhsa_kernel _ZL33csrmvn_symm_large_adaptive_kernelIliaaiiEvbT_PKS0_N9rocsparse24const_host_device_scalarIT4_EES2_PKT0_PKT1_PKT2_S6_PT3_21rocsparse_index_base_b
		.amdhsa_group_segment_fixed_size 4096
		.amdhsa_private_segment_fixed_size 0
		.amdhsa_kernarg_size 88
		.amdhsa_user_sgpr_count 2
		.amdhsa_user_sgpr_dispatch_ptr 0
		.amdhsa_user_sgpr_queue_ptr 0
		.amdhsa_user_sgpr_kernarg_segment_ptr 1
		.amdhsa_user_sgpr_dispatch_id 0
		.amdhsa_user_sgpr_kernarg_preload_length 0
		.amdhsa_user_sgpr_kernarg_preload_offset 0
		.amdhsa_user_sgpr_private_segment_size 0
		.amdhsa_uses_dynamic_stack 0
		.amdhsa_enable_private_segment 0
		.amdhsa_system_sgpr_workgroup_id_x 1
		.amdhsa_system_sgpr_workgroup_id_y 0
		.amdhsa_system_sgpr_workgroup_id_z 0
		.amdhsa_system_sgpr_workgroup_info 0
		.amdhsa_system_vgpr_workitem_id 0
		.amdhsa_next_free_vgpr 32
		.amdhsa_next_free_sgpr 50
		.amdhsa_accum_offset 32
		.amdhsa_reserve_vcc 1
		.amdhsa_float_round_mode_32 0
		.amdhsa_float_round_mode_16_64 0
		.amdhsa_float_denorm_mode_32 3
		.amdhsa_float_denorm_mode_16_64 3
		.amdhsa_dx10_clamp 1
		.amdhsa_ieee_mode 1
		.amdhsa_fp16_overflow 0
		.amdhsa_tg_split 0
		.amdhsa_exception_fp_ieee_invalid_op 0
		.amdhsa_exception_fp_denorm_src 0
		.amdhsa_exception_fp_ieee_div_zero 0
		.amdhsa_exception_fp_ieee_overflow 0
		.amdhsa_exception_fp_ieee_underflow 0
		.amdhsa_exception_fp_ieee_inexact 0
		.amdhsa_exception_int_div_zero 0
	.end_amdhsa_kernel
	.section	.text._ZL33csrmvn_symm_large_adaptive_kernelIliaaiiEvbT_PKS0_N9rocsparse24const_host_device_scalarIT4_EES2_PKT0_PKT1_PKT2_S6_PT3_21rocsparse_index_base_b,"axG",@progbits,_ZL33csrmvn_symm_large_adaptive_kernelIliaaiiEvbT_PKS0_N9rocsparse24const_host_device_scalarIT4_EES2_PKT0_PKT1_PKT2_S6_PT3_21rocsparse_index_base_b,comdat
.Lfunc_end50:
	.size	_ZL33csrmvn_symm_large_adaptive_kernelIliaaiiEvbT_PKS0_N9rocsparse24const_host_device_scalarIT4_EES2_PKT0_PKT1_PKT2_S6_PT3_21rocsparse_index_base_b, .Lfunc_end50-_ZL33csrmvn_symm_large_adaptive_kernelIliaaiiEvbT_PKS0_N9rocsparse24const_host_device_scalarIT4_EES2_PKT0_PKT1_PKT2_S6_PT3_21rocsparse_index_base_b
                                        ; -- End function
	.set _ZL33csrmvn_symm_large_adaptive_kernelIliaaiiEvbT_PKS0_N9rocsparse24const_host_device_scalarIT4_EES2_PKT0_PKT1_PKT2_S6_PT3_21rocsparse_index_base_b.num_vgpr, 32
	.set _ZL33csrmvn_symm_large_adaptive_kernelIliaaiiEvbT_PKS0_N9rocsparse24const_host_device_scalarIT4_EES2_PKT0_PKT1_PKT2_S6_PT3_21rocsparse_index_base_b.num_agpr, 0
	.set _ZL33csrmvn_symm_large_adaptive_kernelIliaaiiEvbT_PKS0_N9rocsparse24const_host_device_scalarIT4_EES2_PKT0_PKT1_PKT2_S6_PT3_21rocsparse_index_base_b.numbered_sgpr, 50
	.set _ZL33csrmvn_symm_large_adaptive_kernelIliaaiiEvbT_PKS0_N9rocsparse24const_host_device_scalarIT4_EES2_PKT0_PKT1_PKT2_S6_PT3_21rocsparse_index_base_b.num_named_barrier, 0
	.set _ZL33csrmvn_symm_large_adaptive_kernelIliaaiiEvbT_PKS0_N9rocsparse24const_host_device_scalarIT4_EES2_PKT0_PKT1_PKT2_S6_PT3_21rocsparse_index_base_b.private_seg_size, 0
	.set _ZL33csrmvn_symm_large_adaptive_kernelIliaaiiEvbT_PKS0_N9rocsparse24const_host_device_scalarIT4_EES2_PKT0_PKT1_PKT2_S6_PT3_21rocsparse_index_base_b.uses_vcc, 1
	.set _ZL33csrmvn_symm_large_adaptive_kernelIliaaiiEvbT_PKS0_N9rocsparse24const_host_device_scalarIT4_EES2_PKT0_PKT1_PKT2_S6_PT3_21rocsparse_index_base_b.uses_flat_scratch, 0
	.set _ZL33csrmvn_symm_large_adaptive_kernelIliaaiiEvbT_PKS0_N9rocsparse24const_host_device_scalarIT4_EES2_PKT0_PKT1_PKT2_S6_PT3_21rocsparse_index_base_b.has_dyn_sized_stack, 0
	.set _ZL33csrmvn_symm_large_adaptive_kernelIliaaiiEvbT_PKS0_N9rocsparse24const_host_device_scalarIT4_EES2_PKT0_PKT1_PKT2_S6_PT3_21rocsparse_index_base_b.has_recursion, 0
	.set _ZL33csrmvn_symm_large_adaptive_kernelIliaaiiEvbT_PKS0_N9rocsparse24const_host_device_scalarIT4_EES2_PKT0_PKT1_PKT2_S6_PT3_21rocsparse_index_base_b.has_indirect_call, 0
	.section	.AMDGPU.csdata,"",@progbits
; Kernel info:
; codeLenInByte = 1892
; TotalNumSgprs: 56
; NumVgprs: 32
; NumAgprs: 0
; TotalNumVgprs: 32
; ScratchSize: 0
; MemoryBound: 0
; FloatMode: 240
; IeeeMode: 1
; LDSByteSize: 4096 bytes/workgroup (compile time only)
; SGPRBlocks: 6
; VGPRBlocks: 3
; NumSGPRsForWavesPerEU: 56
; NumVGPRsForWavesPerEU: 32
; AccumOffset: 32
; Occupancy: 8
; WaveLimiterHint : 1
; COMPUTE_PGM_RSRC2:SCRATCH_EN: 0
; COMPUTE_PGM_RSRC2:USER_SGPR: 2
; COMPUTE_PGM_RSRC2:TRAP_HANDLER: 0
; COMPUTE_PGM_RSRC2:TGID_X_EN: 1
; COMPUTE_PGM_RSRC2:TGID_Y_EN: 0
; COMPUTE_PGM_RSRC2:TGID_Z_EN: 0
; COMPUTE_PGM_RSRC2:TIDIG_COMP_CNT: 0
; COMPUTE_PGM_RSRC3_GFX90A:ACCUM_OFFSET: 7
; COMPUTE_PGM_RSRC3_GFX90A:TG_SPLIT: 0
	.section	.text._ZN9rocsparseL22csrmvn_adaptive_kernelIllaaiiEEvbT_PKS1_PjPKT0_NS_24const_host_device_scalarIT4_EES3_S7_PKT1_PKT2_SA_PT3_21rocsparse_index_base_b,"axG",@progbits,_ZN9rocsparseL22csrmvn_adaptive_kernelIllaaiiEEvbT_PKS1_PjPKT0_NS_24const_host_device_scalarIT4_EES3_S7_PKT1_PKT2_SA_PT3_21rocsparse_index_base_b,comdat
	.globl	_ZN9rocsparseL22csrmvn_adaptive_kernelIllaaiiEEvbT_PKS1_PjPKT0_NS_24const_host_device_scalarIT4_EES3_S7_PKT1_PKT2_SA_PT3_21rocsparse_index_base_b ; -- Begin function _ZN9rocsparseL22csrmvn_adaptive_kernelIllaaiiEEvbT_PKS1_PjPKT0_NS_24const_host_device_scalarIT4_EES3_S7_PKT1_PKT2_SA_PT3_21rocsparse_index_base_b
	.p2align	8
	.type	_ZN9rocsparseL22csrmvn_adaptive_kernelIllaaiiEEvbT_PKS1_PjPKT0_NS_24const_host_device_scalarIT4_EES3_S7_PKT1_PKT2_SA_PT3_21rocsparse_index_base_b,@function
_ZN9rocsparseL22csrmvn_adaptive_kernelIllaaiiEEvbT_PKS1_PjPKT0_NS_24const_host_device_scalarIT4_EES3_S7_PKT1_PKT2_SA_PT3_21rocsparse_index_base_b: ; @_ZN9rocsparseL22csrmvn_adaptive_kernelIllaaiiEEvbT_PKS1_PjPKT0_NS_24const_host_device_scalarIT4_EES3_S7_PKT1_PKT2_SA_PT3_21rocsparse_index_base_b
; %bb.0:
	s_load_dwordx2 s[44:45], s[0:1], 0x60
	s_load_dwordx2 s[8:9], s[0:1], 0x28
	s_mov_b64 s[10:11], -1
	s_waitcnt lgkmcnt(0)
	s_bitcmp1_b32 s45, 0
	s_cselect_b64 s[4:5], -1, 0
	s_xor_b64 s[6:7], s[4:5], -1
	s_and_b64 vcc, exec, s[6:7]
                                        ; implicit-def: $sgpr45
	s_cbranch_vccnz .LBB51_4
; %bb.1:
	s_load_dwordx2 s[4:5], s[0:1], 0x50
	s_andn2_b64 vcc, exec, s[10:11]
	s_cbranch_vccz .LBB51_5
.LBB51_2:
	s_and_b64 vcc, exec, s[6:7]
	s_cbranch_vccz .LBB51_6
.LBB51_3:
	s_waitcnt lgkmcnt(0)
	s_load_dword s33, s[4:5], 0x0
	s_cbranch_execz .LBB51_7
	s_branch .LBB51_8
.LBB51_4:
	s_load_dword s45, s[8:9], 0x0
	s_load_dwordx2 s[4:5], s[0:1], 0x50
	s_cbranch_execnz .LBB51_2
.LBB51_5:
	s_waitcnt lgkmcnt(0)
	s_mov_b32 s45, s8
	s_and_b64 vcc, exec, s[6:7]
	s_cbranch_vccnz .LBB51_3
.LBB51_6:
                                        ; implicit-def: $sgpr33
.LBB51_7:
	s_waitcnt lgkmcnt(0)
	s_mov_b32 s33, s4
.LBB51_8:
	s_waitcnt lgkmcnt(0)
	s_cmp_lg_u32 s45, 0
	s_cselect_b64 s[4:5], -1, 0
	s_cmp_lg_u32 s33, 1
	s_cselect_b64 s[6:7], -1, 0
	s_or_b64 s[4:5], s[4:5], s[6:7]
	s_andn2_b64 vcc, exec, s[4:5]
	s_cbranch_vccnz .LBB51_124
; %bb.9:
	s_load_dwordx2 s[4:5], s[0:1], 0x10
	s_load_dwordx2 s[6:7], s[0:1], 0x20
	s_ashr_i32 s3, s2, 31
	s_lshl_b64 s[8:9], s[2:3], 3
	s_waitcnt lgkmcnt(0)
	s_add_u32 s4, s4, s8
	s_addc_u32 s5, s5, s9
	s_load_dwordx4 s[36:39], s[4:5], 0x0
	s_load_dwordx2 s[22:23], s[0:1], 0x58
	s_load_dwordx8 s[24:31], s[0:1], 0x30
	s_waitcnt lgkmcnt(0)
	s_sub_u32 s4, s38, s36
	s_subb_u32 s5, s39, s37
	s_add_u32 s6, s6, s8
	s_addc_u32 s7, s7, s9
	s_lshl_b64 s[8:9], s[36:37], 3
	s_add_u32 s42, s24, s8
	s_addc_u32 s43, s25, s9
	s_load_dwordx2 s[34:35], s[6:7], 0x0
	s_load_dwordx2 s[40:41], s[42:43], 0x0
	v_cmp_lt_i64_e64 s[8:9], s[4:5], 2
	s_mov_b64 s[6:7], -1
	s_and_b64 vcc, exec, s[8:9]
	s_cbranch_vccz .LBB51_74
; %bb.10:
	s_cmp_lg_u64 s[4:5], 1
	s_cselect_b64 s[4:5], -1, 0
	s_waitcnt lgkmcnt(0)
	s_cmp_lg_u64 s[34:35], 0
	s_cselect_b64 s[6:7], -1, 0
	s_or_b64 s[4:5], s[4:5], s[6:7]
	s_mov_b64 s[18:19], -1
	s_and_b64 vcc, exec, s[4:5]
	v_cmp_gt_u32_e64 s[4:5], 64, v0
	v_cmp_gt_u32_e64 s[6:7], 32, v0
	;; [unrolled: 1-line block ×6, first 2 shown]
	v_cmp_eq_u32_e64 s[16:17], 0, v0
	s_cbranch_vccnz .LBB51_38
; %bb.11:
	v_subrev_co_u32_e32 v2, vcc, s44, v0
	s_cmp_lg_u32 s33, 0
	s_nop 0
	v_subb_co_u32_e64 v3, s[18:19], 0, 0, vcc
	s_cselect_b64 s[20:21], -1, 0
	s_movk_i32 s18, 0x80
	v_cndmask_b32_e64 v4, 0, 1, s[20:21]
	v_mov_b32_e32 v1, 0
	v_lshlrev_b32_e32 v12, 2, v0
	v_cmp_gt_u32_e64 s[18:19], s18, v0
	s_mov_b64 s[46:47], 0x100
	s_mov_b64 s[48:49], 0x800
	v_cmp_ne_u32_e64 s[20:21], 1, v4
	v_mov_b64_e32 v[4:5], s[38:39]
	s_mov_b64 s[50:51], s[36:37]
	s_branch .LBB51_14
.LBB51_12:                              ;   in Loop: Header=BB51_14 Depth=1
	s_lshl_b64 s[54:55], s[50:51], 2
	s_add_u32 s54, s22, s54
	s_addc_u32 s55, s23, s55
	s_waitcnt lgkmcnt(0)
	global_store_dword v1, v6, s[54:55]
.LBB51_13:                              ;   in Loop: Header=BB51_14 Depth=1
	s_or_b64 exec, exec, s[52:53]
	s_add_u32 s50, s50, 1
	s_addc_u32 s51, s51, 0
	v_cmp_ge_i64_e32 vcc, s[50:51], v[4:5]
	s_cbranch_vccnz .LBB51_37
.LBB51_14:                              ; =>This Loop Header: Depth=1
                                        ;     Child Loop BB51_16 Depth 2
	s_lshl_b64 s[52:53], s[50:51], 3
	s_add_u32 s52, s24, s52
	s_addc_u32 s53, s25, s53
	s_load_dwordx4 s[56:59], s[52:53], 0x0
	v_mov_b32_e32 v6, 0
	s_waitcnt lgkmcnt(0)
	s_sub_u32 s52, s58, s44
	v_lshl_add_u64 v[8:9], s[56:57], 0, v[2:3]
	s_subb_u32 s53, s59, 0
	v_cmp_gt_i64_e32 vcc, s[52:53], v[8:9]
	s_and_saveexec_b64 s[54:55], vcc
	s_cbranch_execz .LBB51_18
; %bb.15:                               ;   in Loop: Header=BB51_14 Depth=1
	v_lshl_add_u64 v[10:11], v[8:9], 3, s[26:27]
	v_mov_b32_e32 v6, 0
	s_mov_b64 s[56:57], 0
.LBB51_16:                              ;   Parent Loop BB51_14 Depth=1
                                        ; =>  This Inner Loop Header: Depth=2
	global_load_dwordx2 v[14:15], v[10:11], off
	v_lshl_add_u64 v[16:17], s[28:29], 0, v[8:9]
	global_load_sbyte v7, v[16:17], off
	v_lshl_add_u64 v[8:9], v[8:9], 0, s[46:47]
	v_lshl_add_u64 v[10:11], v[10:11], 0, s[48:49]
	s_waitcnt vmcnt(1)
	v_subrev_co_u32_e32 v14, vcc, s44, v14
	s_nop 1
	v_subbrev_co_u32_e32 v15, vcc, 0, v15, vcc
	v_lshl_add_u64 v[14:15], s[30:31], 0, v[14:15]
	global_load_sbyte v13, v[14:15], off
	v_cmp_le_i64_e32 vcc, s[52:53], v[8:9]
	s_waitcnt vmcnt(1)
	v_mul_lo_u32 v7, s45, v7
	s_or_b64 s[56:57], vcc, s[56:57]
	s_waitcnt vmcnt(0)
	v_mad_u64_u32 v[6:7], s[58:59], v7, v13, v[6:7]
	s_andn2_b64 exec, exec, s[56:57]
	s_cbranch_execnz .LBB51_16
; %bb.17:                               ;   in Loop: Header=BB51_14 Depth=1
	s_or_b64 exec, exec, s[56:57]
.LBB51_18:                              ;   in Loop: Header=BB51_14 Depth=1
	s_or_b64 exec, exec, s[54:55]
	ds_write_b32 v12, v6
	s_waitcnt lgkmcnt(0)
	s_barrier
	s_and_saveexec_b64 s[52:53], s[18:19]
	s_cbranch_execz .LBB51_20
; %bb.19:                               ;   in Loop: Header=BB51_14 Depth=1
	ds_read2st64_b32 v[6:7], v12 offset1:2
	s_waitcnt lgkmcnt(0)
	v_add_u32_e32 v6, v7, v6
	ds_write_b32 v12, v6
.LBB51_20:                              ;   in Loop: Header=BB51_14 Depth=1
	s_or_b64 exec, exec, s[52:53]
	s_waitcnt lgkmcnt(0)
	s_barrier
	s_and_saveexec_b64 s[52:53], s[4:5]
	s_cbranch_execz .LBB51_22
; %bb.21:                               ;   in Loop: Header=BB51_14 Depth=1
	ds_read2st64_b32 v[6:7], v12 offset1:1
	s_waitcnt lgkmcnt(0)
	v_add_u32_e32 v6, v7, v6
	ds_write_b32 v12, v6
.LBB51_22:                              ;   in Loop: Header=BB51_14 Depth=1
	s_or_b64 exec, exec, s[52:53]
	s_waitcnt lgkmcnt(0)
	s_barrier
	s_and_saveexec_b64 s[52:53], s[6:7]
	s_cbranch_execz .LBB51_24
; %bb.23:                               ;   in Loop: Header=BB51_14 Depth=1
	ds_read2_b32 v[6:7], v12 offset1:32
	s_waitcnt lgkmcnt(0)
	v_add_u32_e32 v6, v7, v6
	ds_write_b32 v12, v6
.LBB51_24:                              ;   in Loop: Header=BB51_14 Depth=1
	s_or_b64 exec, exec, s[52:53]
	s_waitcnt lgkmcnt(0)
	s_barrier
	s_and_saveexec_b64 s[52:53], s[8:9]
	s_cbranch_execz .LBB51_26
; %bb.25:                               ;   in Loop: Header=BB51_14 Depth=1
	ds_read2_b32 v[6:7], v12 offset1:16
	s_waitcnt lgkmcnt(0)
	v_add_u32_e32 v6, v7, v6
	ds_write_b32 v12, v6
.LBB51_26:                              ;   in Loop: Header=BB51_14 Depth=1
	;; [unrolled: 11-line block ×5, first 2 shown]
	s_or_b64 exec, exec, s[52:53]
	s_waitcnt lgkmcnt(0)
	s_barrier
	s_and_saveexec_b64 s[52:53], s[16:17]
	s_cbranch_execz .LBB51_34
; %bb.33:                               ;   in Loop: Header=BB51_14 Depth=1
	ds_read_b64 v[6:7], v1
	s_waitcnt lgkmcnt(0)
	v_add_u32_e32 v6, v7, v6
	ds_write_b32 v1, v6
.LBB51_34:                              ;   in Loop: Header=BB51_14 Depth=1
	s_or_b64 exec, exec, s[52:53]
	s_waitcnt lgkmcnt(0)
	s_barrier
	s_and_saveexec_b64 s[52:53], s[16:17]
	s_cbranch_execz .LBB51_13
; %bb.35:                               ;   in Loop: Header=BB51_14 Depth=1
	ds_read_b32 v6, v1
	s_and_b64 vcc, exec, s[20:21]
	s_cbranch_vccnz .LBB51_12
; %bb.36:                               ;   in Loop: Header=BB51_14 Depth=1
	s_lshl_b64 s[54:55], s[50:51], 2
	s_add_u32 s54, s22, s54
	s_addc_u32 s55, s23, s55
	global_load_dword v7, v1, s[54:55]
	s_waitcnt vmcnt(0)
	v_mul_lo_u32 v7, v7, s33
	s_waitcnt lgkmcnt(0)
	v_add_u32_e32 v6, v7, v6
	s_branch .LBB51_12
.LBB51_37:
	s_mov_b64 s[18:19], 0
.LBB51_38:
	s_and_b64 vcc, exec, s[18:19]
	s_cbranch_vccz .LBB51_73
; %bb.39:
	s_load_dwordx2 s[6:7], s[0:1], 0x18
	s_sub_u32 s8, s2, s34
	s_subb_u32 s9, s3, s35
	s_lshl_b64 s[2:3], s[2:3], 2
	v_mov_b32_e32 v1, 0
	s_waitcnt lgkmcnt(0)
	s_add_u32 s4, s6, s2
	s_addc_u32 s5, s7, s3
	global_load_dword v8, v1, s[4:5]
	s_cmp_lg_u64 s[34:35], 0
	s_cselect_b64 s[10:11], -1, 0
	s_cmp_eq_u64 s[34:35], 0
	s_cselect_b64 s[2:3], -1, 0
	v_cmp_eq_u32_e32 vcc, 0, v0
	s_and_b64 s[2:3], vcc, s[2:3]
	v_mov_b32_e32 v2, 0
	s_and_saveexec_b64 s[12:13], s[2:3]
	s_cbranch_execz .LBB51_43
; %bb.40:
	s_lshl_b64 s[2:3], s[36:37], 2
	s_add_u32 s2, s22, s2
	s_addc_u32 s3, s23, s3
	v_mov_b32_e32 v3, 0
	global_load_dword v2, v3, s[2:3]
	s_mov_b64 s[14:15], exec
	v_mbcnt_lo_u32_b32 v4, s14, 0
	v_mbcnt_hi_u32_b32 v4, s15, v4
	s_add_i32 s18, s33, -1
	v_cmp_eq_u32_e64 s[2:3], 0, v4
	s_waitcnt vmcnt(0) expcnt(0) lgkmcnt(0)
	s_and_saveexec_b64 s[16:17], s[2:3]
	s_cbranch_execz .LBB51_42
; %bb.41:
	s_lshl_b64 s[2:3], s[8:9], 2
	s_add_u32 s2, s6, s2
	s_addc_u32 s3, s7, s3
	s_bcnt1_i32_b64 s14, s[14:15]
	s_and_b32 s14, s14, 1
	v_mov_b32_e32 v4, s14
	global_atomic_xor v3, v4, s[2:3]
.LBB51_42:
	s_or_b64 exec, exec, s[16:17]
	v_mul_lo_u32 v2, v2, s18
.LBB51_43:
	s_or_b64 exec, exec, s[12:13]
	s_mul_i32 s2, s35, 0xc00
	s_mul_hi_u32 s3, s34, 0xc00
	s_add_i32 s12, s3, s2
	s_load_dwordx2 s[2:3], s[42:43], 0x8
	s_sub_u32 s14, s40, s44
	s_mul_i32 s13, s34, 0xc00
	s_subb_u32 s15, s41, 0
	s_add_u32 s16, s14, s13
	s_addc_u32 s17, s15, s12
	s_waitcnt lgkmcnt(0)
	s_sub_u32 s14, s2, s44
	s_subb_u32 s15, s3, 0
	v_lshl_add_u64 v[4:5], s[16:17], 0, v[0:1]
	v_cmp_gt_i64_e64 s[2:3], s[14:15], v[4:5]
	s_and_saveexec_b64 s[12:13], s[2:3]
	s_cbranch_execz .LBB51_47
; %bb.44:
	s_add_u32 s16, s16, 0xc00
	s_addc_u32 s17, s17, 0
	v_mov_b64_e32 v[6:7], s[14:15]
	v_cmp_lt_i64_e64 s[2:3], s[16:17], v[6:7]
	s_and_b64 s[2:3], s[2:3], exec
	s_cselect_b32 s15, s17, s15
	s_cselect_b32 s14, s16, s14
	v_lshl_add_u64 v[6:7], v[4:5], 3, s[26:27]
	s_mov_b64 s[16:17], 0
	s_mov_b64 s[18:19], 0x100
	;; [unrolled: 1-line block ×3, first 2 shown]
.LBB51_45:                              ; =>This Inner Loop Header: Depth=1
	global_load_dwordx2 v[10:11], v[6:7], off
	v_lshl_add_u64 v[12:13], s[28:29], 0, v[4:5]
	global_load_sbyte v1, v[12:13], off
	v_lshl_add_u64 v[4:5], v[4:5], 0, s[18:19]
	v_lshl_add_u64 v[6:7], v[6:7], 0, s[20:21]
	s_waitcnt vmcnt(1)
	v_subrev_co_u32_e64 v10, s[2:3], s44, v10
	s_nop 1
	v_subbrev_co_u32_e64 v11, s[2:3], 0, v11, s[2:3]
	v_lshl_add_u64 v[10:11], s[30:31], 0, v[10:11]
	global_load_sbyte v3, v[10:11], off
	v_cmp_le_i64_e64 s[2:3], s[14:15], v[4:5]
	s_waitcnt vmcnt(1)
	v_mul_lo_u32 v1, s45, v1
	s_or_b64 s[16:17], s[2:3], s[16:17]
	s_waitcnt vmcnt(0)
	v_mad_u64_u32 v[2:3], s[2:3], v1, v3, v[2:3]
	s_andn2_b64 exec, exec, s[16:17]
	s_cbranch_execnz .LBB51_45
; %bb.46:
	s_or_b64 exec, exec, s[16:17]
.LBB51_47:
	s_or_b64 exec, exec, s[12:13]
	s_movk_i32 s2, 0x80
	v_lshlrev_b32_e32 v1, 2, v0
	v_cmp_gt_u32_e64 s[2:3], s2, v0
	ds_write_b32 v1, v2
	s_waitcnt lgkmcnt(0)
	s_barrier
	s_and_saveexec_b64 s[12:13], s[2:3]
	s_cbranch_execz .LBB51_49
; %bb.48:
	ds_read2st64_b32 v[2:3], v1 offset1:2
	s_waitcnt lgkmcnt(0)
	v_add_u32_e32 v2, v3, v2
	ds_write_b32 v1, v2
.LBB51_49:
	s_or_b64 exec, exec, s[12:13]
	v_cmp_gt_u32_e64 s[2:3], 64, v0
	s_waitcnt lgkmcnt(0)
	s_barrier
	s_and_saveexec_b64 s[12:13], s[2:3]
	s_cbranch_execz .LBB51_51
; %bb.50:
	ds_read2st64_b32 v[2:3], v1 offset1:1
	s_waitcnt lgkmcnt(0)
	v_add_u32_e32 v2, v3, v2
	ds_write_b32 v1, v2
.LBB51_51:
	s_or_b64 exec, exec, s[12:13]
	v_cmp_gt_u32_e64 s[2:3], 32, v0
	s_waitcnt lgkmcnt(0)
	s_barrier
	s_and_saveexec_b64 s[12:13], s[2:3]
	s_cbranch_execz .LBB51_53
; %bb.52:
	ds_read2_b32 v[2:3], v1 offset1:32
	s_waitcnt lgkmcnt(0)
	v_add_u32_e32 v2, v3, v2
	ds_write_b32 v1, v2
.LBB51_53:
	s_or_b64 exec, exec, s[12:13]
	v_cmp_gt_u32_e64 s[2:3], 16, v0
	s_waitcnt lgkmcnt(0)
	s_barrier
	s_and_saveexec_b64 s[12:13], s[2:3]
	s_cbranch_execz .LBB51_55
; %bb.54:
	ds_read2_b32 v[2:3], v1 offset1:16
	s_waitcnt lgkmcnt(0)
	v_add_u32_e32 v2, v3, v2
	ds_write_b32 v1, v2
.LBB51_55:
	;; [unrolled: 12-line block ×5, first 2 shown]
	s_or_b64 exec, exec, s[12:13]
	s_waitcnt lgkmcnt(0)
	s_barrier
	s_and_saveexec_b64 s[2:3], vcc
	s_cbranch_execz .LBB51_63
; %bb.62:
	v_mov_b32_e32 v1, 0
	ds_read_b64 v[2:3], v1
	s_waitcnt lgkmcnt(0)
	v_add_u32_e32 v2, v3, v2
	ds_write_b32 v1, v2
.LBB51_63:
	s_or_b64 exec, exec, s[2:3]
	s_waitcnt lgkmcnt(0)
	s_barrier
	s_and_saveexec_b64 s[2:3], vcc
	s_cbranch_execz .LBB51_72
; %bb.64:
	s_andn2_b64 vcc, exec, s[10:11]
	s_cbranch_vccnz .LBB51_70
; %bb.65:
	s_lshl_b64 s[8:9], s[8:9], 2
	s_add_u32 s6, s6, s8
	s_addc_u32 s7, s7, s9
	v_mov_b32_e32 v1, 0
	s_branch .LBB51_67
.LBB51_66:                              ;   in Loop: Header=BB51_67 Depth=1
	s_or_b64 exec, exec, s[8:9]
	s_waitcnt vmcnt(0)
	v_readfirstlane_b32 s8, v2
	s_nop 1
	v_cmp_eq_u32_e32 vcc, s8, v8
	s_cbranch_vccz .LBB51_69
.LBB51_67:                              ; =>This Inner Loop Header: Depth=1
	v_mbcnt_lo_u32_b32 v2, exec_lo, 0
	v_mbcnt_hi_u32_b32 v2, exec_hi, v2
	v_cmp_eq_u32_e32 vcc, 0, v2
                                        ; implicit-def: $vgpr2
	s_and_saveexec_b64 s[8:9], vcc
	s_cbranch_execz .LBB51_66
; %bb.68:                               ;   in Loop: Header=BB51_67 Depth=1
	global_load_dword v2, v1, s[6:7] sc1
	s_branch .LBB51_66
.LBB51_69:
	v_mov_b32_e32 v1, 0
	global_load_ushort v2, v1, s[4:5]
	s_waitcnt vmcnt(0)
	v_xor_b32_e32 v2, 1, v2
	global_store_short v1, v2, s[4:5]
.LBB51_70:
	s_mov_b64 s[4:5], exec
	v_mbcnt_lo_u32_b32 v1, s4, 0
	v_mbcnt_hi_u32_b32 v1, s5, v1
	v_cmp_eq_u32_e32 vcc, 0, v1
	s_and_b64 s[6:7], exec, vcc
	s_mov_b64 exec, s[6:7]
	s_cbranch_execz .LBB51_72
; %bb.71:
	v_mov_b32_e32 v1, 0
	ds_read_b32 v2, v1
	s_lshl_b64 s[6:7], s[36:37], 2
	s_add_u32 s6, s22, s6
	s_addc_u32 s7, s23, s7
	s_bcnt1_i32_b64 s4, s[4:5]
	s_waitcnt lgkmcnt(0)
	v_mul_lo_u32 v2, v2, s4
	global_atomic_add v1, v2, s[6:7]
.LBB51_72:
	s_or_b64 exec, exec, s[2:3]
.LBB51_73:
	s_mov_b64 s[6:7], 0
.LBB51_74:
	s_andn2_b64 vcc, exec, s[6:7]
	s_cbranch_vccnz .LBB51_124
; %bb.75:
	s_load_dwordx2 s[0:1], s[0:1], 0x8
	v_subrev_co_u32_e32 v2, vcc, s44, v0
	v_mov_b32_e32 v1, 0
	s_nop 0
	v_subb_co_u32_e64 v3, s[2:3], 0, 0, vcc
	s_waitcnt lgkmcnt(0)
	v_lshl_add_u64 v[2:3], s[40:41], 0, v[2:3]
	s_mov_b64 s[2:3], 0x300
	v_lshl_add_u64 v[4:5], v[2:3], 0, s[2:3]
	v_cmp_le_i64_e32 vcc, s[0:1], v[4:5]
	s_and_saveexec_b64 s[0:1], vcc
	s_xor_b64 s[0:1], exec, s[0:1]
	s_cbranch_execz .LBB51_80
; %bb.76:
	s_lshl_b64 s[2:3], s[38:39], 3
	s_add_u32 s2, s24, s2
	s_addc_u32 s3, s25, s3
	s_load_dwordx2 s[2:3], s[2:3], 0x0
	s_waitcnt lgkmcnt(0)
	s_sub_u32 s2, s2, s44
	s_subb_u32 s3, s3, 0
	v_cmp_gt_i64_e32 vcc, s[2:3], v[2:3]
	s_and_saveexec_b64 s[4:5], vcc
	s_cbranch_execz .LBB51_79
; %bb.77:
	v_lshlrev_b32_e32 v6, 2, v0
	v_lshl_add_u64 v[4:5], v[2:3], 3, s[26:27]
	s_mov_b64 s[6:7], 0
	s_mov_b64 s[8:9], 0x100
	;; [unrolled: 1-line block ×3, first 2 shown]
.LBB51_78:                              ; =>This Inner Loop Header: Depth=1
	global_load_dwordx2 v[8:9], v[4:5], off
	v_lshl_add_u64 v[10:11], s[28:29], 0, v[2:3]
	global_load_sbyte v7, v[10:11], off
	v_lshl_add_u64 v[2:3], v[2:3], 0, s[8:9]
	v_lshl_add_u64 v[4:5], v[4:5], 0, s[10:11]
	s_waitcnt vmcnt(1)
	v_subrev_co_u32_e32 v8, vcc, s44, v8
	s_nop 1
	v_subbrev_co_u32_e32 v9, vcc, 0, v9, vcc
	v_lshl_add_u64 v[8:9], s[30:31], 0, v[8:9]
	global_load_sbyte v8, v[8:9], off
	s_waitcnt vmcnt(1)
	v_mul_lo_u32 v7, s45, v7
	v_cmp_le_i64_e32 vcc, s[2:3], v[2:3]
	s_or_b64 s[6:7], vcc, s[6:7]
	s_waitcnt vmcnt(0)
	v_mul_lo_u32 v7, v7, v8
	ds_write_b32 v6, v7
	v_add_u32_e32 v6, 0x400, v6
	s_andn2_b64 exec, exec, s[6:7]
	s_cbranch_execnz .LBB51_78
.LBB51_79:
	s_or_b64 exec, exec, s[4:5]
                                        ; implicit-def: $vgpr2_vgpr3
.LBB51_80:
	s_or_saveexec_b64 s[0:1], s[0:1]
	v_lshlrev_b32_e32 v16, 2, v0
	s_xor_b64 exec, exec, s[0:1]
	s_cbranch_execz .LBB51_82
; %bb.81:
	v_lshl_add_u64 v[4:5], v[2:3], 3, s[26:27]
	global_load_dwordx2 v[6:7], v[4:5], off
	global_load_dwordx2 v[8:9], v[4:5], off offset:2048
	s_movk_i32 s2, 0x1000
	v_add_co_u32_e32 v4, vcc, s2, v4
	v_lshl_add_u64 v[2:3], s[28:29], 0, v[2:3]
	s_nop 0
	v_addc_co_u32_e32 v5, vcc, 0, v5, vcc
	global_load_dwordx2 v[10:11], v[4:5], off
	global_load_dwordx2 v[12:13], v[4:5], off offset:2048
	global_load_sbyte v14, v[2:3], off
	global_load_sbyte v15, v[2:3], off offset:256
	global_load_sbyte v17, v[2:3], off offset:512
	;; [unrolled: 1-line block ×3, first 2 shown]
	s_waitcnt vmcnt(7)
	v_subrev_co_u32_e32 v2, vcc, s44, v6
	s_nop 1
	v_subbrev_co_u32_e32 v3, vcc, 0, v7, vcc
	s_waitcnt vmcnt(6)
	v_subrev_co_u32_e32 v4, vcc, s44, v8
	v_lshl_add_u64 v[2:3], s[30:31], 0, v[2:3]
	s_nop 0
	v_subbrev_co_u32_e32 v5, vcc, 0, v9, vcc
	s_waitcnt vmcnt(5)
	v_subrev_co_u32_e32 v6, vcc, s44, v10
	v_lshl_add_u64 v[4:5], s[30:31], 0, v[4:5]
	s_nop 0
	v_subbrev_co_u32_e32 v7, vcc, 0, v11, vcc
	s_waitcnt vmcnt(4)
	v_subrev_co_u32_e32 v8, vcc, s44, v12
	global_load_sbyte v10, v[2:3], off
	global_load_sbyte v11, v[4:5], off
	v_subbrev_co_u32_e32 v9, vcc, 0, v13, vcc
	v_lshl_add_u64 v[2:3], s[30:31], 0, v[6:7]
	v_lshl_add_u64 v[4:5], s[30:31], 0, v[8:9]
	global_load_sbyte v6, v[2:3], off
	global_load_sbyte v7, v[4:5], off
	s_waitcnt vmcnt(7)
	v_mul_lo_u32 v2, s45, v14
	s_waitcnt vmcnt(6)
	v_mul_lo_u32 v3, s45, v15
	;; [unrolled: 2-line block ×6, first 2 shown]
	ds_write2st64_b32 v16, v2, v3 offset1:4
	s_waitcnt vmcnt(1)
	v_mul_lo_u32 v2, v4, v6
	s_waitcnt vmcnt(0)
	v_mul_lo_u32 v3, v5, v7
	ds_write2st64_b32 v16, v2, v3 offset0:8 offset1:12
.LBB51_82:
	s_or_b64 exec, exec, s[0:1]
	v_cmp_lt_i64_e64 s[2:3], s[34:35], 2
	s_mov_b64 s[0:1], -1
	s_and_b64 vcc, exec, s[2:3]
	s_waitcnt lgkmcnt(0)
	s_barrier
	s_cbranch_vccz .LBB51_99
; %bb.83:
	v_lshl_add_u64 v[6:7], s[36:37], 0, v[0:1]
	v_cmp_gt_i64_e32 vcc, s[38:39], v[6:7]
	s_and_saveexec_b64 s[0:1], vcc
	s_cbranch_execz .LBB51_98
; %bb.84:
	s_cmp_lg_u32 s33, 0
	s_cselect_b64 s[2:3], -1, 0
	s_lshl_b32 s4, s40, 2
	s_sub_i32 s14, 0, s4
	s_mov_b64 s[4:5], 0
	s_mov_b64 s[6:7], 0x100
	s_branch .LBB51_86
.LBB51_85:                              ;   in Loop: Header=BB51_86 Depth=1
	v_lshl_add_u64 v[6:7], v[6:7], 0, s[6:7]
	v_cmp_le_i64_e32 vcc, s[38:39], v[6:7]
	s_or_b64 s[4:5], vcc, s[4:5]
	global_store_dword v[2:3], v10, off
	s_andn2_b64 exec, exec, s[4:5]
	s_cbranch_execz .LBB51_98
.LBB51_86:                              ; =>This Loop Header: Depth=1
                                        ;     Child Loop BB51_89 Depth 2
                                        ;     Child Loop BB51_93 Depth 2
	v_lshl_add_u64 v[2:3], v[6:7], 3, s[24:25]
	global_load_dwordx4 v[2:5], v[2:3], off
	v_mov_b32_e32 v10, 0
	s_waitcnt vmcnt(0)
	v_cmp_lt_i64_e32 vcc, v[2:3], v[4:5]
	s_and_saveexec_b64 s[8:9], vcc
	s_cbranch_execz .LBB51_96
; %bb.87:                               ;   in Loop: Header=BB51_86 Depth=1
	v_mov_b32_e32 v1, s41
	v_subrev_co_u32_e32 v4, vcc, s40, v4
	s_mov_b64 s[12:13], -1
	s_nop 0
	v_subb_co_u32_e32 v5, vcc, v5, v1, vcc
	v_subrev_co_u32_e32 v8, vcc, s40, v2
	s_nop 1
	v_subb_co_u32_e32 v9, vcc, v3, v1, vcc
	v_lshl_add_u64 v[10:11], v[8:9], 0, 1
	v_cmp_gt_i64_e32 vcc, v[10:11], v[4:5]
	s_nop 1
	v_cndmask_b32_e32 v11, v5, v11, vcc
	v_cndmask_b32_e32 v10, v4, v10, vcc
	v_lshl_add_u64 v[10:11], s[40:41], 0, v[10:11]
	v_sub_co_u32_e32 v12, vcc, v10, v2
	v_mov_b32_e32 v10, 0
	s_nop 0
	v_subb_co_u32_e32 v13, vcc, v11, v3, vcc
	v_cmp_lt_u64_e32 vcc, 1, v[12:13]
	s_and_saveexec_b64 s[10:11], vcc
	s_cbranch_execz .LBB51_91
; %bb.88:                               ;   in Loop: Header=BB51_86 Depth=1
	v_and_b32_e32 v14, -2, v12
	v_mov_b32_e32 v15, v13
	v_lshl_add_u32 v10, v2, 2, s14
	v_mov_b32_e32 v1, 0
	s_mov_b64 s[12:13], 0
	v_mov_b64_e32 v[2:3], v[14:15]
	v_mov_b32_e32 v11, 0
.LBB51_89:                              ;   Parent Loop BB51_86 Depth=1
                                        ; =>  This Inner Loop Header: Depth=2
	ds_read2_b32 v[18:19], v10 offset1:1
	v_lshl_add_u64 v[2:3], v[2:3], 0, -2
	v_cmp_eq_u64_e32 vcc, 0, v[2:3]
	v_add_u32_e32 v10, 8, v10
	s_or_b64 s[12:13], vcc, s[12:13]
	s_waitcnt lgkmcnt(0)
	v_add_u32_e32 v11, v19, v11
	v_add_u32_e32 v1, v18, v1
	s_andn2_b64 exec, exec, s[12:13]
	s_cbranch_execnz .LBB51_89
; %bb.90:                               ;   in Loop: Header=BB51_86 Depth=1
	s_or_b64 exec, exec, s[12:13]
	v_cmp_ne_u64_e32 vcc, v[12:13], v[14:15]
	v_lshl_add_u64 v[8:9], v[8:9], 0, v[14:15]
	v_add_u32_e32 v10, v1, v11
	s_orn2_b64 s[12:13], vcc, exec
.LBB51_91:                              ;   in Loop: Header=BB51_86 Depth=1
	s_or_b64 exec, exec, s[10:11]
	s_and_saveexec_b64 s[10:11], s[12:13]
	s_cbranch_execz .LBB51_95
; %bb.92:                               ;   in Loop: Header=BB51_86 Depth=1
	v_lshlrev_b32_e32 v1, 2, v8
	s_mov_b64 s[12:13], 0
.LBB51_93:                              ;   Parent Loop BB51_86 Depth=1
                                        ; =>  This Inner Loop Header: Depth=2
	ds_read_b32 v2, v1
	v_lshl_add_u64 v[8:9], v[8:9], 0, 1
	v_cmp_ge_i64_e32 vcc, v[8:9], v[4:5]
	v_add_u32_e32 v1, 4, v1
	s_or_b64 s[12:13], vcc, s[12:13]
	s_waitcnt lgkmcnt(0)
	v_add_u32_e32 v10, v2, v10
	s_andn2_b64 exec, exec, s[12:13]
	s_cbranch_execnz .LBB51_93
; %bb.94:                               ;   in Loop: Header=BB51_86 Depth=1
	s_or_b64 exec, exec, s[12:13]
.LBB51_95:                              ;   in Loop: Header=BB51_86 Depth=1
	s_or_b64 exec, exec, s[10:11]
.LBB51_96:                              ;   in Loop: Header=BB51_86 Depth=1
	s_or_b64 exec, exec, s[8:9]
	s_and_b64 vcc, exec, s[2:3]
	v_lshl_add_u64 v[2:3], v[6:7], 2, s[22:23]
	s_cbranch_vccz .LBB51_85
; %bb.97:                               ;   in Loop: Header=BB51_86 Depth=1
	global_load_dword v1, v[2:3], off
	s_waitcnt vmcnt(0)
	v_mad_u64_u32 v[10:11], s[8:9], v1, s33, v[10:11]
	s_branch .LBB51_85
.LBB51_98:
	s_or_b64 exec, exec, s[0:1]
	s_mov_b64 s[0:1], 0
.LBB51_99:
	s_andn2_b64 vcc, exec, s[0:1]
	s_cbranch_vccnz .LBB51_124
; %bb.100:
	s_flbit_i32_b32 s0, s34
	s_min_u32 s0, s0, 32
	s_sub_i32 s0, 31, s0
	v_lshrrev_b32_e32 v4, s0, v0
	v_mov_b32_e32 v5, 0
	v_lshl_add_u64 v[2:3], s[36:37], 0, v[4:5]
	s_add_i32 s0, s34, -1
	v_and_b32_e32 v0, s0, v0
	v_mov_b32_e32 v1, v5
	v_cmp_le_i64_e64 s[0:1], s[38:39], v[2:3]
	v_cmp_gt_i64_e32 vcc, s[38:39], v[2:3]
	s_and_saveexec_b64 s[2:3], vcc
	s_cbranch_execz .LBB51_106
; %bb.101:
	v_lshlrev_b32_e32 v4, 3, v4
	global_load_dwordx4 v[4:7], v4, s[42:43]
	v_mov_b32_e32 v9, s41
	s_waitcnt vmcnt(1)
	v_subrev_co_u32_e32 v8, vcc, s40, v0
	v_mov_b32_e32 v10, s41
	s_nop 0
	v_subb_co_u32_e32 v9, vcc, 0, v9, vcc
	s_waitcnt vmcnt(0)
	v_subrev_co_u32_e32 v6, vcc, s40, v6
	s_nop 1
	v_subb_co_u32_e32 v7, vcc, v7, v10, vcc
	v_lshl_add_u64 v[8:9], v[4:5], 0, v[8:9]
	v_cmp_lt_i64_e32 vcc, v[8:9], v[6:7]
	v_mov_b32_e32 v5, 0
	s_and_saveexec_b64 s[4:5], vcc
	s_cbranch_execz .LBB51_105
; %bb.102:
	v_lshlrev_b32_e32 v4, 2, v8
	s_lshl_b32 s8, s34, 2
	v_mov_b32_e32 v5, 0
	s_mov_b64 s[6:7], 0
.LBB51_103:                             ; =>This Inner Loop Header: Depth=1
	ds_read_b32 v10, v4
	v_lshl_add_u64 v[8:9], v[8:9], 0, s[34:35]
	v_cmp_ge_i64_e32 vcc, v[8:9], v[6:7]
	v_add_u32_e32 v4, s8, v4
	s_or_b64 s[6:7], vcc, s[6:7]
	s_waitcnt lgkmcnt(0)
	v_add_u32_e32 v5, v10, v5
	s_andn2_b64 exec, exec, s[6:7]
	s_cbranch_execnz .LBB51_103
; %bb.104:
	s_or_b64 exec, exec, s[6:7]
.LBB51_105:
	s_or_b64 exec, exec, s[4:5]
.LBB51_106:
	s_or_b64 exec, exec, s[2:3]
	v_mov_b64_e32 v[6:7], 0x81
	v_cmp_lt_u64_e32 vcc, s[34:35], v[6:7]
	s_and_b64 vcc, exec, vcc
	s_barrier
	ds_write_b32 v16, v5
	s_waitcnt lgkmcnt(0)
	s_barrier
	s_cbranch_vccnz .LBB51_108
; %bb.107:
	ds_read_b32 v4, v16 offset:512
	s_waitcnt lgkmcnt(0)
	s_barrier
	v_add_u32_e32 v5, v4, v5
	ds_write_b32 v16, v5
.LBB51_108:
	v_mov_b64_e32 v[6:7], 0x41
	v_cmp_lt_u64_e32 vcc, s[34:35], v[6:7]
	s_waitcnt lgkmcnt(0)
	s_barrier
	s_cbranch_vccnz .LBB51_110
; %bb.109:
	ds_read_b32 v4, v16 offset:256
	s_waitcnt lgkmcnt(0)
	s_barrier
	v_add_u32_e32 v5, v4, v5
	ds_write_b32 v16, v5
.LBB51_110:
	v_cmp_lt_u64_e64 s[2:3], s[34:35], 33
	s_and_b64 vcc, exec, s[2:3]
	s_waitcnt lgkmcnt(0)
	s_barrier
	s_cbranch_vccnz .LBB51_112
; %bb.111:
	ds_read_b32 v4, v16 offset:128
	s_waitcnt lgkmcnt(0)
	s_barrier
	v_add_u32_e32 v5, v4, v5
	ds_write_b32 v16, v5
.LBB51_112:
	v_cmp_lt_u64_e64 s[2:3], s[34:35], 17
	s_and_b64 vcc, exec, s[2:3]
	;; [unrolled: 12-line block ×4, first 2 shown]
	s_waitcnt lgkmcnt(0)
	s_barrier
	s_cbranch_vccnz .LBB51_118
; %bb.117:
	ds_read_b32 v4, v16 offset:16
	s_waitcnt lgkmcnt(0)
	s_barrier
	v_add_u32_e32 v5, v4, v5
	ds_write_b32 v16, v5
.LBB51_118:
	s_cmp_eq_u64 s[34:35], 2
	s_waitcnt lgkmcnt(0)
	s_barrier
	s_cbranch_scc1 .LBB51_120
; %bb.119:
	ds_read_b32 v4, v16 offset:8
	s_waitcnt lgkmcnt(0)
	s_barrier
	v_add_u32_e32 v5, v4, v5
	ds_write_b32 v16, v5
.LBB51_120:
	s_waitcnt lgkmcnt(0)
	s_barrier
	ds_read_b32 v4, v16 offset:4
	v_cmp_eq_u64_e32 vcc, 0, v[0:1]
	s_xor_b64 s[0:1], s[0:1], -1
	s_and_b64 s[0:1], vcc, s[0:1]
	s_waitcnt lgkmcnt(0)
	v_add_u32_e32 v4, v4, v5
	s_barrier
	ds_write_b32 v16, v4
	s_and_saveexec_b64 s[2:3], s[0:1]
	s_cbranch_execz .LBB51_124
; %bb.121:
	s_cmp_eq_u32 s33, 0
	v_lshl_add_u64 v[0:1], v[2:3], 2, s[22:23]
	s_cbranch_scc1 .LBB51_123
; %bb.122:
	global_load_dword v2, v[0:1], off
	s_waitcnt vmcnt(0)
	v_mad_u64_u32 v[4:5], s[0:1], v2, s33, v[4:5]
.LBB51_123:
	global_store_dword v[0:1], v4, off
.LBB51_124:
	s_endpgm
	.section	.rodata,"a",@progbits
	.p2align	6, 0x0
	.amdhsa_kernel _ZN9rocsparseL22csrmvn_adaptive_kernelIllaaiiEEvbT_PKS1_PjPKT0_NS_24const_host_device_scalarIT4_EES3_S7_PKT1_PKT2_SA_PT3_21rocsparse_index_base_b
		.amdhsa_group_segment_fixed_size 4096
		.amdhsa_private_segment_fixed_size 0
		.amdhsa_kernarg_size 104
		.amdhsa_user_sgpr_count 2
		.amdhsa_user_sgpr_dispatch_ptr 0
		.amdhsa_user_sgpr_queue_ptr 0
		.amdhsa_user_sgpr_kernarg_segment_ptr 1
		.amdhsa_user_sgpr_dispatch_id 0
		.amdhsa_user_sgpr_kernarg_preload_length 0
		.amdhsa_user_sgpr_kernarg_preload_offset 0
		.amdhsa_user_sgpr_private_segment_size 0
		.amdhsa_uses_dynamic_stack 0
		.amdhsa_enable_private_segment 0
		.amdhsa_system_sgpr_workgroup_id_x 1
		.amdhsa_system_sgpr_workgroup_id_y 0
		.amdhsa_system_sgpr_workgroup_id_z 0
		.amdhsa_system_sgpr_workgroup_info 0
		.amdhsa_system_vgpr_workitem_id 0
		.amdhsa_next_free_vgpr 20
		.amdhsa_next_free_sgpr 60
		.amdhsa_accum_offset 20
		.amdhsa_reserve_vcc 1
		.amdhsa_float_round_mode_32 0
		.amdhsa_float_round_mode_16_64 0
		.amdhsa_float_denorm_mode_32 3
		.amdhsa_float_denorm_mode_16_64 3
		.amdhsa_dx10_clamp 1
		.amdhsa_ieee_mode 1
		.amdhsa_fp16_overflow 0
		.amdhsa_tg_split 0
		.amdhsa_exception_fp_ieee_invalid_op 0
		.amdhsa_exception_fp_denorm_src 0
		.amdhsa_exception_fp_ieee_div_zero 0
		.amdhsa_exception_fp_ieee_overflow 0
		.amdhsa_exception_fp_ieee_underflow 0
		.amdhsa_exception_fp_ieee_inexact 0
		.amdhsa_exception_int_div_zero 0
	.end_amdhsa_kernel
	.section	.text._ZN9rocsparseL22csrmvn_adaptive_kernelIllaaiiEEvbT_PKS1_PjPKT0_NS_24const_host_device_scalarIT4_EES3_S7_PKT1_PKT2_SA_PT3_21rocsparse_index_base_b,"axG",@progbits,_ZN9rocsparseL22csrmvn_adaptive_kernelIllaaiiEEvbT_PKS1_PjPKT0_NS_24const_host_device_scalarIT4_EES3_S7_PKT1_PKT2_SA_PT3_21rocsparse_index_base_b,comdat
.Lfunc_end51:
	.size	_ZN9rocsparseL22csrmvn_adaptive_kernelIllaaiiEEvbT_PKS1_PjPKT0_NS_24const_host_device_scalarIT4_EES3_S7_PKT1_PKT2_SA_PT3_21rocsparse_index_base_b, .Lfunc_end51-_ZN9rocsparseL22csrmvn_adaptive_kernelIllaaiiEEvbT_PKS1_PjPKT0_NS_24const_host_device_scalarIT4_EES3_S7_PKT1_PKT2_SA_PT3_21rocsparse_index_base_b
                                        ; -- End function
	.set _ZN9rocsparseL22csrmvn_adaptive_kernelIllaaiiEEvbT_PKS1_PjPKT0_NS_24const_host_device_scalarIT4_EES3_S7_PKT1_PKT2_SA_PT3_21rocsparse_index_base_b.num_vgpr, 20
	.set _ZN9rocsparseL22csrmvn_adaptive_kernelIllaaiiEEvbT_PKS1_PjPKT0_NS_24const_host_device_scalarIT4_EES3_S7_PKT1_PKT2_SA_PT3_21rocsparse_index_base_b.num_agpr, 0
	.set _ZN9rocsparseL22csrmvn_adaptive_kernelIllaaiiEEvbT_PKS1_PjPKT0_NS_24const_host_device_scalarIT4_EES3_S7_PKT1_PKT2_SA_PT3_21rocsparse_index_base_b.numbered_sgpr, 60
	.set _ZN9rocsparseL22csrmvn_adaptive_kernelIllaaiiEEvbT_PKS1_PjPKT0_NS_24const_host_device_scalarIT4_EES3_S7_PKT1_PKT2_SA_PT3_21rocsparse_index_base_b.num_named_barrier, 0
	.set _ZN9rocsparseL22csrmvn_adaptive_kernelIllaaiiEEvbT_PKS1_PjPKT0_NS_24const_host_device_scalarIT4_EES3_S7_PKT1_PKT2_SA_PT3_21rocsparse_index_base_b.private_seg_size, 0
	.set _ZN9rocsparseL22csrmvn_adaptive_kernelIllaaiiEEvbT_PKS1_PjPKT0_NS_24const_host_device_scalarIT4_EES3_S7_PKT1_PKT2_SA_PT3_21rocsparse_index_base_b.uses_vcc, 1
	.set _ZN9rocsparseL22csrmvn_adaptive_kernelIllaaiiEEvbT_PKS1_PjPKT0_NS_24const_host_device_scalarIT4_EES3_S7_PKT1_PKT2_SA_PT3_21rocsparse_index_base_b.uses_flat_scratch, 0
	.set _ZN9rocsparseL22csrmvn_adaptive_kernelIllaaiiEEvbT_PKS1_PjPKT0_NS_24const_host_device_scalarIT4_EES3_S7_PKT1_PKT2_SA_PT3_21rocsparse_index_base_b.has_dyn_sized_stack, 0
	.set _ZN9rocsparseL22csrmvn_adaptive_kernelIllaaiiEEvbT_PKS1_PjPKT0_NS_24const_host_device_scalarIT4_EES3_S7_PKT1_PKT2_SA_PT3_21rocsparse_index_base_b.has_recursion, 0
	.set _ZN9rocsparseL22csrmvn_adaptive_kernelIllaaiiEEvbT_PKS1_PjPKT0_NS_24const_host_device_scalarIT4_EES3_S7_PKT1_PKT2_SA_PT3_21rocsparse_index_base_b.has_indirect_call, 0
	.section	.AMDGPU.csdata,"",@progbits
; Kernel info:
; codeLenInByte = 4092
; TotalNumSgprs: 66
; NumVgprs: 20
; NumAgprs: 0
; TotalNumVgprs: 20
; ScratchSize: 0
; MemoryBound: 0
; FloatMode: 240
; IeeeMode: 1
; LDSByteSize: 4096 bytes/workgroup (compile time only)
; SGPRBlocks: 8
; VGPRBlocks: 2
; NumSGPRsForWavesPerEU: 66
; NumVGPRsForWavesPerEU: 20
; AccumOffset: 20
; Occupancy: 8
; WaveLimiterHint : 1
; COMPUTE_PGM_RSRC2:SCRATCH_EN: 0
; COMPUTE_PGM_RSRC2:USER_SGPR: 2
; COMPUTE_PGM_RSRC2:TRAP_HANDLER: 0
; COMPUTE_PGM_RSRC2:TGID_X_EN: 1
; COMPUTE_PGM_RSRC2:TGID_Y_EN: 0
; COMPUTE_PGM_RSRC2:TGID_Z_EN: 0
; COMPUTE_PGM_RSRC2:TIDIG_COMP_CNT: 0
; COMPUTE_PGM_RSRC3_GFX90A:ACCUM_OFFSET: 4
; COMPUTE_PGM_RSRC3_GFX90A:TG_SPLIT: 0
	.section	.text._ZN9rocsparseL22partial_scale_y_kernelIliiEEvT_S1_S1_NS_24const_host_device_scalarIT1_EEPT0_b,"axG",@progbits,_ZN9rocsparseL22partial_scale_y_kernelIliiEEvT_S1_S1_NS_24const_host_device_scalarIT1_EEPT0_b,comdat
	.globl	_ZN9rocsparseL22partial_scale_y_kernelIliiEEvT_S1_S1_NS_24const_host_device_scalarIT1_EEPT0_b ; -- Begin function _ZN9rocsparseL22partial_scale_y_kernelIliiEEvT_S1_S1_NS_24const_host_device_scalarIT1_EEPT0_b
	.p2align	8
	.type	_ZN9rocsparseL22partial_scale_y_kernelIliiEEvT_S1_S1_NS_24const_host_device_scalarIT1_EEPT0_b,@function
_ZN9rocsparseL22partial_scale_y_kernelIliiEEvT_S1_S1_NS_24const_host_device_scalarIT1_EEPT0_b: ; @_ZN9rocsparseL22partial_scale_y_kernelIliiEEvT_S1_S1_NS_24const_host_device_scalarIT1_EEPT0_b
; %bb.0:
	s_load_dword s3, s[0:1], 0x28
	s_load_dwordx8 s[4:11], s[0:1], 0x0
	s_waitcnt lgkmcnt(0)
	s_bitcmp0_b32 s3, 0
	s_cbranch_scc0 .LBB52_2
; %bb.1:
	s_load_dword s11, s[10:11], 0x0
	s_cbranch_execz .LBB52_3
	s_branch .LBB52_4
.LBB52_2:
                                        ; implicit-def: $sgpr11
.LBB52_3:
	s_waitcnt lgkmcnt(0)
	s_mov_b32 s11, s10
.LBB52_4:
	s_waitcnt lgkmcnt(0)
	s_cmp_eq_u32 s11, 1
	s_cbranch_scc1 .LBB52_14
; %bb.5:
	v_lshl_or_b32 v0, s2, 8, v0
	s_add_u32 s2, s6, s4
	s_addc_u32 s3, s7, s5
	s_sub_u32 s2, s2, s8
	v_mov_b32_e32 v1, 0
	s_subb_u32 s3, s3, s9
	v_cmp_gt_i64_e32 vcc, s[2:3], v[0:1]
	s_and_saveexec_b64 s[2:3], vcc
	s_cbranch_execz .LBB52_14
; %bb.6:
	s_load_dwordx2 s[0:1], s[0:1], 0x20
	s_cmp_lg_u32 s11, 0
	v_cmp_le_i64_e32 vcc, s[6:7], v[0:1]
	s_cselect_b64 s[2:3], -1, 0
	s_and_saveexec_b64 s[4:5], vcc
	s_xor_b64 s[4:5], exec, s[4:5]
	s_cbranch_execz .LBB52_10
; %bb.7:
	v_mov_b32_e32 v1, s7
	v_subrev_co_u32_e32 v0, vcc, s6, v0
	s_lshl_b64 s[6:7], s[8:9], 2
	s_waitcnt lgkmcnt(0)
	s_add_u32 s6, s0, s6
	v_subb_co_u32_e32 v1, vcc, 0, v1, vcc
	s_addc_u32 s7, s1, s7
	v_lshl_add_u64 v[2:3], v[0:1], 2, s[6:7]
	s_and_b64 vcc, exec, s[2:3]
	s_cbranch_vccz .LBB52_15
; %bb.8:
	global_load_dword v0, v[2:3], off
	s_waitcnt vmcnt(0)
	v_mul_lo_u32 v0, v0, s11
	global_store_dword v[2:3], v0, off
                                        ; implicit-def: $vgpr0_vgpr1
	s_cbranch_execnz .LBB52_10
.LBB52_9:
	v_mov_b32_e32 v0, 0
	global_store_dword v[2:3], v0, off
                                        ; implicit-def: $vgpr0_vgpr1
.LBB52_10:
	s_andn2_saveexec_b64 s[4:5], s[4:5]
	s_cbranch_execz .LBB52_14
; %bb.11:
	s_waitcnt lgkmcnt(0)
	v_lshl_add_u64 v[0:1], v[0:1], 2, s[0:1]
	s_and_b64 vcc, exec, s[2:3]
	s_cbranch_vccz .LBB52_16
; %bb.12:
	global_load_dword v2, v[0:1], off
	s_waitcnt vmcnt(0)
	v_mul_lo_u32 v2, v2, s11
	global_store_dword v[0:1], v2, off
	s_cbranch_execnz .LBB52_14
.LBB52_13:
	v_mov_b32_e32 v2, 0
	global_store_dword v[0:1], v2, off
.LBB52_14:
	s_endpgm
.LBB52_15:
                                        ; implicit-def: $vgpr0_vgpr1
	s_branch .LBB52_9
.LBB52_16:
	s_branch .LBB52_13
	.section	.rodata,"a",@progbits
	.p2align	6, 0x0
	.amdhsa_kernel _ZN9rocsparseL22partial_scale_y_kernelIliiEEvT_S1_S1_NS_24const_host_device_scalarIT1_EEPT0_b
		.amdhsa_group_segment_fixed_size 0
		.amdhsa_private_segment_fixed_size 0
		.amdhsa_kernarg_size 44
		.amdhsa_user_sgpr_count 2
		.amdhsa_user_sgpr_dispatch_ptr 0
		.amdhsa_user_sgpr_queue_ptr 0
		.amdhsa_user_sgpr_kernarg_segment_ptr 1
		.amdhsa_user_sgpr_dispatch_id 0
		.amdhsa_user_sgpr_kernarg_preload_length 0
		.amdhsa_user_sgpr_kernarg_preload_offset 0
		.amdhsa_user_sgpr_private_segment_size 0
		.amdhsa_uses_dynamic_stack 0
		.amdhsa_enable_private_segment 0
		.amdhsa_system_sgpr_workgroup_id_x 1
		.amdhsa_system_sgpr_workgroup_id_y 0
		.amdhsa_system_sgpr_workgroup_id_z 0
		.amdhsa_system_sgpr_workgroup_info 0
		.amdhsa_system_vgpr_workitem_id 0
		.amdhsa_next_free_vgpr 4
		.amdhsa_next_free_sgpr 12
		.amdhsa_accum_offset 4
		.amdhsa_reserve_vcc 1
		.amdhsa_float_round_mode_32 0
		.amdhsa_float_round_mode_16_64 0
		.amdhsa_float_denorm_mode_32 3
		.amdhsa_float_denorm_mode_16_64 3
		.amdhsa_dx10_clamp 1
		.amdhsa_ieee_mode 1
		.amdhsa_fp16_overflow 0
		.amdhsa_tg_split 0
		.amdhsa_exception_fp_ieee_invalid_op 0
		.amdhsa_exception_fp_denorm_src 0
		.amdhsa_exception_fp_ieee_div_zero 0
		.amdhsa_exception_fp_ieee_overflow 0
		.amdhsa_exception_fp_ieee_underflow 0
		.amdhsa_exception_fp_ieee_inexact 0
		.amdhsa_exception_int_div_zero 0
	.end_amdhsa_kernel
	.section	.text._ZN9rocsparseL22partial_scale_y_kernelIliiEEvT_S1_S1_NS_24const_host_device_scalarIT1_EEPT0_b,"axG",@progbits,_ZN9rocsparseL22partial_scale_y_kernelIliiEEvT_S1_S1_NS_24const_host_device_scalarIT1_EEPT0_b,comdat
.Lfunc_end52:
	.size	_ZN9rocsparseL22partial_scale_y_kernelIliiEEvT_S1_S1_NS_24const_host_device_scalarIT1_EEPT0_b, .Lfunc_end52-_ZN9rocsparseL22partial_scale_y_kernelIliiEEvT_S1_S1_NS_24const_host_device_scalarIT1_EEPT0_b
                                        ; -- End function
	.set _ZN9rocsparseL22partial_scale_y_kernelIliiEEvT_S1_S1_NS_24const_host_device_scalarIT1_EEPT0_b.num_vgpr, 4
	.set _ZN9rocsparseL22partial_scale_y_kernelIliiEEvT_S1_S1_NS_24const_host_device_scalarIT1_EEPT0_b.num_agpr, 0
	.set _ZN9rocsparseL22partial_scale_y_kernelIliiEEvT_S1_S1_NS_24const_host_device_scalarIT1_EEPT0_b.numbered_sgpr, 12
	.set _ZN9rocsparseL22partial_scale_y_kernelIliiEEvT_S1_S1_NS_24const_host_device_scalarIT1_EEPT0_b.num_named_barrier, 0
	.set _ZN9rocsparseL22partial_scale_y_kernelIliiEEvT_S1_S1_NS_24const_host_device_scalarIT1_EEPT0_b.private_seg_size, 0
	.set _ZN9rocsparseL22partial_scale_y_kernelIliiEEvT_S1_S1_NS_24const_host_device_scalarIT1_EEPT0_b.uses_vcc, 1
	.set _ZN9rocsparseL22partial_scale_y_kernelIliiEEvT_S1_S1_NS_24const_host_device_scalarIT1_EEPT0_b.uses_flat_scratch, 0
	.set _ZN9rocsparseL22partial_scale_y_kernelIliiEEvT_S1_S1_NS_24const_host_device_scalarIT1_EEPT0_b.has_dyn_sized_stack, 0
	.set _ZN9rocsparseL22partial_scale_y_kernelIliiEEvT_S1_S1_NS_24const_host_device_scalarIT1_EEPT0_b.has_recursion, 0
	.set _ZN9rocsparseL22partial_scale_y_kernelIliiEEvT_S1_S1_NS_24const_host_device_scalarIT1_EEPT0_b.has_indirect_call, 0
	.section	.AMDGPU.csdata,"",@progbits
; Kernel info:
; codeLenInByte = 308
; TotalNumSgprs: 18
; NumVgprs: 4
; NumAgprs: 0
; TotalNumVgprs: 4
; ScratchSize: 0
; MemoryBound: 0
; FloatMode: 240
; IeeeMode: 1
; LDSByteSize: 0 bytes/workgroup (compile time only)
; SGPRBlocks: 2
; VGPRBlocks: 0
; NumSGPRsForWavesPerEU: 18
; NumVGPRsForWavesPerEU: 4
; AccumOffset: 4
; Occupancy: 8
; WaveLimiterHint : 0
; COMPUTE_PGM_RSRC2:SCRATCH_EN: 0
; COMPUTE_PGM_RSRC2:USER_SGPR: 2
; COMPUTE_PGM_RSRC2:TRAP_HANDLER: 0
; COMPUTE_PGM_RSRC2:TGID_X_EN: 1
; COMPUTE_PGM_RSRC2:TGID_Y_EN: 0
; COMPUTE_PGM_RSRC2:TGID_Z_EN: 0
; COMPUTE_PGM_RSRC2:TIDIG_COMP_CNT: 0
; COMPUTE_PGM_RSRC3_GFX90A:ACCUM_OFFSET: 0
; COMPUTE_PGM_RSRC3_GFX90A:TG_SPLIT: 0
	.section	.text._ZN9rocsparseL27csrmvn_symm_adaptive_kernelIllaaiiEEvbT_S1_PKS1_NS_24const_host_device_scalarIT4_EES3_PKT0_PKT1_PKT2_S6_PT3_21rocsparse_index_base_b,"axG",@progbits,_ZN9rocsparseL27csrmvn_symm_adaptive_kernelIllaaiiEEvbT_S1_PKS1_NS_24const_host_device_scalarIT4_EES3_PKT0_PKT1_PKT2_S6_PT3_21rocsparse_index_base_b,comdat
	.globl	_ZN9rocsparseL27csrmvn_symm_adaptive_kernelIllaaiiEEvbT_S1_PKS1_NS_24const_host_device_scalarIT4_EES3_PKT0_PKT1_PKT2_S6_PT3_21rocsparse_index_base_b ; -- Begin function _ZN9rocsparseL27csrmvn_symm_adaptive_kernelIllaaiiEEvbT_S1_PKS1_NS_24const_host_device_scalarIT4_EES3_PKT0_PKT1_PKT2_S6_PT3_21rocsparse_index_base_b
	.p2align	8
	.type	_ZN9rocsparseL27csrmvn_symm_adaptive_kernelIllaaiiEEvbT_S1_PKS1_NS_24const_host_device_scalarIT4_EES3_PKT0_PKT1_PKT2_S6_PT3_21rocsparse_index_base_b,@function
_ZN9rocsparseL27csrmvn_symm_adaptive_kernelIllaaiiEEvbT_S1_PKS1_NS_24const_host_device_scalarIT4_EES3_PKT0_PKT1_PKT2_S6_PT3_21rocsparse_index_base_b: ; @_ZN9rocsparseL27csrmvn_symm_adaptive_kernelIllaaiiEEvbT_S1_PKS1_NS_24const_host_device_scalarIT4_EES3_PKT0_PKT1_PKT2_S6_PT3_21rocsparse_index_base_b
; %bb.0:
	s_load_dwordx2 s[28:29], s[0:1], 0x58
	s_load_dwordx2 s[8:9], s[0:1], 0x20
	s_mov_b64 s[10:11], -1
	s_waitcnt lgkmcnt(0)
	s_bitcmp1_b32 s29, 0
	s_cselect_b64 s[4:5], -1, 0
	s_xor_b64 s[6:7], s[4:5], -1
	s_and_b64 vcc, exec, s[6:7]
                                        ; implicit-def: $sgpr29
	s_cbranch_vccnz .LBB53_4
; %bb.1:
	s_load_dwordx2 s[4:5], s[0:1], 0x48
	s_andn2_b64 vcc, exec, s[10:11]
	s_cbranch_vccz .LBB53_5
.LBB53_2:
	s_and_b64 vcc, exec, s[6:7]
	s_cbranch_vccz .LBB53_6
.LBB53_3:
	s_waitcnt lgkmcnt(0)
	s_load_dword s3, s[4:5], 0x0
	s_cbranch_execz .LBB53_7
	s_branch .LBB53_8
.LBB53_4:
	s_load_dword s29, s[8:9], 0x0
	s_load_dwordx2 s[4:5], s[0:1], 0x48
	s_cbranch_execnz .LBB53_2
.LBB53_5:
	s_waitcnt lgkmcnt(0)
	s_mov_b32 s29, s8
	s_and_b64 vcc, exec, s[6:7]
	s_cbranch_vccnz .LBB53_3
.LBB53_6:
                                        ; implicit-def: $sgpr3
.LBB53_7:
	s_waitcnt lgkmcnt(0)
	s_mov_b32 s3, s4
.LBB53_8:
	s_waitcnt lgkmcnt(0)
	s_cmp_lg_u32 s29, 0
	s_cselect_b64 s[4:5], -1, 0
	s_cmp_lg_u32 s3, 1
	s_cselect_b64 s[6:7], -1, 0
	s_or_b64 s[4:5], s[4:5], s[6:7]
	s_andn2_b64 vcc, exec, s[4:5]
	s_cbranch_vccnz .LBB53_160
; %bb.9:
	s_load_dwordx2 s[4:5], s[0:1], 0x18
	s_ashr_i32 s3, s2, 31
	s_lshl_b64 s[2:3], s[2:3], 3
	v_lshlrev_b32_e32 v18, 2, v0
	v_mov_b32_e32 v1, 0
	s_waitcnt lgkmcnt(0)
	s_add_u32 s2, s4, s2
	s_addc_u32 s3, s5, s3
	ds_write2st64_b32 v18, v1, v1 offset1:4
	ds_write2st64_b32 v18, v1, v1 offset0:8 offset1:12
	s_waitcnt lgkmcnt(0)
	s_barrier
	s_load_dwordx4 s[20:23], s[2:3], 0x0
	s_load_dwordx8 s[12:19], s[0:1], 0x28
	s_load_dwordx2 s[24:25], s[0:1], 0x50
	s_mov_b64 s[2:3], -1
	s_waitcnt lgkmcnt(0)
	s_sub_u32 s26, s22, s20
	s_subb_u32 s27, s23, s21
	v_cmp_gt_i64_e64 s[4:5], s[26:27], 2
	s_and_b64 vcc, exec, s[4:5]
	s_cbranch_vccnz .LBB53_40
; %bb.10:
	v_mov_b64_e32 v[2:3], s[20:21]
	v_cmp_le_i64_e32 vcc, s[22:23], v[2:3]
	v_subrev_co_u32_e64 v2, s[2:3], s28, v0
	s_nop 1
	v_subb_co_u32_e64 v3, s[2:3], 0, 0, s[2:3]
	s_cbranch_vccnz .LBB53_30
; %bb.11:
	s_movk_i32 s2, 0x100
	v_cmp_gt_u32_e64 s[2:3], s2, v0
	v_cmp_gt_u32_e64 s[4:5], 64, v0
	;; [unrolled: 1-line block ×4, first 2 shown]
	v_cmp_eq_u32_e64 s[10:11], 0, v0
	s_mov_b64 s[30:31], 0x100
	s_mov_b64 s[34:35], 0x800
	v_mov_b32_e32 v1, 0
	v_mov_b64_e32 v[4:5], s[22:23]
	s_mov_b64 s[36:37], s[20:21]
	s_branch .LBB53_13
.LBB53_12:                              ;   in Loop: Header=BB53_13 Depth=1
	s_or_b64 exec, exec, s[38:39]
	s_add_u32 s36, s36, 1
	s_addc_u32 s37, s37, 0
	v_cmp_ge_i64_e32 vcc, s[36:37], v[4:5]
	s_cbranch_vccnz .LBB53_30
.LBB53_13:                              ; =>This Loop Header: Depth=1
                                        ;     Child Loop BB53_15 Depth 2
	s_lshl_b64 s[38:39], s[36:37], 3
	s_add_u32 s38, s12, s38
	s_addc_u32 s39, s13, s39
	s_load_dwordx4 s[40:43], s[38:39], 0x0
	v_mov_b32_e32 v10, 0
	s_waitcnt lgkmcnt(0)
	s_sub_u32 s38, s42, s28
	v_lshl_add_u64 v[6:7], s[40:41], 0, v[2:3]
	s_subb_u32 s39, s43, 0
	v_cmp_gt_i64_e32 vcc, s[38:39], v[6:7]
	s_and_saveexec_b64 s[40:41], vcc
	s_cbranch_execz .LBB53_17
; %bb.14:                               ;   in Loop: Header=BB53_13 Depth=1
	v_lshl_add_u64 v[8:9], v[6:7], 3, s[14:15]
	v_mov_b32_e32 v10, 0
	s_mov_b64 s[42:43], 0
.LBB53_15:                              ;   Parent Loop BB53_13 Depth=1
                                        ; =>  This Inner Loop Header: Depth=2
	global_load_dwordx2 v[12:13], v[8:9], off
	v_lshl_add_u64 v[14:15], s[16:17], 0, v[6:7]
	global_load_sbyte v11, v[14:15], off
	v_lshl_add_u64 v[6:7], v[6:7], 0, s[30:31]
	v_lshl_add_u64 v[8:9], v[8:9], 0, s[34:35]
	s_waitcnt vmcnt(1)
	v_subrev_co_u32_e32 v12, vcc, s28, v12
	s_nop 1
	v_subbrev_co_u32_e32 v13, vcc, 0, v13, vcc
	v_lshl_add_u64 v[12:13], s[18:19], 0, v[12:13]
	global_load_sbyte v12, v[12:13], off
	v_cmp_le_i64_e32 vcc, s[38:39], v[6:7]
	s_or_b64 s[42:43], vcc, s[42:43]
	s_waitcnt vmcnt(0)
	v_mad_i32_i24 v10, v12, v11, v10
	s_andn2_b64 exec, exec, s[42:43]
	s_cbranch_execnz .LBB53_15
; %bb.16:                               ;   in Loop: Header=BB53_13 Depth=1
	s_or_b64 exec, exec, s[42:43]
.LBB53_17:                              ;   in Loop: Header=BB53_13 Depth=1
	s_or_b64 exec, exec, s[40:41]
	ds_write_b32 v18, v10
	s_waitcnt lgkmcnt(0)
	s_barrier
	s_and_saveexec_b64 s[38:39], s[2:3]
	s_cbranch_execz .LBB53_19
; %bb.18:                               ;   in Loop: Header=BB53_13 Depth=1
	ds_read2st64_b32 v[6:7], v18 offset1:4
	ds_read2st64_b32 v[8:9], v18 offset0:8 offset1:12
	s_waitcnt lgkmcnt(0)
	v_add_u32_e32 v7, v8, v7
	v_add3_u32 v6, v7, v9, v6
	ds_write_b32 v18, v6
.LBB53_19:                              ;   in Loop: Header=BB53_13 Depth=1
	s_or_b64 exec, exec, s[38:39]
	s_waitcnt lgkmcnt(0)
	s_barrier
	s_and_saveexec_b64 s[38:39], s[4:5]
	s_cbranch_execz .LBB53_21
; %bb.20:                               ;   in Loop: Header=BB53_13 Depth=1
	ds_read2st64_b32 v[6:7], v18 offset1:1
	ds_read2st64_b32 v[8:9], v18 offset0:2 offset1:3
	s_waitcnt lgkmcnt(0)
	v_add_u32_e32 v7, v8, v7
	v_add3_u32 v6, v7, v9, v6
	ds_write_b32 v18, v6
.LBB53_21:                              ;   in Loop: Header=BB53_13 Depth=1
	s_or_b64 exec, exec, s[38:39]
	s_waitcnt lgkmcnt(0)
	s_barrier
	s_and_saveexec_b64 s[38:39], s[6:7]
	s_cbranch_execz .LBB53_23
; %bb.22:                               ;   in Loop: Header=BB53_13 Depth=1
	ds_read2_b32 v[6:7], v18 offset1:16
	ds_read2_b32 v[8:9], v18 offset0:32 offset1:48
	s_waitcnt lgkmcnt(0)
	v_add_u32_e32 v7, v8, v7
	v_add3_u32 v6, v7, v9, v6
	ds_write_b32 v18, v6
.LBB53_23:                              ;   in Loop: Header=BB53_13 Depth=1
	s_or_b64 exec, exec, s[38:39]
	s_waitcnt lgkmcnt(0)
	s_barrier
	s_and_saveexec_b64 s[38:39], s[8:9]
	s_cbranch_execz .LBB53_25
; %bb.24:                               ;   in Loop: Header=BB53_13 Depth=1
	ds_read2_b32 v[6:7], v18 offset1:4
	ds_read2_b32 v[8:9], v18 offset0:8 offset1:12
	s_waitcnt lgkmcnt(0)
	v_add_u32_e32 v7, v8, v7
	v_add3_u32 v6, v7, v9, v6
	ds_write_b32 v18, v6
.LBB53_25:                              ;   in Loop: Header=BB53_13 Depth=1
	s_or_b64 exec, exec, s[38:39]
	s_waitcnt lgkmcnt(0)
	s_barrier
	s_and_saveexec_b64 s[38:39], s[10:11]
	s_cbranch_execz .LBB53_27
; %bb.26:                               ;   in Loop: Header=BB53_13 Depth=1
	ds_read2_b32 v[6:7], v1 offset0:1 offset1:2
	ds_read_b32 v8, v1 offset:12
	ds_read_b32 v9, v18
	s_waitcnt lgkmcnt(2)
	v_add_u32_e32 v6, v7, v6
	s_waitcnt lgkmcnt(1)
	v_add_u32_e32 v6, v6, v8
	;; [unrolled: 2-line block ×3, first 2 shown]
	ds_write_b32 v18, v6
.LBB53_27:                              ;   in Loop: Header=BB53_13 Depth=1
	s_or_b64 exec, exec, s[38:39]
	s_waitcnt lgkmcnt(0)
	s_barrier
	s_and_saveexec_b64 s[38:39], s[10:11]
	s_cbranch_execz .LBB53_12
; %bb.28:                               ;   in Loop: Header=BB53_13 Depth=1
	s_mov_b64 s[40:41], exec
	v_mbcnt_lo_u32_b32 v6, s40, 0
	v_mbcnt_hi_u32_b32 v6, s41, v6
	v_cmp_eq_u32_e32 vcc, 0, v6
	s_and_b64 s[42:43], exec, vcc
	s_mov_b64 exec, s[42:43]
	s_cbranch_execz .LBB53_12
; %bb.29:                               ;   in Loop: Header=BB53_13 Depth=1
	ds_read_b32 v6, v1
	s_lshl_b64 s[42:43], s[36:37], 2
	s_add_u32 s42, s24, s42
	s_addc_u32 s43, s25, s43
	s_bcnt1_i32_b64 s33, s[40:41]
	s_waitcnt lgkmcnt(0)
	v_mul_lo_u32 v6, v6, s29
	v_mul_lo_u32 v6, v6, s33
	global_atomic_add v1, v6, s[42:43]
	s_branch .LBB53_12
.LBB53_30:
	s_lshl_b64 s[2:3], s[20:21], 3
	s_add_u32 s2, s12, s2
	s_addc_u32 s3, s13, s3
	s_lshl_b64 s[4:5], s[22:23], 3
	s_add_u32 s4, s12, s4
	s_addc_u32 s5, s13, s5
	s_load_dwordx2 s[6:7], s[4:5], 0x0
	s_load_dwordx2 s[8:9], s[2:3], 0x0
	s_waitcnt lgkmcnt(0)
	s_sub_u32 s6, s6, s28
	s_subb_u32 s7, s7, 0
	v_lshl_add_u64 v[2:3], s[8:9], 0, v[2:3]
	v_cmp_gt_i64_e32 vcc, s[6:7], v[2:3]
	s_and_saveexec_b64 s[8:9], vcc
	s_cbranch_execz .LBB53_39
; %bb.31:
	s_add_u32 s10, s22, -1
	s_addc_u32 s11, s23, -1
	s_add_u32 s2, s22, -2
	s_addc_u32 s3, s23, -1
	v_mov_b64_e32 v[4:5], s[10:11]
	s_cmp_lg_u64 s[20:21], s[2:3]
	v_cmp_lt_i64_e32 vcc, s[20:21], v[4:5]
	s_cselect_b64 s[2:3], -1, 0
	s_and_b64 s[2:3], vcc, s[2:3]
	v_cndmask_b32_e64 v1, 0, 1, s[2:3]
	s_mov_b64 s[30:31], 0
	v_cmp_ne_u32_e64 s[2:3], 1, v1
	v_mov_b32_e32 v5, 0
	s_mov_b64 s[34:35], 0x100
	s_branch .LBB53_33
.LBB53_32:                              ;   in Loop: Header=BB53_33 Depth=1
	s_or_b64 exec, exec, s[4:5]
	v_lshl_add_u64 v[2:3], v[2:3], 0, s[34:35]
	v_cmp_le_i64_e32 vcc, s[6:7], v[2:3]
	s_or_b64 s[30:31], vcc, s[30:31]
	s_andn2_b64 exec, exec, s[30:31]
	s_cbranch_execz .LBB53_39
.LBB53_33:                              ; =>This Loop Header: Depth=1
                                        ;     Child Loop BB53_35 Depth 2
	s_and_b64 vcc, exec, s[2:3]
	v_mov_b64_e32 v[6:7], s[20:21]
	v_mov_b64_e32 v[8:9], s[10:11]
	s_cbranch_vccnz .LBB53_37
; %bb.34:                               ;   in Loop: Header=BB53_33 Depth=1
	s_mov_b64 s[36:37], 0
	v_mov_b64_e32 v[6:7], s[20:21]
	v_mov_b64_e32 v[8:9], s[10:11]
.LBB53_35:                              ;   Parent Loop BB53_33 Depth=1
                                        ; =>  This Inner Loop Header: Depth=2
	v_lshl_add_u64 v[10:11], v[8:9], 0, v[6:7]
	v_lshrrev_b32_e32 v4, 31, v11
	v_lshl_add_u64 v[10:11], v[10:11], 0, v[4:5]
	v_ashrrev_i64 v[10:11], 1, v[10:11]
	v_lshl_add_u64 v[12:13], v[10:11], 3, s[12:13]
	global_load_dwordx2 v[12:13], v[12:13], off
	s_waitcnt vmcnt(0)
	v_subrev_co_u32_e32 v12, vcc, s28, v12
	s_nop 1
	v_subbrev_co_u32_e32 v13, vcc, 0, v13, vcc
	v_cmp_lt_i64_e32 vcc, v[2:3], v[12:13]
	s_nop 1
	v_cndmask_b32_e32 v9, v9, v11, vcc
	v_cndmask_b32_e32 v8, v8, v10, vcc
	;; [unrolled: 1-line block ×4, first 2 shown]
	v_lshl_add_u64 v[10:11], v[8:9], 0, -1
	v_cmp_ge_i64_e32 vcc, v[6:7], v[8:9]
	v_cmp_eq_u64_e64 s[4:5], v[6:7], v[10:11]
	s_or_b64 s[4:5], vcc, s[4:5]
	s_and_b64 s[4:5], exec, s[4:5]
	s_or_b64 s[36:37], s[4:5], s[36:37]
	s_andn2_b64 exec, exec, s[36:37]
	s_cbranch_execnz .LBB53_35
; %bb.36:                               ;   in Loop: Header=BB53_33 Depth=1
	s_or_b64 exec, exec, s[36:37]
.LBB53_37:                              ;   in Loop: Header=BB53_33 Depth=1
	v_lshl_add_u64 v[10:11], v[8:9], 3, s[12:13]
	global_load_dwordx2 v[10:11], v[10:11], off
	v_lshl_add_u64 v[12:13], v[2:3], 3, s[14:15]
	global_load_dwordx2 v[12:13], v[12:13], off
	s_waitcnt vmcnt(1)
	v_subrev_co_u32_e32 v10, vcc, s28, v10
	s_nop 1
	v_subbrev_co_u32_e32 v11, vcc, 0, v11, vcc
	v_cmp_lt_i64_e32 vcc, v[2:3], v[10:11]
	s_nop 1
	v_cndmask_b32_e32 v9, v9, v7, vcc
	v_cndmask_b32_e32 v8, v8, v6, vcc
	s_waitcnt vmcnt(0)
	v_subrev_co_u32_e32 v6, vcc, s28, v12
	s_nop 1
	v_subbrev_co_u32_e32 v7, vcc, 0, v13, vcc
	v_cmp_ne_u64_e32 vcc, v[6:7], v[8:9]
	s_and_saveexec_b64 s[4:5], vcc
	s_cbranch_execz .LBB53_32
; %bb.38:                               ;   in Loop: Header=BB53_33 Depth=1
	v_lshl_add_u64 v[10:11], s[16:17], 0, v[2:3]
	global_load_sbyte v1, v[10:11], off
	v_lshl_add_u64 v[8:9], s[18:19], 0, v[8:9]
	global_load_sbyte v4, v[8:9], off
	v_lshl_add_u64 v[6:7], v[6:7], 2, s[24:25]
	s_waitcnt vmcnt(1)
	v_mul_lo_u32 v1, s29, v1
	s_waitcnt vmcnt(0)
	v_mul_lo_u32 v1, v1, v4
	global_atomic_add v[6:7], v1, off
	s_branch .LBB53_32
.LBB53_39:
	s_or_b64 exec, exec, s[8:9]
	s_mov_b64 s[2:3], 0
.LBB53_40:
	s_and_b64 vcc, exec, s[2:3]
	s_cbranch_vccz .LBB53_160
; %bb.41:
	s_load_dword s2, s[0:1], 0x6c
	s_mov_b32 s31, 0
	v_mov_b64_e32 v[2:3], s[26:27]
	s_mov_b64 s[34:35], 0
	s_waitcnt lgkmcnt(0)
	s_and_b32 s30, s2, 0xffff
	v_cmp_lt_u64_e32 vcc, s[30:31], v[2:3]
	s_cbranch_vccnz .LBB53_43
; %bb.42:
	v_cvt_f32_u32_e32 v1, s26
	s_sub_i32 s2, 0, s26
	v_rcp_iflag_f32_e32 v1, v1
	s_nop 0
	v_mul_f32_e32 v1, 0x4f7ffffe, v1
	v_cvt_u32_f32_e32 v1, v1
	s_nop 0
	v_readfirstlane_b32 s3, v1
	s_mul_i32 s2, s2, s3
	s_mul_hi_u32 s2, s3, s2
	s_add_i32 s3, s3, s2
	s_mul_hi_u32 s2, s30, s3
	s_mul_i32 s4, s2, s26
	s_sub_i32 s4, s30, s4
	s_add_i32 s3, s2, 1
	s_sub_i32 s5, s4, s26
	s_cmp_ge_u32 s4, s26
	s_cselect_b32 s2, s3, s2
	s_cselect_b32 s4, s5, s4
	s_add_i32 s3, s2, 1
	s_cmp_ge_u32 s4, s26
	s_cselect_b32 s34, s3, s2
.LBB53_43:
	s_load_dwordx4 s[4:7], s[0:1], 0x8
	s_lshl_b64 s[0:1], s[20:21], 3
	s_add_u32 s10, s12, s0
	s_addc_u32 s11, s13, s1
	s_load_dwordx2 s[8:9], s[10:11], 0x0
	v_subrev_co_u32_e32 v2, vcc, s28, v0
	v_mov_b32_e32 v1, 0
	s_nop 0
	v_subb_co_u32_e64 v3, s[0:1], 0, 0, vcc
	s_waitcnt lgkmcnt(0)
	v_lshl_add_u64 v[10:11], s[8:9], 0, v[2:3]
	s_mov_b64 s[0:1], 0x300
	v_lshl_add_u64 v[8:9], v[10:11], 0, s[0:1]
	v_cmp_le_i64_e32 vcc, s[4:5], v[8:9]
	s_and_saveexec_b64 s[0:1], vcc
	s_xor_b64 s[2:3], exec, s[0:1]
	s_cbranch_execnz .LBB53_46
; %bb.44:
	s_andn2_saveexec_b64 s[0:1], s[2:3]
	s_cbranch_execnz .LBB53_55
.LBB53_45:
	s_or_b64 exec, exec, s[0:1]
	v_cmp_gt_i64_e64 s[0:1], s[6:7], v[0:1]
	s_and_saveexec_b64 s[2:3], s[0:1]
	s_cbranch_execnz .LBB53_56
	s_branch .LBB53_63
.LBB53_46:
	s_lshl_b64 s[0:1], s[22:23], 3
	s_add_u32 s0, s12, s0
	s_addc_u32 s1, s13, s1
	s_load_dwordx2 s[38:39], s[0:1], 0x0
	s_waitcnt lgkmcnt(0)
	s_sub_u32 s4, s38, s8
	s_subb_u32 s5, s39, s9
	v_cmp_gt_i64_e64 s[0:1], s[4:5], v[0:1]
	s_and_saveexec_b64 s[36:37], s[0:1]
	s_cbranch_execz .LBB53_54
; %bb.47:
	s_not_b64 s[0:1], s[8:9]
	s_add_u32 s0, s38, s0
	s_addc_u32 s1, s39, s1
	v_mov_b32_e32 v3, s1
	v_sub_co_u32_e64 v2, s[0:1], s0, v0
	s_mov_b64 s[40:41], -1
	s_nop 0
	v_subbrev_co_u32_e64 v3, s[0:1], 0, v3, s[0:1]
	s_mov_b64 s[0:1], 0xff
	s_nop 0
	v_cmp_lt_u64_e64 s[0:1], s[0:1], v[2:3]
	v_mov_b64_e32 v[6:7], 0
	s_and_saveexec_b64 s[38:39], s[0:1]
	s_cbranch_execz .LBB53_51
; %bb.48:
	v_lshl_add_u64 v[6:7], s[8:9], 0, v[0:1]
	v_lshrrev_b64 v[2:3], 8, v[2:3]
	v_subrev_co_u32_e64 v6, s[0:1], s28, v6
	v_lshl_add_u64 v[2:3], v[2:3], 0, 1
	s_nop 0
	v_subbrev_co_u32_e64 v7, s[0:1], 0, v7, s[0:1]
	v_and_b32_e32 v4, -2, v2
	v_mov_b32_e32 v5, v3
	v_lshl_add_u64 v[6:7], s[16:17], 0, v[6:7]
	s_mov_b64 s[40:41], 0x100
	s_mov_b32 s33, s29
	v_lshl_add_u64 v[6:7], v[6:7], 0, s[40:41]
	s_mov_b64 s[42:43], 0
	s_mov_b64 s[44:45], 0x200
	v_mov_b64_e32 v[12:13], v[4:5]
	s_mov_b64 s[46:47], 0
.LBB53_49:                              ; =>This Inner Loop Header: Depth=1
	global_load_sbyte v14, v[6:7], off
	global_load_sbyte v15, v[6:7], off offset:-256
	v_lshl_add_u32 v16, s46, 2, v18
	s_add_u32 s46, s46, 0x200
	s_addc_u32 s47, s47, 0
	v_lshl_add_u32 v17, s40, 2, v18
	v_lshl_add_u64 v[12:13], v[12:13], 0, -2
	s_add_u32 s40, s40, 0x200
	v_cmp_eq_u64_e64 s[0:1], 0, v[12:13]
	s_addc_u32 s41, s41, 0
	v_lshl_add_u64 v[6:7], v[6:7], 0, s[44:45]
	s_or_b64 s[42:43], s[0:1], s[42:43]
	s_waitcnt vmcnt(1)
	v_mul_lo_u32 v14, s33, v14
	s_waitcnt vmcnt(0)
	v_mul_lo_u32 v15, s29, v15
	ds_write_b32 v16, v15
	ds_write_b32 v17, v14
	s_andn2_b64 exec, exec, s[42:43]
	s_cbranch_execnz .LBB53_49
; %bb.50:
	s_or_b64 exec, exec, s[42:43]
	v_cmp_ne_u64_e64 s[0:1], v[2:3], v[4:5]
	v_lshlrev_b64 v[6:7], 8, v[4:5]
	s_orn2_b64 s[40:41], s[0:1], exec
.LBB53_51:
	s_or_b64 exec, exec, s[38:39]
	s_and_b64 exec, exec, s[40:41]
	s_cbranch_execz .LBB53_54
; %bb.52:
	s_sub_u32 s0, s8, s28
	s_subb_u32 s1, s9, 0
	s_add_u32 s38, s16, s0
	v_lshlrev_b32_e32 v4, 2, v6
	s_addc_u32 s39, s17, s1
	v_lshl_add_u64 v[2:3], v[6:7], 0, v[0:1]
	v_lshl_add_u32 v4, v0, 2, v4
	s_mov_b64 s[40:41], 0
	s_mov_b64 s[42:43], 0x100
.LBB53_53:                              ; =>This Inner Loop Header: Depth=1
	v_lshl_add_u64 v[6:7], s[38:39], 0, v[2:3]
	global_load_sbyte v5, v[6:7], off
	v_lshl_add_u64 v[2:3], v[2:3], 0, s[42:43]
	v_cmp_le_i64_e64 s[0:1], s[4:5], v[2:3]
	s_or_b64 s[40:41], s[0:1], s[40:41]
	s_waitcnt vmcnt(0)
	v_mul_lo_u32 v5, s29, v5
	ds_write_b32 v4, v5
	v_add_u32_e32 v4, 0x400, v4
	s_andn2_b64 exec, exec, s[40:41]
	s_cbranch_execnz .LBB53_53
.LBB53_54:
	s_or_b64 exec, exec, s[36:37]
	s_andn2_saveexec_b64 s[0:1], s[2:3]
	s_cbranch_execz .LBB53_45
.LBB53_55:
	v_lshl_add_u64 v[2:3], s[16:17], 0, v[10:11]
	global_load_sbyte v4, v[2:3], off
	global_load_sbyte v5, v[2:3], off offset:256
	global_load_sbyte v6, v[2:3], off offset:512
	;; [unrolled: 1-line block ×3, first 2 shown]
	s_waitcnt vmcnt(3)
	v_mul_lo_u32 v2, s29, v4
	s_waitcnt vmcnt(2)
	v_mul_lo_u32 v3, s29, v5
	;; [unrolled: 2-line block ×4, first 2 shown]
	ds_write2st64_b32 v18, v2, v3 offset1:4
	ds_write2st64_b32 v18, v4, v5 offset0:8 offset1:12
	s_or_b64 exec, exec, s[0:1]
	v_cmp_gt_i64_e64 s[0:1], s[6:7], v[0:1]
	s_and_saveexec_b64 s[2:3], s[0:1]
	s_cbranch_execz .LBB53_63
.LBB53_56:
	v_mov_b32_e32 v3, -1
	v_not_b32_e32 v2, v0
	v_lshl_add_u64 v[4:5], s[6:7], 0, v[2:3]
	s_mov_b64 s[0:1], 0xff
	v_cmp_lt_u64_e64 s[0:1], s[0:1], v[4:5]
	s_mov_b64 s[16:17], -1
	v_mov_b64_e32 v[2:3], v[0:1]
	s_and_saveexec_b64 s[4:5], s[0:1]
	s_cbranch_execz .LBB53_60
; %bb.57:
	v_lshrrev_b64 v[2:3], 8, v[4:5]
	v_lshl_add_u64 v[12:13], v[2:3], 0, 1
	v_mov_b32_e32 v3, 0
	v_or_b32_e32 v4, 0x100, v0
	v_mov_b32_e32 v5, v3
	v_and_b32_e32 v14, -2, v12
	v_mov_b32_e32 v15, v13
	v_mov_b32_e32 v2, v0
	v_mov_b64_e32 v[6:7], v[4:5]
	s_mov_b64 s[16:17], 0
	v_mov_b32_e32 v19, 0x1000
	s_mov_b64 s[36:37], 0x200
	v_mov_b64_e32 v[16:17], v[14:15]
	v_mov_b64_e32 v[4:5], v[2:3]
.LBB53_58:                              ; =>This Inner Loop Header: Depth=1
	v_lshl_add_u64 v[16:17], v[16:17], 0, -2
	v_cmp_eq_u64_e64 s[0:1], 0, v[16:17]
	v_lshl_add_u32 v2, v4, 2, v19
	v_lshl_add_u32 v20, v6, 2, v19
	v_lshl_add_u64 v[6:7], v[6:7], 0, s[36:37]
	v_lshl_add_u64 v[4:5], v[4:5], 0, s[36:37]
	s_or_b64 s[16:17], s[0:1], s[16:17]
	ds_write_b32 v2, v3
	ds_write_b32 v20, v3
	s_andn2_b64 exec, exec, s[16:17]
	s_cbranch_execnz .LBB53_58
; %bb.59:
	s_or_b64 exec, exec, s[16:17]
	v_lshlrev_b64 v[2:3], 8, v[14:15]
	v_cmp_ne_u64_e64 s[0:1], v[12:13], v[14:15]
	v_or_b32_e32 v2, v2, v0
	s_orn2_b64 s[16:17], s[0:1], exec
.LBB53_60:
	s_or_b64 exec, exec, s[4:5]
	s_and_b64 exec, exec, s[16:17]
	s_cbranch_execz .LBB53_63
; %bb.61:
	v_mov_b32_e32 v4, 0x1000
	v_lshl_add_u32 v4, v2, 2, v4
	s_mov_b64 s[4:5], 0
	v_mov_b32_e32 v5, 0
	s_mov_b64 s[16:17], 0x100
.LBB53_62:                              ; =>This Inner Loop Header: Depth=1
	v_lshl_add_u64 v[2:3], v[2:3], 0, s[16:17]
	v_cmp_le_i64_e64 s[0:1], s[6:7], v[2:3]
	ds_write_b32 v4, v5
	s_or_b64 s[4:5], s[0:1], s[4:5]
	v_add_u32_e32 v4, 0x400, v4
	s_andn2_b64 exec, exec, s[4:5]
	s_cbranch_execnz .LBB53_62
.LBB53_63:
	s_or_b64 exec, exec, s[2:3]
	s_sub_u32 s2, s22, s6
	v_mov_b64_e32 v[2:3], s[6:7]
	s_subb_u32 s3, s23, s7
	v_cmp_ge_i64_e64 s[0:1], s[22:23], v[2:3]
	s_and_b64 s[0:1], s[0:1], exec
	s_cselect_b32 s5, s3, 0
	s_cselect_b32 s4, s2, 0
	s_waitcnt lgkmcnt(0)
	s_barrier
	s_and_saveexec_b64 s[0:1], vcc
	s_xor_b64 s[16:17], exec, s[0:1]
	s_cbranch_execz .LBB53_80
; %bb.64:
	s_lshl_b64 s[0:1], s[22:23], 3
	s_add_u32 s0, s12, s0
	s_addc_u32 s1, s13, s1
	s_load_dwordx2 s[0:1], s[0:1], 0x0
	s_waitcnt lgkmcnt(0)
	s_sub_u32 s36, s0, s8
	s_subb_u32 s37, s1, s9
	v_cmp_gt_i64_e32 vcc, s[36:37], v[0:1]
	s_and_saveexec_b64 s[38:39], vcc
	s_cbranch_execz .LBB53_79
; %bb.65:
	s_add_u32 s40, s22, -1
	s_addc_u32 s41, s23, -1
	s_add_u32 s2, s22, -2
	s_addc_u32 s3, s23, -1
	s_cmp_lg_u64 s[20:21], s[2:3]
	s_cselect_b64 s[2:3], -1, 0
	s_sub_u32 s42, s0, s28
	v_cndmask_b32_e64 v2, 0, 1, s[2:3]
	s_subb_u32 s43, s1, 0
	s_mov_b64 s[44:45], 0
	v_cmp_ne_u32_e64 s[0:1], 1, v2
	v_mov_b32_e32 v3, 0
	v_mov_b32_e32 v16, 0x1000
	s_mov_b64 s[46:47], 0
	s_branch .LBB53_68
.LBB53_66:                              ;   in Loop: Header=BB53_68 Depth=1
	s_or_b64 exec, exec, s[2:3]
.LBB53_67:                              ;   in Loop: Header=BB53_68 Depth=1
	s_or_b64 exec, exec, s[48:49]
	v_lshl_add_u64 v[6:7], s[18:19], 0, v[6:7]
	global_load_sbyte v6, v[6:7], off
	s_add_u32 s46, s46, 0x100
	s_addc_u32 s47, s47, 0
	v_lshlrev_b32_e32 v7, 2, v4
	v_lshl_add_u64 v[4:5], s[46:47], 0, v[0:1]
	v_cmp_le_i64_e32 vcc, s[36:37], v[4:5]
	s_or_b64 s[44:45], vcc, s[44:45]
	s_waitcnt vmcnt(0) lgkmcnt(0)
	v_mul_lo_u32 v2, v2, v6
	ds_write_b32 v7, v2
	s_andn2_b64 exec, exec, s[44:45]
	s_cbranch_execz .LBB53_79
.LBB53_68:                              ; =>This Loop Header: Depth=1
                                        ;     Child Loop BB53_70 Depth 2
	v_lshl_add_u64 v[8:9], s[46:47], 0, v[10:11]
	s_and_b64 vcc, exec, s[0:1]
	v_mov_b64_e32 v[12:13], s[20:21]
	v_mov_b64_e32 v[14:15], s[40:41]
	s_cbranch_vccnz .LBB53_72
; %bb.69:                               ;   in Loop: Header=BB53_68 Depth=1
	s_mov_b64 s[48:49], 0
	v_mov_b64_e32 v[12:13], s[20:21]
	v_mov_b64_e32 v[14:15], s[40:41]
.LBB53_70:                              ;   Parent Loop BB53_68 Depth=1
                                        ; =>  This Inner Loop Header: Depth=2
	v_lshl_add_u64 v[4:5], v[14:15], 0, v[12:13]
	v_lshrrev_b32_e32 v2, 31, v5
	v_lshl_add_u64 v[4:5], v[4:5], 0, v[2:3]
	v_ashrrev_i64 v[4:5], 1, v[4:5]
	v_lshl_add_u64 v[6:7], v[4:5], 3, s[12:13]
	global_load_dwordx2 v[6:7], v[6:7], off
	s_waitcnt vmcnt(0)
	v_subrev_co_u32_e32 v6, vcc, s28, v6
	s_nop 1
	v_subbrev_co_u32_e32 v7, vcc, 0, v7, vcc
	v_cmp_lt_i64_e32 vcc, v[8:9], v[6:7]
	s_nop 1
	v_cndmask_b32_e32 v15, v15, v5, vcc
	v_cndmask_b32_e32 v14, v14, v4, vcc
	;; [unrolled: 1-line block ×4, first 2 shown]
	v_lshl_add_u64 v[4:5], v[14:15], 0, -1
	v_cmp_ge_i64_e32 vcc, v[12:13], v[14:15]
	v_cmp_eq_u64_e64 s[2:3], v[12:13], v[4:5]
	s_or_b64 s[2:3], vcc, s[2:3]
	s_and_b64 s[2:3], exec, s[2:3]
	s_or_b64 s[48:49], s[2:3], s[48:49]
	s_andn2_b64 exec, exec, s[48:49]
	s_cbranch_execnz .LBB53_70
; %bb.71:                               ;   in Loop: Header=BB53_68 Depth=1
	s_or_b64 exec, exec, s[48:49]
.LBB53_72:                              ;   in Loop: Header=BB53_68 Depth=1
	v_lshl_add_u64 v[4:5], v[14:15], 3, s[12:13]
	global_load_dwordx2 v[6:7], v[4:5], off
	v_lshl_add_u64 v[4:5], v[8:9], 3, s[14:15]
	global_load_dwordx2 v[20:21], v[4:5], off
	v_cmp_le_i64_e32 vcc, s[42:43], v[8:9]
	v_lshl_add_u64 v[4:5], s[46:47], 0, v[0:1]
	v_lshlrev_b32_e32 v5, 2, v4
                                        ; implicit-def: $vgpr2
	s_waitcnt vmcnt(1)
	v_subrev_co_u32_e64 v22, s[2:3], s28, v6
	s_nop 1
	v_subbrev_co_u32_e64 v23, s[2:3], 0, v7, s[2:3]
	s_waitcnt vmcnt(0)
	v_subrev_co_u32_e64 v6, s[2:3], s28, v20
	s_nop 1
	v_subbrev_co_u32_e64 v7, s[2:3], 0, v21, s[2:3]
	v_cmp_lt_i64_e64 s[2:3], v[8:9], v[22:23]
	s_nop 1
	v_cndmask_b32_e64 v9, v15, v13, s[2:3]
	v_cndmask_b32_e64 v8, v14, v12, s[2:3]
	v_cmp_eq_u64_e64 s[2:3], v[6:7], v[8:9]
	s_or_b64 s[2:3], s[2:3], vcc
	s_and_saveexec_b64 s[48:49], s[2:3]
	s_xor_b64 s[2:3], exec, s[48:49]
; %bb.73:                               ;   in Loop: Header=BB53_68 Depth=1
	ds_read_b32 v2, v5
                                        ; implicit-def: $vgpr5
                                        ; implicit-def: $vgpr8_vgpr9
; %bb.74:                               ;   in Loop: Header=BB53_68 Depth=1
	s_andn2_saveexec_b64 s[48:49], s[2:3]
	s_cbranch_execz .LBB53_67
; %bb.75:                               ;   in Loop: Header=BB53_68 Depth=1
	v_cmp_gt_i64_e32 vcc, s[4:5], v[6:7]
	v_cmp_le_i64_e64 s[2:3], s[22:23], v[6:7]
	s_or_b64 s[2:3], vcc, s[2:3]
	v_lshl_add_u64 v[8:9], s[18:19], 0, v[8:9]
                                        ; implicit-def: $vgpr2
	s_and_saveexec_b64 s[50:51], s[2:3]
	s_xor_b64 s[2:3], exec, s[50:51]
	s_cbranch_execz .LBB53_77
; %bb.76:                               ;   in Loop: Header=BB53_68 Depth=1
	global_load_sbyte v12, v[8:9], off
	s_waitcnt lgkmcnt(0)
	ds_read_b32 v2, v5
	v_lshl_add_u64 v[8:9], v[6:7], 2, s[24:25]
	s_waitcnt vmcnt(0) lgkmcnt(0)
	v_mul_lo_u32 v5, v2, v12
	global_atomic_add v[8:9], v5, off
                                        ; implicit-def: $vgpr5
                                        ; implicit-def: $vgpr8_vgpr9
.LBB53_77:                              ;   in Loop: Header=BB53_68 Depth=1
	s_andn2_saveexec_b64 s[2:3], s[2:3]
	s_cbranch_execz .LBB53_66
; %bb.78:                               ;   in Loop: Header=BB53_68 Depth=1
	global_load_sbyte v8, v[8:9], off
	s_waitcnt lgkmcnt(0)
	ds_read_b32 v2, v5
	v_subrev_u32_e32 v5, s4, v6
	v_lshl_add_u32 v5, v5, 2, v16
	s_waitcnt vmcnt(0) lgkmcnt(0)
	v_mul_lo_u32 v8, v2, v8
	ds_add_u32 v5, v8
	s_branch .LBB53_66
.LBB53_79:
	s_or_b64 exec, exec, s[38:39]
                                        ; implicit-def: $vgpr8_vgpr9
                                        ; implicit-def: $vgpr10_vgpr11
.LBB53_80:
	s_andn2_saveexec_b64 s[16:17], s[16:17]
	s_cbranch_execz .LBB53_122
; %bb.81:
	s_add_u32 s36, s22, -1
	s_addc_u32 s37, s23, -1
	s_add_u32 s0, s22, -2
	s_addc_u32 s1, s23, -1
	s_cmp_lg_u64 s[20:21], s[0:1]
	s_cselect_b64 s[2:3], -1, 0
	s_cmp_eq_u64 s[20:21], s[0:1]
	v_mov_b64_e32 v[4:5], s[20:21]
	v_mov_b64_e32 v[6:7], s[36:37]
	s_cbranch_scc1 .LBB53_85
; %bb.82:
	s_mov_b64 s[38:39], 0
	v_mov_b64_e32 v[4:5], s[20:21]
	v_mov_b64_e32 v[6:7], s[36:37]
	v_mov_b32_e32 v3, 0
.LBB53_83:                              ; =>This Inner Loop Header: Depth=1
	v_lshl_add_u64 v[12:13], v[6:7], 0, v[4:5]
	v_lshrrev_b32_e32 v2, 31, v13
	v_lshl_add_u64 v[12:13], v[12:13], 0, v[2:3]
	v_ashrrev_i64 v[12:13], 1, v[12:13]
	v_lshl_add_u64 v[14:15], v[12:13], 3, s[12:13]
	global_load_dwordx2 v[14:15], v[14:15], off
	s_waitcnt vmcnt(0)
	v_subrev_co_u32_e32 v14, vcc, s28, v14
	s_nop 1
	v_subbrev_co_u32_e32 v15, vcc, 0, v15, vcc
	v_cmp_lt_i64_e32 vcc, v[10:11], v[14:15]
	s_nop 1
	v_cndmask_b32_e32 v7, v7, v13, vcc
	v_cndmask_b32_e32 v6, v6, v12, vcc
	;; [unrolled: 1-line block ×4, first 2 shown]
	v_lshl_add_u64 v[12:13], v[6:7], 0, -1
	v_cmp_ge_i64_e32 vcc, v[4:5], v[6:7]
	v_cmp_eq_u64_e64 s[0:1], v[4:5], v[12:13]
	s_or_b64 s[0:1], vcc, s[0:1]
	s_and_b64 s[0:1], exec, s[0:1]
	s_or_b64 s[38:39], s[0:1], s[38:39]
	s_andn2_b64 exec, exec, s[38:39]
	s_cbranch_execnz .LBB53_83
; %bb.84:
	s_or_b64 exec, exec, s[38:39]
.LBB53_85:
	v_lshl_add_u64 v[2:3], v[6:7], 3, s[12:13]
	global_load_dwordx2 v[12:13], v[2:3], off
	v_lshl_add_u64 v[2:3], v[10:11], 3, s[14:15]
	global_load_dwordx2 v[14:15], v[2:3], off
	s_lshl_b64 s[0:1], s[22:23], 3
	s_add_u32 s14, s12, s0
	s_addc_u32 s15, s13, s1
	s_waitcnt vmcnt(1)
	v_subrev_co_u32_e32 v12, vcc, s28, v12
	s_nop 1
	v_subbrev_co_u32_e32 v13, vcc, 0, v13, vcc
	v_cmp_lt_i64_e32 vcc, v[10:11], v[12:13]
	s_nop 1
	v_cndmask_b32_e32 v7, v7, v5, vcc
	v_cndmask_b32_e32 v6, v6, v4, vcc
	s_waitcnt vmcnt(0)
	v_subrev_co_u32_e32 v4, vcc, s28, v14
	s_nop 1
	v_subbrev_co_u32_e32 v5, vcc, 0, v15, vcc
	v_cmp_ne_u64_e32 vcc, v[4:5], v[6:7]
	s_and_saveexec_b64 s[38:39], vcc
	s_cbranch_execz .LBB53_91
; %bb.86:
	s_load_dwordx2 s[0:1], s[14:15], 0x0
	s_waitcnt lgkmcnt(0)
	s_sub_u32 s0, s0, s28
	s_subb_u32 s1, s1, 0
	v_cmp_gt_i64_e32 vcc, s[0:1], v[10:11]
	s_and_b64 exec, exec, vcc
	s_cbranch_execz .LBB53_91
; %bb.87:
	v_cmp_gt_i64_e32 vcc, s[4:5], v[4:5]
	v_cmp_le_i64_e64 s[0:1], s[22:23], v[4:5]
	s_or_b64 s[0:1], vcc, s[0:1]
	v_lshl_add_u64 v[6:7], s[18:19], 0, v[6:7]
	s_and_saveexec_b64 s[40:41], s[0:1]
	s_xor_b64 s[0:1], exec, s[40:41]
	s_cbranch_execz .LBB53_89
; %bb.88:
	global_load_sbyte v12, v[6:7], off
	ds_read_b32 v13, v18
	v_lshl_add_u64 v[6:7], v[4:5], 2, s[24:25]
	s_waitcnt vmcnt(0) lgkmcnt(0)
	v_mul_lo_u32 v12, v13, v12
	global_atomic_add v[6:7], v12, off
                                        ; implicit-def: $vgpr6_vgpr7
.LBB53_89:
	s_andn2_saveexec_b64 s[0:1], s[0:1]
	s_cbranch_execz .LBB53_91
; %bb.90:
	global_load_sbyte v6, v[6:7], off
	ds_read_b32 v7, v18
	v_subrev_u32_e32 v12, s4, v4
	v_mov_b32_e32 v13, 0x1000
	v_lshl_add_u32 v12, v12, 2, v13
	s_waitcnt vmcnt(0) lgkmcnt(0)
	v_mul_lo_u32 v6, v7, v6
	ds_add_u32 v12, v6
.LBB53_91:
	s_or_b64 exec, exec, s[38:39]
	v_lshl_add_u64 v[4:5], s[18:19], 0, v[4:5]
	global_load_sbyte v12, v[4:5], off
	ds_read_b32 v13, v18
	s_mov_b64 s[0:1], 0x100
	v_cndmask_b32_e64 v14, 0, 1, s[2:3]
	v_mov_b64_e32 v[6:7], s[20:21]
	v_lshl_add_u64 v[4:5], v[10:11], 0, s[0:1]
	v_cmp_ne_u32_e64 s[0:1], 1, v14
	s_andn2_b64 vcc, exec, s[2:3]
	s_waitcnt vmcnt(0) lgkmcnt(0)
	v_mul_lo_u32 v12, v13, v12
	ds_write_b32 v18, v12
	v_mov_b64_e32 v[12:13], s[36:37]
	s_cbranch_vccnz .LBB53_95
; %bb.92:
	s_mov_b64 s[38:39], 0
	v_mov_b64_e32 v[6:7], s[20:21]
	v_mov_b64_e32 v[12:13], s[36:37]
	v_mov_b32_e32 v15, 0
.LBB53_93:                              ; =>This Inner Loop Header: Depth=1
	v_lshl_add_u64 v[16:17], v[12:13], 0, v[6:7]
	v_lshrrev_b32_e32 v14, 31, v17
	v_lshl_add_u64 v[16:17], v[16:17], 0, v[14:15]
	v_ashrrev_i64 v[16:17], 1, v[16:17]
	v_lshl_add_u64 v[20:21], v[16:17], 3, s[12:13]
	global_load_dwordx2 v[20:21], v[20:21], off
	s_waitcnt vmcnt(0)
	v_subrev_co_u32_e32 v20, vcc, s28, v20
	s_nop 1
	v_subbrev_co_u32_e32 v21, vcc, 0, v21, vcc
	v_cmp_lt_i64_e32 vcc, v[4:5], v[20:21]
	s_nop 1
	v_cndmask_b32_e32 v13, v13, v17, vcc
	v_cndmask_b32_e32 v12, v12, v16, vcc
	v_cndmask_b32_e32 v7, v17, v7, vcc
	v_cndmask_b32_e32 v6, v16, v6, vcc
	v_lshl_add_u64 v[16:17], v[12:13], 0, -1
	v_cmp_ge_i64_e32 vcc, v[6:7], v[12:13]
	v_cmp_eq_u64_e64 s[2:3], v[6:7], v[16:17]
	s_or_b64 s[2:3], vcc, s[2:3]
	s_and_b64 s[2:3], exec, s[2:3]
	s_or_b64 s[38:39], s[2:3], s[38:39]
	s_andn2_b64 exec, exec, s[38:39]
	s_cbranch_execnz .LBB53_93
; %bb.94:
	s_or_b64 exec, exec, s[38:39]
.LBB53_95:
	v_lshl_add_u64 v[14:15], v[12:13], 3, s[12:13]
	global_load_dwordx2 v[16:17], v[14:15], off
	global_load_dwordx2 v[20:21], v[2:3], off offset:2048
	s_waitcnt vmcnt(1)
	v_subrev_co_u32_e32 v14, vcc, s28, v16
	s_nop 1
	v_subbrev_co_u32_e32 v15, vcc, 0, v17, vcc
	v_cmp_lt_i64_e32 vcc, v[4:5], v[14:15]
	s_nop 1
	v_cndmask_b32_e32 v13, v13, v7, vcc
	v_cndmask_b32_e32 v12, v12, v6, vcc
	s_waitcnt vmcnt(0)
	v_subrev_co_u32_e32 v6, vcc, s28, v20
	s_nop 1
	v_subbrev_co_u32_e32 v7, vcc, 0, v21, vcc
	v_cmp_ne_u64_e32 vcc, v[6:7], v[12:13]
	s_and_saveexec_b64 s[38:39], vcc
	s_cbranch_execz .LBB53_101
; %bb.96:
	s_load_dwordx2 s[2:3], s[14:15], 0x0
	s_waitcnt lgkmcnt(0)
	s_sub_u32 s2, s2, s28
	s_subb_u32 s3, s3, 0
	v_cmp_gt_i64_e32 vcc, s[2:3], v[4:5]
	s_and_b64 exec, exec, vcc
	s_cbranch_execz .LBB53_101
; %bb.97:
	v_cmp_gt_i64_e32 vcc, s[4:5], v[6:7]
	v_cmp_le_i64_e64 s[2:3], s[22:23], v[6:7]
	s_or_b64 s[2:3], vcc, s[2:3]
	v_lshl_add_u64 v[4:5], s[18:19], 0, v[12:13]
	s_and_saveexec_b64 s[40:41], s[2:3]
	s_xor_b64 s[2:3], exec, s[40:41]
	s_cbranch_execz .LBB53_99
; %bb.98:
	global_load_sbyte v12, v[4:5], off
	ds_read_b32 v13, v18 offset:1024
	v_lshl_add_u64 v[4:5], v[6:7], 2, s[24:25]
	s_waitcnt vmcnt(0) lgkmcnt(0)
	v_mul_lo_u32 v12, v13, v12
	global_atomic_add v[4:5], v12, off
                                        ; implicit-def: $vgpr4_vgpr5
.LBB53_99:
	s_andn2_saveexec_b64 s[2:3], s[2:3]
	s_cbranch_execz .LBB53_101
; %bb.100:
	global_load_sbyte v4, v[4:5], off
	ds_read_b32 v5, v18 offset:1024
	v_subrev_u32_e32 v12, s4, v6
	v_mov_b32_e32 v13, 0x1000
	v_lshl_add_u32 v12, v12, 2, v13
	s_waitcnt vmcnt(0) lgkmcnt(0)
	v_mul_lo_u32 v4, v5, v4
	ds_add_u32 v12, v4
.LBB53_101:
	s_or_b64 exec, exec, s[38:39]
	v_lshl_add_u64 v[4:5], s[18:19], 0, v[6:7]
	global_load_sbyte v12, v[4:5], off
	ds_read_b32 v13, v18 offset:1024
	s_mov_b64 s[2:3], 0x200
	v_lshl_add_u64 v[4:5], v[10:11], 0, s[2:3]
	s_and_b64 vcc, exec, s[0:1]
	v_mov_b64_e32 v[6:7], s[20:21]
	s_waitcnt vmcnt(0) lgkmcnt(0)
	v_mul_lo_u32 v10, v13, v12
	ds_write_b32 v18, v10 offset:1024
	v_mov_b64_e32 v[10:11], s[36:37]
	s_cbranch_vccnz .LBB53_105
; %bb.102:
	s_mov_b64 s[38:39], 0
	v_mov_b64_e32 v[6:7], s[20:21]
	v_mov_b64_e32 v[10:11], s[36:37]
	v_mov_b32_e32 v13, 0
.LBB53_103:                             ; =>This Inner Loop Header: Depth=1
	v_lshl_add_u64 v[14:15], v[10:11], 0, v[6:7]
	v_lshrrev_b32_e32 v12, 31, v15
	v_lshl_add_u64 v[14:15], v[14:15], 0, v[12:13]
	v_ashrrev_i64 v[14:15], 1, v[14:15]
	v_lshl_add_u64 v[16:17], v[14:15], 3, s[12:13]
	global_load_dwordx2 v[16:17], v[16:17], off
	s_waitcnt vmcnt(0)
	v_subrev_co_u32_e32 v16, vcc, s28, v16
	s_nop 1
	v_subbrev_co_u32_e32 v17, vcc, 0, v17, vcc
	v_cmp_lt_i64_e32 vcc, v[4:5], v[16:17]
	s_nop 1
	v_cndmask_b32_e32 v11, v11, v15, vcc
	v_cndmask_b32_e32 v10, v10, v14, vcc
	;; [unrolled: 1-line block ×4, first 2 shown]
	v_lshl_add_u64 v[14:15], v[10:11], 0, -1
	v_cmp_ge_i64_e32 vcc, v[6:7], v[10:11]
	v_cmp_eq_u64_e64 s[2:3], v[6:7], v[14:15]
	s_or_b64 s[2:3], vcc, s[2:3]
	s_and_b64 s[2:3], exec, s[2:3]
	s_or_b64 s[38:39], s[2:3], s[38:39]
	s_andn2_b64 exec, exec, s[38:39]
	s_cbranch_execnz .LBB53_103
; %bb.104:
	s_or_b64 exec, exec, s[38:39]
.LBB53_105:
	v_lshl_add_u64 v[12:13], v[10:11], 3, s[12:13]
	global_load_dwordx2 v[12:13], v[12:13], off
	v_add_co_u32_e32 v14, vcc, 0x1000, v2
	s_nop 1
	v_addc_co_u32_e32 v15, vcc, 0, v3, vcc
	global_load_dwordx2 v[14:15], v[14:15], off
	s_waitcnt vmcnt(1)
	v_subrev_co_u32_e32 v12, vcc, s28, v12
	s_nop 1
	v_subbrev_co_u32_e32 v13, vcc, 0, v13, vcc
	v_cmp_lt_i64_e32 vcc, v[4:5], v[12:13]
	s_nop 1
	v_cndmask_b32_e32 v11, v11, v7, vcc
	v_cndmask_b32_e32 v10, v10, v6, vcc
	s_waitcnt vmcnt(0)
	v_subrev_co_u32_e32 v6, vcc, s28, v14
	s_nop 1
	v_subbrev_co_u32_e32 v7, vcc, 0, v15, vcc
	v_cmp_ne_u64_e32 vcc, v[6:7], v[10:11]
	s_and_saveexec_b64 s[38:39], vcc
	s_cbranch_execz .LBB53_111
; %bb.106:
	s_load_dwordx2 s[2:3], s[14:15], 0x0
	s_waitcnt lgkmcnt(0)
	s_sub_u32 s2, s2, s28
	s_subb_u32 s3, s3, 0
	v_cmp_gt_i64_e32 vcc, s[2:3], v[4:5]
	s_and_b64 exec, exec, vcc
	s_cbranch_execz .LBB53_111
; %bb.107:
	v_cmp_gt_i64_e32 vcc, s[4:5], v[6:7]
	v_cmp_le_i64_e64 s[2:3], s[22:23], v[6:7]
	s_or_b64 s[2:3], vcc, s[2:3]
	v_lshl_add_u64 v[4:5], s[18:19], 0, v[10:11]
	s_and_saveexec_b64 s[40:41], s[2:3]
	s_xor_b64 s[2:3], exec, s[40:41]
	s_cbranch_execz .LBB53_109
; %bb.108:
	global_load_sbyte v10, v[4:5], off
	ds_read_b32 v11, v18 offset:2048
	v_lshl_add_u64 v[4:5], v[6:7], 2, s[24:25]
	s_waitcnt vmcnt(0) lgkmcnt(0)
	v_mul_lo_u32 v10, v11, v10
	global_atomic_add v[4:5], v10, off
                                        ; implicit-def: $vgpr4_vgpr5
.LBB53_109:
	s_andn2_saveexec_b64 s[2:3], s[2:3]
	s_cbranch_execz .LBB53_111
; %bb.110:
	global_load_sbyte v4, v[4:5], off
	ds_read_b32 v5, v18 offset:2048
	v_subrev_u32_e32 v10, s4, v6
	v_mov_b32_e32 v11, 0x1000
	v_lshl_add_u32 v10, v10, 2, v11
	s_waitcnt vmcnt(0) lgkmcnt(0)
	v_mul_lo_u32 v4, v5, v4
	ds_add_u32 v10, v4
.LBB53_111:
	s_or_b64 exec, exec, s[38:39]
	v_lshl_add_u64 v[4:5], s[18:19], 0, v[6:7]
	global_load_sbyte v6, v[4:5], off
	ds_read_b32 v7, v18 offset:2048
	s_and_b64 vcc, exec, s[0:1]
	v_mov_b64_e32 v[4:5], s[20:21]
	s_waitcnt vmcnt(0) lgkmcnt(0)
	v_mul_lo_u32 v6, v7, v6
	ds_write_b32 v18, v6 offset:2048
	v_mov_b64_e32 v[6:7], s[36:37]
	s_cbranch_vccnz .LBB53_115
; %bb.112:
	s_mov_b64 s[2:3], 0
	v_mov_b64_e32 v[4:5], s[20:21]
	v_mov_b64_e32 v[6:7], s[36:37]
	v_mov_b32_e32 v11, 0
.LBB53_113:                             ; =>This Inner Loop Header: Depth=1
	v_lshl_add_u64 v[12:13], v[6:7], 0, v[4:5]
	v_lshrrev_b32_e32 v10, 31, v13
	v_lshl_add_u64 v[12:13], v[12:13], 0, v[10:11]
	v_ashrrev_i64 v[12:13], 1, v[12:13]
	v_lshl_add_u64 v[14:15], v[12:13], 3, s[12:13]
	global_load_dwordx2 v[14:15], v[14:15], off
	s_waitcnt vmcnt(0)
	v_subrev_co_u32_e32 v14, vcc, s28, v14
	s_nop 1
	v_subbrev_co_u32_e32 v15, vcc, 0, v15, vcc
	v_cmp_lt_i64_e32 vcc, v[8:9], v[14:15]
	s_nop 1
	v_cndmask_b32_e32 v7, v7, v13, vcc
	v_cndmask_b32_e32 v6, v6, v12, vcc
	;; [unrolled: 1-line block ×4, first 2 shown]
	v_lshl_add_u64 v[12:13], v[6:7], 0, -1
	v_cmp_ge_i64_e32 vcc, v[4:5], v[6:7]
	v_cmp_eq_u64_e64 s[0:1], v[4:5], v[12:13]
	s_or_b64 s[0:1], vcc, s[0:1]
	s_and_b64 s[0:1], exec, s[0:1]
	s_or_b64 s[2:3], s[0:1], s[2:3]
	s_andn2_b64 exec, exec, s[2:3]
	s_cbranch_execnz .LBB53_113
; %bb.114:
	s_or_b64 exec, exec, s[2:3]
.LBB53_115:
	v_lshl_add_u64 v[10:11], v[6:7], 3, s[12:13]
	global_load_dwordx2 v[10:11], v[10:11], off
	v_add_co_u32_e32 v2, vcc, 0x1000, v2
	s_nop 1
	v_addc_co_u32_e32 v3, vcc, 0, v3, vcc
	global_load_dwordx2 v[2:3], v[2:3], off offset:2048
	s_waitcnt vmcnt(1)
	v_subrev_co_u32_e32 v10, vcc, s28, v10
	s_nop 1
	v_subbrev_co_u32_e32 v11, vcc, 0, v11, vcc
	v_cmp_lt_i64_e32 vcc, v[8:9], v[10:11]
	s_nop 1
	v_cndmask_b32_e32 v5, v7, v5, vcc
	v_cndmask_b32_e32 v4, v6, v4, vcc
	s_waitcnt vmcnt(0)
	v_subrev_co_u32_e32 v2, vcc, s28, v2
	s_nop 1
	v_subbrev_co_u32_e32 v3, vcc, 0, v3, vcc
	v_cmp_ne_u64_e32 vcc, v[2:3], v[4:5]
	s_and_saveexec_b64 s[2:3], vcc
	s_cbranch_execz .LBB53_121
; %bb.116:
	s_load_dwordx2 s[0:1], s[14:15], 0x0
	s_waitcnt lgkmcnt(0)
	s_sub_u32 s0, s0, s28
	s_subb_u32 s1, s1, 0
	v_cmp_gt_i64_e32 vcc, s[0:1], v[8:9]
	s_and_b64 exec, exec, vcc
	s_cbranch_execz .LBB53_121
; %bb.117:
	v_cmp_gt_i64_e32 vcc, s[4:5], v[2:3]
	v_cmp_le_i64_e64 s[0:1], s[22:23], v[2:3]
	s_or_b64 s[0:1], vcc, s[0:1]
	v_lshl_add_u64 v[4:5], s[18:19], 0, v[4:5]
	s_and_saveexec_b64 s[14:15], s[0:1]
	s_xor_b64 s[0:1], exec, s[14:15]
	s_cbranch_execz .LBB53_119
; %bb.118:
	global_load_sbyte v6, v[4:5], off
	ds_read_b32 v7, v18 offset:3072
	v_lshl_add_u64 v[4:5], v[2:3], 2, s[24:25]
	s_waitcnt vmcnt(0) lgkmcnt(0)
	v_mul_lo_u32 v6, v7, v6
	global_atomic_add v[4:5], v6, off
                                        ; implicit-def: $vgpr4_vgpr5
.LBB53_119:
	s_andn2_saveexec_b64 s[0:1], s[0:1]
	s_cbranch_execz .LBB53_121
; %bb.120:
	global_load_sbyte v4, v[4:5], off
	ds_read_b32 v5, v18 offset:3072
	v_subrev_u32_e32 v6, s4, v2
	v_mov_b32_e32 v7, 0x1000
	v_lshl_add_u32 v6, v6, 2, v7
	s_waitcnt vmcnt(0) lgkmcnt(0)
	v_mul_lo_u32 v4, v5, v4
	ds_add_u32 v6, v4
.LBB53_121:
	s_or_b64 exec, exec, s[2:3]
	v_lshl_add_u64 v[2:3], s[18:19], 0, v[2:3]
	global_load_sbyte v2, v[2:3], off
	ds_read_b32 v3, v18 offset:3072
	s_waitcnt vmcnt(0) lgkmcnt(0)
	v_mul_lo_u32 v2, v3, v2
	ds_write_b32 v18, v2 offset:3072
.LBB53_122:
	s_or_b64 exec, exec, s[16:17]
	v_mov_b64_e32 v[2:3], s[6:7]
	v_cmp_lt_i64_e32 vcc, s[22:23], v[2:3]
	s_and_b64 s[0:1], vcc, exec
	s_cselect_b32 s16, s22, s6
	s_cselect_b32 s0, s23, s7
	s_sub_u32 s2, s16, s26
	s_subb_u32 s3, s0, s27
	v_cmp_gt_i64_e32 vcc, s[2:3], v[0:1]
	s_waitcnt lgkmcnt(0)
	s_barrier
	s_and_saveexec_b64 s[0:1], vcc
	s_cbranch_execz .LBB53_125
; %bb.123:
	v_mov_b64_e32 v[2:3], s[6:7]
	v_cmp_gt_i64_e32 vcc, s[22:23], v[2:3]
	s_and_b64 s[4:5], vcc, exec
	s_cselect_b32 s5, s23, s7
	s_cselect_b32 s4, s22, s6
	v_lshlrev_b32_e32 v2, 2, v0
	v_mov_b32_e32 v3, 0
	v_lshl_add_u64 v[2:3], s[4:5], 2, v[2:3]
	s_lshl_b64 s[4:5], s[6:7], 2
	v_mov_b32_e32 v4, s5
	v_subrev_co_u32_e32 v2, vcc, s4, v2
	s_mov_b64 s[4:5], 0
	s_nop 0
	v_subb_co_u32_e32 v3, vcc, v3, v4, vcc
	v_mov_b32_e32 v4, 0x1000
	v_lshl_add_u64 v[2:3], s[24:25], 0, v[2:3]
	v_lshl_add_u32 v6, v0, 2, v4
	s_mov_b64 s[6:7], 0x100
	s_mov_b64 s[14:15], 0x400
	v_mov_b64_e32 v[4:5], v[0:1]
.LBB53_124:                             ; =>This Inner Loop Header: Depth=1
	ds_read_b32 v7, v6
	v_lshl_add_u64 v[4:5], v[4:5], 0, s[6:7]
	v_cmp_le_i64_e32 vcc, s[2:3], v[4:5]
	v_add_u32_e32 v6, 0x400, v6
	s_or_b64 s[4:5], vcc, s[4:5]
	s_waitcnt lgkmcnt(0)
	global_atomic_add v[2:3], v7, off
	v_lshl_add_u64 v[2:3], v[2:3], 0, s[14:15]
	s_andn2_b64 exec, exec, s[4:5]
	s_cbranch_execnz .LBB53_124
.LBB53_125:
	s_or_b64 exec, exec, s[0:1]
	s_add_i32 s0, s34, -1
	s_ashr_i32 s1, s0, 1
	s_or_b32 s0, s1, s0
	s_ashr_i32 s1, s0, 2
	s_or_b32 s0, s1, s0
	;; [unrolled: 2-line block ×5, first 2 shown]
	s_add_i32 s0, s0, 1
	s_ashr_i32 s3, s0, 1
	v_lshl_add_u64 v[6:7], s[20:21], 0, v[0:1]
	s_cmp_gt_i32 s3, 1
	s_mov_b64 s[0:1], -1
	s_barrier
	s_cbranch_scc1 .LBB53_140
; %bb.126:
	v_cmp_gt_i64_e32 vcc, s[22:23], v[6:7]
	s_and_saveexec_b64 s[0:1], vcc
	s_cbranch_execz .LBB53_139
; %bb.127:
	s_sub_i32 s4, s16, s22
	s_lshl_b32 s4, s4, 2
	s_add_i32 s18, s4, 0x1000
	s_lshl_b32 s4, s8, 2
	s_sub_i32 s19, 0, s4
	s_mov_b64 s[4:5], 0
	v_mov_b64_e32 v[8:9], v[6:7]
	s_branch .LBB53_130
.LBB53_128:                             ;   in Loop: Header=BB53_130 Depth=1
	s_or_b64 exec, exec, s[14:15]
.LBB53_129:                             ;   in Loop: Header=BB53_130 Depth=1
	s_or_b64 exec, exec, s[6:7]
	v_lshl_add_u32 v2, v8, 2, s18
	ds_read_b32 v2, v2
	s_waitcnt lgkmcnt(0)
	v_add_u32_e32 v4, v2, v16
	v_lshl_add_u64 v[2:3], v[8:9], 2, s[24:25]
	global_atomic_add v[2:3], v4, off
	v_lshl_add_u64 v[8:9], v[8:9], 0, s[30:31]
	v_cmp_le_i64_e32 vcc, s[22:23], v[8:9]
	s_or_b64 s[4:5], vcc, s[4:5]
	s_andn2_b64 exec, exec, s[4:5]
	s_cbranch_execz .LBB53_139
.LBB53_130:                             ; =>This Loop Header: Depth=1
                                        ;     Child Loop BB53_133 Depth 2
                                        ;     Child Loop BB53_137 Depth 2
	v_lshl_add_u64 v[2:3], v[8:9], 3, s[12:13]
	global_load_dwordx4 v[2:5], v[2:3], off
	v_mov_b32_e32 v16, 0
	s_waitcnt vmcnt(0)
	v_cmp_lt_i64_e32 vcc, v[2:3], v[4:5]
	s_and_saveexec_b64 s[6:7], vcc
	s_cbranch_execz .LBB53_129
; %bb.131:                              ;   in Loop: Header=BB53_130 Depth=1
	v_mov_b32_e32 v10, s9
	v_subrev_co_u32_e32 v4, vcc, s8, v4
	v_mov_b32_e32 v11, s9
	s_nop 0
	v_subb_co_u32_e32 v5, vcc, v5, v10, vcc
	v_subrev_co_u32_e32 v10, vcc, s8, v2
	s_mov_b64 s[16:17], -1
	s_nop 0
	v_subb_co_u32_e32 v11, vcc, v3, v11, vcc
	v_lshl_add_u64 v[12:13], v[10:11], 0, 1
	v_cmp_gt_i64_e32 vcc, v[12:13], v[4:5]
	v_mov_b32_e32 v16, 0
	s_nop 0
	v_cndmask_b32_e32 v13, v5, v13, vcc
	v_cndmask_b32_e32 v12, v4, v12, vcc
	v_lshl_add_u64 v[12:13], s[8:9], 0, v[12:13]
	v_sub_co_u32_e32 v12, vcc, v12, v2
	s_nop 1
	v_subb_co_u32_e32 v13, vcc, v13, v3, vcc
	v_cmp_lt_u64_e32 vcc, 1, v[12:13]
	s_and_saveexec_b64 s[14:15], vcc
	s_cbranch_execz .LBB53_135
; %bb.132:                              ;   in Loop: Header=BB53_130 Depth=1
	v_and_b32_e32 v14, -2, v12
	v_mov_b32_e32 v15, v13
	v_lshl_add_u32 v17, v2, 2, s19
	v_mov_b32_e32 v16, 0
	s_mov_b64 s[16:17], 0
	v_mov_b64_e32 v[2:3], v[14:15]
	v_mov_b32_e32 v19, 0
.LBB53_133:                             ;   Parent Loop BB53_130 Depth=1
                                        ; =>  This Inner Loop Header: Depth=2
	ds_read2_b32 v[20:21], v17 offset1:1
	v_lshl_add_u64 v[2:3], v[2:3], 0, -2
	v_cmp_eq_u64_e32 vcc, 0, v[2:3]
	v_add_u32_e32 v17, 8, v17
	s_or_b64 s[16:17], vcc, s[16:17]
	s_waitcnt lgkmcnt(0)
	v_add_u32_e32 v19, v21, v19
	v_add_u32_e32 v16, v20, v16
	s_andn2_b64 exec, exec, s[16:17]
	s_cbranch_execnz .LBB53_133
; %bb.134:                              ;   in Loop: Header=BB53_130 Depth=1
	s_or_b64 exec, exec, s[16:17]
	v_cmp_ne_u64_e32 vcc, v[12:13], v[14:15]
	v_lshl_add_u64 v[10:11], v[10:11], 0, v[14:15]
	v_add_u32_e32 v16, v16, v19
	s_orn2_b64 s[16:17], vcc, exec
.LBB53_135:                             ;   in Loop: Header=BB53_130 Depth=1
	s_or_b64 exec, exec, s[14:15]
	s_and_saveexec_b64 s[14:15], s[16:17]
	s_cbranch_execz .LBB53_128
; %bb.136:                              ;   in Loop: Header=BB53_130 Depth=1
	v_lshlrev_b32_e32 v2, 2, v10
	s_mov_b64 s[16:17], 0
.LBB53_137:                             ;   Parent Loop BB53_130 Depth=1
                                        ; =>  This Inner Loop Header: Depth=2
	ds_read_b32 v3, v2
	v_lshl_add_u64 v[10:11], v[10:11], 0, 1
	v_cmp_ge_i64_e32 vcc, v[10:11], v[4:5]
	v_add_u32_e32 v2, 4, v2
	s_or_b64 s[16:17], vcc, s[16:17]
	s_waitcnt lgkmcnt(0)
	v_add_u32_e32 v16, v3, v16
	s_andn2_b64 exec, exec, s[16:17]
	s_cbranch_execnz .LBB53_137
; %bb.138:                              ;   in Loop: Header=BB53_130 Depth=1
	s_or_b64 exec, exec, s[16:17]
	s_branch .LBB53_128
.LBB53_139:
	s_or_b64 exec, exec, s[0:1]
	s_mov_b64 s[0:1], 0
.LBB53_140:
	s_andn2_b64 vcc, exec, s[0:1]
	s_cbranch_vccnz .LBB53_160
; %bb.141:
	v_cvt_f32_u32_e32 v2, s3
	s_sub_i32 s12, 0, s3
	v_mov_b32_e32 v5, 0
	v_mov_b32_e32 v13, s9
	v_rcp_iflag_f32_e32 v2, v2
	s_nop 0
	v_mul_f32_e32 v2, 0x4f7ffffe, v2
	v_cvt_u32_f32_e32 v2, v2
	v_mul_lo_u32 v3, s12, v2
	v_mul_hi_u32 v3, v2, v3
	v_add_u32_e32 v2, v2, v3
	v_mul_hi_u32 v2, v0, v2
	v_mul_lo_u32 v3, v2, s3
	v_sub_u32_e32 v3, v0, v3
	v_add_u32_e32 v4, 1, v2
	v_cmp_le_u32_e32 vcc, s3, v3
	s_nop 1
	v_cndmask_b32_e32 v2, v2, v4, vcc
	v_subrev_u32_e32 v4, s3, v3
	v_cndmask_b32_e32 v3, v3, v4, vcc
	v_add_u32_e32 v4, 1, v2
	v_cmp_le_u32_e32 vcc, s3, v3
	s_nop 1
	v_cndmask_b32_e32 v4, v2, v4, vcc
	v_lshl_add_u64 v[2:3], v[4:5], 3, s[10:11]
	global_load_dwordx4 v[8:11], v[2:3], off
	v_mov_b32_e32 v3, s9
	s_waitcnt vmcnt(0)
	v_subrev_co_u32_e32 v2, vcc, s8, v8
	s_nop 1
	v_subb_co_u32_e32 v3, vcc, v9, v3, vcc
	v_subrev_co_u32_e32 v12, vcc, s8, v10
	v_mov_b32_e32 v10, v5
	s_nop 0
	v_subb_co_u32_e32 v13, vcc, v11, v13, vcc
	v_sub_co_u32_e32 v8, vcc, v12, v2
	s_nop 1
	v_subb_co_u32_e32 v9, vcc, v13, v3, vcc
	v_mov_b32_e32 v11, v9
	v_cmp_ne_u64_e32 vcc, 0, v[10:11]
                                        ; implicit-def: $vgpr10_vgpr11
	s_and_saveexec_b64 s[0:1], vcc
	s_xor_b64 s[4:5], exec, s[0:1]
	s_cbranch_execz .LBB53_143
; %bb.142:
	s_add_u32 s0, s3, 0
	s_addc_u32 s1, 0, 0
	s_xor_b64 s[6:7], s[0:1], 0
	v_cvt_f32_u32_e32 v10, s6
	v_cvt_f32_u32_e32 v11, s7
	s_sub_u32 s8, 0, s6
	s_subb_u32 s9, 0, s7
	v_ashrrev_i32_e32 v14, 31, v9
	v_fmamk_f32 v10, v11, 0x4f800000, v10
	v_rcp_f32_e32 v10, v10
	v_mov_b32_e32 v15, v14
	v_lshl_add_u64 v[8:9], v[8:9], 0, v[14:15]
	v_xor_b32_e32 v19, v8, v14
	v_mul_f32_e32 v10, 0x5f7ffffc, v10
	v_mul_f32_e32 v11, 0x2f800000, v10
	v_trunc_f32_e32 v11, v11
	v_fmamk_f32 v10, v11, 0xcf800000, v10
	v_cvt_u32_f32_e32 v11, v11
	v_cvt_u32_f32_e32 v10, v10
	v_xor_b32_e32 v15, v9, v14
	v_readfirstlane_b32 s10, v11
	v_readfirstlane_b32 s0, v10
	s_mul_i32 s1, s8, s10
	s_mul_hi_u32 s13, s8, s0
	s_mul_i32 s11, s9, s0
	s_add_i32 s1, s13, s1
	s_mul_i32 s14, s8, s0
	s_add_i32 s1, s1, s11
	s_mul_i32 s13, s0, s1
	s_mul_hi_u32 s15, s0, s14
	s_mul_hi_u32 s11, s0, s1
	s_add_u32 s13, s15, s13
	s_addc_u32 s11, 0, s11
	s_mul_hi_u32 s16, s10, s14
	s_mul_i32 s14, s10, s14
	s_add_u32 s13, s13, s14
	s_mul_hi_u32 s15, s10, s1
	s_addc_u32 s11, s11, s16
	s_addc_u32 s13, s15, 0
	s_mul_i32 s1, s10, s1
	s_add_u32 s1, s11, s1
	s_addc_u32 s11, 0, s13
	s_add_u32 s13, s0, s1
	s_cselect_b64 s[0:1], -1, 0
	s_cmp_lg_u64 s[0:1], 0
	s_addc_u32 s10, s10, s11
	s_mul_i32 s0, s8, s10
	s_mul_hi_u32 s1, s8, s13
	s_add_i32 s0, s1, s0
	s_mul_i32 s9, s9, s13
	s_add_i32 s0, s0, s9
	s_mul_i32 s8, s8, s13
	s_mul_hi_u32 s9, s10, s8
	s_mul_i32 s11, s10, s8
	s_mul_i32 s15, s13, s0
	s_mul_hi_u32 s8, s13, s8
	s_mul_hi_u32 s14, s13, s0
	s_add_u32 s8, s8, s15
	s_addc_u32 s14, 0, s14
	s_add_u32 s8, s8, s11
	s_mul_hi_u32 s1, s10, s0
	s_addc_u32 s8, s14, s9
	s_addc_u32 s1, s1, 0
	s_mul_i32 s0, s10, s0
	s_add_u32 s0, s8, s0
	s_addc_u32 s8, 0, s1
	s_add_u32 s9, s13, s0
	s_cselect_b64 s[0:1], -1, 0
	s_cmp_lg_u64 s[0:1], 0
	s_addc_u32 s8, s10, s8
	v_mad_u64_u32 v[8:9], s[0:1], v19, s8, 0
	v_mul_hi_u32 v10, v19, s9
	v_mov_b32_e32 v11, v5
	v_lshl_add_u64 v[8:9], v[10:11], 0, v[8:9]
	v_mad_u64_u32 v[16:17], s[0:1], v15, s9, 0
	v_add_co_u32_e32 v8, vcc, v8, v16
	v_mad_u64_u32 v[10:11], s[0:1], v15, s8, 0
	s_nop 0
	v_addc_co_u32_e32 v8, vcc, v9, v17, vcc
	v_mov_b32_e32 v9, v5
	s_nop 0
	v_addc_co_u32_e32 v11, vcc, 0, v11, vcc
	v_lshl_add_u64 v[8:9], v[8:9], 0, v[10:11]
	v_mul_lo_u32 v16, s7, v8
	v_mul_lo_u32 v17, s6, v9
	v_mad_u64_u32 v[10:11], s[0:1], s6, v8, 0
	v_add3_u32 v20, v11, v17, v16
	v_sub_u32_e32 v11, v15, v20
	v_mov_b32_e32 v16, s7
	v_sub_co_u32_e32 v19, vcc, v19, v10
	s_nop 1
	v_subb_co_u32_e64 v10, s[0:1], v11, v16, vcc
	v_subrev_co_u32_e64 v11, s[0:1], s6, v19
	v_subb_co_u32_e32 v15, vcc, v15, v20, vcc
	s_nop 0
	v_subbrev_co_u32_e64 v10, s[0:1], 0, v10, s[0:1]
	v_cmp_le_u32_e64 s[0:1], s7, v10
	v_cmp_le_u32_e32 vcc, s7, v15
	s_nop 0
	v_cndmask_b32_e64 v16, 0, -1, s[0:1]
	v_cmp_le_u32_e64 s[0:1], s6, v11
	s_nop 1
	v_cndmask_b32_e64 v11, 0, -1, s[0:1]
	v_cmp_eq_u32_e64 s[0:1], s7, v10
	s_nop 1
	v_cndmask_b32_e64 v21, v16, v11, s[0:1]
	v_lshl_add_u64 v[10:11], v[8:9], 0, 2
	v_lshl_add_u64 v[16:17], v[8:9], 0, 1
	v_cmp_ne_u32_e64 s[0:1], 0, v21
	s_nop 1
	v_cndmask_b32_e64 v11, v17, v11, s[0:1]
	v_cndmask_b32_e64 v17, 0, -1, vcc
	v_cmp_le_u32_e32 vcc, s6, v19
	v_cndmask_b32_e64 v10, v16, v10, s[0:1]
	s_nop 0
	v_cndmask_b32_e64 v19, 0, -1, vcc
	v_cmp_eq_u32_e32 vcc, s7, v15
	s_nop 1
	v_cndmask_b32_e32 v15, v17, v19, vcc
	v_cmp_ne_u32_e32 vcc, 0, v15
	s_nop 1
	v_cndmask_b32_e32 v8, v8, v10, vcc
	v_cndmask_b32_e32 v9, v9, v11, vcc
	v_xor_b32_e32 v8, v8, v14
	v_xor_b32_e32 v9, v9, v14
	v_sub_co_u32_e32 v10, vcc, v8, v14
                                        ; implicit-def: $vgpr8
	s_nop 1
	v_subb_co_u32_e32 v11, vcc, v9, v14, vcc
.LBB53_143:
	s_andn2_saveexec_b64 s[0:1], s[4:5]
	s_cbranch_execz .LBB53_145
; %bb.144:
	v_cvt_f32_u32_e32 v9, s3
	v_rcp_iflag_f32_e32 v9, v9
	s_nop 0
	v_mul_f32_e32 v9, 0x4f7ffffe, v9
	v_cvt_u32_f32_e32 v9, v9
	v_mul_lo_u32 v10, s12, v9
	v_mul_hi_u32 v10, v9, v10
	v_add_u32_e32 v9, v9, v10
	v_mul_hi_u32 v9, v8, v9
	v_mul_lo_u32 v10, v9, s3
	v_sub_u32_e32 v8, v8, v10
	v_add_u32_e32 v11, 1, v9
	v_subrev_u32_e32 v10, s3, v8
	v_cmp_le_u32_e32 vcc, s3, v8
	s_nop 1
	v_cndmask_b32_e32 v8, v8, v10, vcc
	v_cndmask_b32_e32 v9, v9, v11, vcc
	v_add_u32_e32 v10, 1, v9
	v_cmp_le_u32_e32 vcc, s3, v8
	v_mov_b32_e32 v11, 0
	s_nop 0
	v_cndmask_b32_e32 v10, v9, v10, vcc
.LBB53_145:
	s_or_b64 exec, exec, s[0:1]
	v_cmp_gt_i64_e32 vcc, s[26:27], v[4:5]
	v_mov_b32_e32 v14, 0
	s_and_saveexec_b64 s[0:1], vcc
	s_cbranch_execz .LBB53_153
; %bb.146:
	s_add_i32 s4, s3, -1
	v_and_b32_e32 v4, s4, v0
	s_mov_b64 s[4:5], 0
	v_cmp_lt_i64_e32 vcc, 0, v[10:11]
	v_mov_b32_e32 v14, 0
	v_lshlrev_b32_e32 v15, 2, v4
	s_and_saveexec_b64 s[6:7], vcc
	s_cbranch_execz .LBB53_150
; %bb.147:
	v_lshl_add_u32 v5, v2, 2, v15
	s_lshl_b32 s8, s3, 2
	v_mov_b32_e32 v14, 0
	v_mov_b64_e32 v[8:9], v[10:11]
.LBB53_148:                             ; =>This Inner Loop Header: Depth=1
	ds_read_b32 v16, v5
	v_lshl_add_u64 v[8:9], v[8:9], 0, -1
	v_cmp_eq_u64_e32 vcc, 0, v[8:9]
	v_add_u32_e32 v5, s8, v5
	s_or_b64 s[4:5], vcc, s[4:5]
	s_waitcnt lgkmcnt(0)
	v_add_u32_e32 v14, v16, v14
	s_andn2_b64 exec, exec, s[4:5]
	s_cbranch_execnz .LBB53_148
; %bb.149:
	s_or_b64 exec, exec, s[4:5]
.LBB53_150:
	s_or_b64 exec, exec, s[6:7]
	v_mad_u64_u32 v[2:3], s[4:5], v10, s3, v[2:3]
	v_mov_b32_e32 v8, v3
	v_mad_u64_u32 v[8:9], s[4:5], v11, s3, v[8:9]
	v_sub_co_u32_e32 v10, vcc, v12, v2
	v_mov_b32_e32 v5, 0
	s_nop 0
	v_subb_co_u32_e32 v11, vcc, v13, v8, vcc
	v_cmp_gt_i64_e32 vcc, v[10:11], v[4:5]
	s_and_saveexec_b64 s[4:5], vcc
	s_cbranch_execz .LBB53_152
; %bb.151:
	v_lshl_add_u32 v2, v2, 2, v15
	ds_read_b32 v2, v2
	s_waitcnt lgkmcnt(0)
	v_add_u32_e32 v14, v2, v14
.LBB53_152:
	s_or_b64 exec, exec, s[4:5]
.LBB53_153:
	s_or_b64 exec, exec, s[0:1]
	v_cmp_gt_i64_e32 vcc, s[26:27], v[0:1]
	s_barrier
	ds_write_b32 v18, v14
	s_waitcnt lgkmcnt(0)
	s_barrier
	s_and_saveexec_b64 s[0:1], vcc
	s_cbranch_execz .LBB53_160
; %bb.154:
	v_mul_lo_u32 v2, s3, v0
	s_and_b32 s0, s3, 0x7ffffffe
	v_lshlrev_b32_e32 v3, 2, v2
	v_mov_b32_e32 v1, 0
	s_mov_b32 s1, s0
	v_mov_b32_e32 v4, 0
.LBB53_155:                             ; =>This Inner Loop Header: Depth=1
	ds_read2_b32 v[8:9], v3 offset1:1
	s_add_i32 s1, s1, -2
	v_add_u32_e32 v3, 8, v3
	s_cmp_lg_u32 s1, 0
	s_waitcnt lgkmcnt(0)
	v_add_u32_e32 v4, v9, v4
	v_add_u32_e32 v1, v8, v1
	s_cbranch_scc1 .LBB53_155
; %bb.156:
	s_cmp_eq_u32 s3, s0
	v_add_u32_e32 v1, v1, v4
	s_cbranch_scc1 .LBB53_159
; %bb.157:
	s_lshl_b32 s1, s3, 2
	s_and_b32 s1, s1, -8
	s_sub_i32 s0, s3, s0
	v_lshl_add_u32 v2, v2, 2, s1
.LBB53_158:                             ; =>This Inner Loop Header: Depth=1
	ds_read_b32 v3, v2
	s_add_i32 s0, s0, -1
	v_add_u32_e32 v2, 4, v2
	s_cmp_eq_u32 s0, 0
	s_waitcnt lgkmcnt(0)
	v_add_u32_e32 v1, v3, v1
	s_cbranch_scc0 .LBB53_158
.LBB53_159:
	s_lshl_b32 s0, s2, 2
	s_addk_i32 s0, 0x1000
	v_lshl_add_u32 v0, v0, 2, s0
	ds_read_b32 v0, v0
	s_waitcnt lgkmcnt(0)
	v_add_u32_e32 v2, v0, v1
	v_lshl_add_u64 v[0:1], v[6:7], 2, s[24:25]
	global_atomic_add v[0:1], v2, off
.LBB53_160:
	s_endpgm
	.section	.rodata,"a",@progbits
	.p2align	6, 0x0
	.amdhsa_kernel _ZN9rocsparseL27csrmvn_symm_adaptive_kernelIllaaiiEEvbT_S1_PKS1_NS_24const_host_device_scalarIT4_EES3_PKT0_PKT1_PKT2_S6_PT3_21rocsparse_index_base_b
		.amdhsa_group_segment_fixed_size 4096
		.amdhsa_private_segment_fixed_size 0
		.amdhsa_kernarg_size 352
		.amdhsa_user_sgpr_count 2
		.amdhsa_user_sgpr_dispatch_ptr 0
		.amdhsa_user_sgpr_queue_ptr 0
		.amdhsa_user_sgpr_kernarg_segment_ptr 1
		.amdhsa_user_sgpr_dispatch_id 0
		.amdhsa_user_sgpr_kernarg_preload_length 0
		.amdhsa_user_sgpr_kernarg_preload_offset 0
		.amdhsa_user_sgpr_private_segment_size 0
		.amdhsa_uses_dynamic_stack 0
		.amdhsa_enable_private_segment 0
		.amdhsa_system_sgpr_workgroup_id_x 1
		.amdhsa_system_sgpr_workgroup_id_y 0
		.amdhsa_system_sgpr_workgroup_id_z 0
		.amdhsa_system_sgpr_workgroup_info 0
		.amdhsa_system_vgpr_workitem_id 0
		.amdhsa_next_free_vgpr 24
		.amdhsa_next_free_sgpr 52
		.amdhsa_accum_offset 24
		.amdhsa_reserve_vcc 1
		.amdhsa_float_round_mode_32 0
		.amdhsa_float_round_mode_16_64 0
		.amdhsa_float_denorm_mode_32 3
		.amdhsa_float_denorm_mode_16_64 3
		.amdhsa_dx10_clamp 1
		.amdhsa_ieee_mode 1
		.amdhsa_fp16_overflow 0
		.amdhsa_tg_split 0
		.amdhsa_exception_fp_ieee_invalid_op 0
		.amdhsa_exception_fp_denorm_src 0
		.amdhsa_exception_fp_ieee_div_zero 0
		.amdhsa_exception_fp_ieee_overflow 0
		.amdhsa_exception_fp_ieee_underflow 0
		.amdhsa_exception_fp_ieee_inexact 0
		.amdhsa_exception_int_div_zero 0
	.end_amdhsa_kernel
	.section	.text._ZN9rocsparseL27csrmvn_symm_adaptive_kernelIllaaiiEEvbT_S1_PKS1_NS_24const_host_device_scalarIT4_EES3_PKT0_PKT1_PKT2_S6_PT3_21rocsparse_index_base_b,"axG",@progbits,_ZN9rocsparseL27csrmvn_symm_adaptive_kernelIllaaiiEEvbT_S1_PKS1_NS_24const_host_device_scalarIT4_EES3_PKT0_PKT1_PKT2_S6_PT3_21rocsparse_index_base_b,comdat
.Lfunc_end53:
	.size	_ZN9rocsparseL27csrmvn_symm_adaptive_kernelIllaaiiEEvbT_S1_PKS1_NS_24const_host_device_scalarIT4_EES3_PKT0_PKT1_PKT2_S6_PT3_21rocsparse_index_base_b, .Lfunc_end53-_ZN9rocsparseL27csrmvn_symm_adaptive_kernelIllaaiiEEvbT_S1_PKS1_NS_24const_host_device_scalarIT4_EES3_PKT0_PKT1_PKT2_S6_PT3_21rocsparse_index_base_b
                                        ; -- End function
	.set _ZN9rocsparseL27csrmvn_symm_adaptive_kernelIllaaiiEEvbT_S1_PKS1_NS_24const_host_device_scalarIT4_EES3_PKT0_PKT1_PKT2_S6_PT3_21rocsparse_index_base_b.num_vgpr, 24
	.set _ZN9rocsparseL27csrmvn_symm_adaptive_kernelIllaaiiEEvbT_S1_PKS1_NS_24const_host_device_scalarIT4_EES3_PKT0_PKT1_PKT2_S6_PT3_21rocsparse_index_base_b.num_agpr, 0
	.set _ZN9rocsparseL27csrmvn_symm_adaptive_kernelIllaaiiEEvbT_S1_PKS1_NS_24const_host_device_scalarIT4_EES3_PKT0_PKT1_PKT2_S6_PT3_21rocsparse_index_base_b.numbered_sgpr, 52
	.set _ZN9rocsparseL27csrmvn_symm_adaptive_kernelIllaaiiEEvbT_S1_PKS1_NS_24const_host_device_scalarIT4_EES3_PKT0_PKT1_PKT2_S6_PT3_21rocsparse_index_base_b.num_named_barrier, 0
	.set _ZN9rocsparseL27csrmvn_symm_adaptive_kernelIllaaiiEEvbT_S1_PKS1_NS_24const_host_device_scalarIT4_EES3_PKT0_PKT1_PKT2_S6_PT3_21rocsparse_index_base_b.private_seg_size, 0
	.set _ZN9rocsparseL27csrmvn_symm_adaptive_kernelIllaaiiEEvbT_S1_PKS1_NS_24const_host_device_scalarIT4_EES3_PKT0_PKT1_PKT2_S6_PT3_21rocsparse_index_base_b.uses_vcc, 1
	.set _ZN9rocsparseL27csrmvn_symm_adaptive_kernelIllaaiiEEvbT_S1_PKS1_NS_24const_host_device_scalarIT4_EES3_PKT0_PKT1_PKT2_S6_PT3_21rocsparse_index_base_b.uses_flat_scratch, 0
	.set _ZN9rocsparseL27csrmvn_symm_adaptive_kernelIllaaiiEEvbT_S1_PKS1_NS_24const_host_device_scalarIT4_EES3_PKT0_PKT1_PKT2_S6_PT3_21rocsparse_index_base_b.has_dyn_sized_stack, 0
	.set _ZN9rocsparseL27csrmvn_symm_adaptive_kernelIllaaiiEEvbT_S1_PKS1_NS_24const_host_device_scalarIT4_EES3_PKT0_PKT1_PKT2_S6_PT3_21rocsparse_index_base_b.has_recursion, 0
	.set _ZN9rocsparseL27csrmvn_symm_adaptive_kernelIllaaiiEEvbT_S1_PKS1_NS_24const_host_device_scalarIT4_EES3_PKT0_PKT1_PKT2_S6_PT3_21rocsparse_index_base_b.has_indirect_call, 0
	.section	.AMDGPU.csdata,"",@progbits
; Kernel info:
; codeLenInByte = 7596
; TotalNumSgprs: 58
; NumVgprs: 24
; NumAgprs: 0
; TotalNumVgprs: 24
; ScratchSize: 0
; MemoryBound: 0
; FloatMode: 240
; IeeeMode: 1
; LDSByteSize: 4096 bytes/workgroup (compile time only)
; SGPRBlocks: 7
; VGPRBlocks: 2
; NumSGPRsForWavesPerEU: 58
; NumVGPRsForWavesPerEU: 24
; AccumOffset: 24
; Occupancy: 8
; WaveLimiterHint : 1
; COMPUTE_PGM_RSRC2:SCRATCH_EN: 0
; COMPUTE_PGM_RSRC2:USER_SGPR: 2
; COMPUTE_PGM_RSRC2:TRAP_HANDLER: 0
; COMPUTE_PGM_RSRC2:TGID_X_EN: 1
; COMPUTE_PGM_RSRC2:TGID_Y_EN: 0
; COMPUTE_PGM_RSRC2:TGID_Z_EN: 0
; COMPUTE_PGM_RSRC2:TIDIG_COMP_CNT: 0
; COMPUTE_PGM_RSRC3_GFX90A:ACCUM_OFFSET: 5
; COMPUTE_PGM_RSRC3_GFX90A:TG_SPLIT: 0
	.section	.text._ZL33csrmvn_symm_large_adaptive_kernelIllaaiiEvbT_PKS0_N9rocsparse24const_host_device_scalarIT4_EES2_PKT0_PKT1_PKT2_S6_PT3_21rocsparse_index_base_b,"axG",@progbits,_ZL33csrmvn_symm_large_adaptive_kernelIllaaiiEvbT_PKS0_N9rocsparse24const_host_device_scalarIT4_EES2_PKT0_PKT1_PKT2_S6_PT3_21rocsparse_index_base_b,comdat
	.globl	_ZL33csrmvn_symm_large_adaptive_kernelIllaaiiEvbT_PKS0_N9rocsparse24const_host_device_scalarIT4_EES2_PKT0_PKT1_PKT2_S6_PT3_21rocsparse_index_base_b ; -- Begin function _ZL33csrmvn_symm_large_adaptive_kernelIllaaiiEvbT_PKS0_N9rocsparse24const_host_device_scalarIT4_EES2_PKT0_PKT1_PKT2_S6_PT3_21rocsparse_index_base_b
	.p2align	8
	.type	_ZL33csrmvn_symm_large_adaptive_kernelIllaaiiEvbT_PKS0_N9rocsparse24const_host_device_scalarIT4_EES2_PKT0_PKT1_PKT2_S6_PT3_21rocsparse_index_base_b,@function
_ZL33csrmvn_symm_large_adaptive_kernelIllaaiiEvbT_PKS0_N9rocsparse24const_host_device_scalarIT4_EES2_PKT0_PKT1_PKT2_S6_PT3_21rocsparse_index_base_b: ; @_ZL33csrmvn_symm_large_adaptive_kernelIllaaiiEvbT_PKS0_N9rocsparse24const_host_device_scalarIT4_EES2_PKT0_PKT1_PKT2_S6_PT3_21rocsparse_index_base_b
; %bb.0:
	s_load_dwordx2 s[10:11], s[0:1], 0x50
	s_load_dwordx2 s[8:9], s[0:1], 0x18
	s_mov_b64 s[12:13], -1
	s_waitcnt lgkmcnt(0)
	s_bitcmp1_b32 s11, 0
	s_cselect_b64 s[4:5], -1, 0
	s_xor_b64 s[6:7], s[4:5], -1
	s_and_b64 vcc, exec, s[6:7]
                                        ; implicit-def: $sgpr11
	s_cbranch_vccnz .LBB54_4
; %bb.1:
	s_load_dwordx2 s[4:5], s[0:1], 0x40
	s_andn2_b64 vcc, exec, s[12:13]
	s_cbranch_vccz .LBB54_5
.LBB54_2:
	s_and_b64 vcc, exec, s[6:7]
	s_cbranch_vccz .LBB54_6
.LBB54_3:
	s_waitcnt lgkmcnt(0)
	s_load_dword s3, s[4:5], 0x0
	s_cbranch_execz .LBB54_7
	s_branch .LBB54_8
.LBB54_4:
	s_load_dword s11, s[8:9], 0x0
	s_load_dwordx2 s[4:5], s[0:1], 0x40
	s_cbranch_execnz .LBB54_2
.LBB54_5:
	s_waitcnt lgkmcnt(0)
	s_mov_b32 s11, s8
	s_and_b64 vcc, exec, s[6:7]
	s_cbranch_vccnz .LBB54_3
.LBB54_6:
                                        ; implicit-def: $sgpr3
.LBB54_7:
	s_waitcnt lgkmcnt(0)
	s_mov_b32 s3, s4
.LBB54_8:
	s_waitcnt lgkmcnt(0)
	s_cmp_lg_u32 s11, 0
	s_cselect_b64 s[4:5], -1, 0
	s_cmp_lg_u32 s3, 1
	s_cselect_b64 s[6:7], -1, 0
	s_or_b64 s[4:5], s[4:5], s[6:7]
	s_andn2_b64 vcc, exec, s[4:5]
	s_cbranch_vccnz .LBB54_38
; %bb.9:
	s_load_dwordx2 s[4:5], s[0:1], 0x10
	s_ashr_i32 s3, s2, 31
	s_lshl_b64 s[2:3], s[2:3], 3
	v_lshlrev_b32_e32 v8, 2, v0
	v_mov_b32_e32 v9, 0
	s_waitcnt lgkmcnt(0)
	s_add_u32 s2, s4, s2
	s_addc_u32 s3, s5, s3
	ds_write2st64_b32 v8, v9, v9 offset1:4
	ds_write2st64_b32 v8, v9, v9 offset0:8 offset1:12
	s_waitcnt lgkmcnt(0)
	s_barrier
	s_load_dwordx4 s[20:23], s[2:3], 0x0
	s_load_dwordx8 s[12:19], s[0:1], 0x20
	s_load_dwordx2 s[24:25], s[0:1], 0x48
	s_waitcnt lgkmcnt(0)
	v_mov_b64_e32 v[2:3], s[22:23]
	v_cmp_ge_i64_e32 vcc, s[20:21], v[2:3]
	v_subrev_co_u32_e64 v2, s[0:1], s10, v0
	s_nop 1
	v_subb_co_u32_e64 v3, s[0:1], 0, 0, s[0:1]
	s_cbranch_vccnz .LBB54_29
; %bb.10:
	s_movk_i32 s0, 0x100
	v_cmp_gt_u32_e64 s[0:1], s0, v0
	v_cmp_gt_u32_e64 s[2:3], 64, v0
	;; [unrolled: 1-line block ×4, first 2 shown]
	v_cmp_eq_u32_e64 s[8:9], 0, v0
	s_mov_b64 s[26:27], 0x100
	s_mov_b64 s[28:29], 0x800
	v_mov_b64_e32 v[0:1], s[22:23]
	s_mov_b64 s[30:31], s[20:21]
	s_branch .LBB54_12
.LBB54_11:                              ;   in Loop: Header=BB54_12 Depth=1
	s_or_b64 exec, exec, s[34:35]
	s_add_u32 s30, s30, 1
	s_addc_u32 s31, s31, 0
	v_cmp_ge_i64_e32 vcc, s[30:31], v[0:1]
	s_cbranch_vccnz .LBB54_29
.LBB54_12:                              ; =>This Loop Header: Depth=1
                                        ;     Child Loop BB54_14 Depth 2
	s_lshl_b64 s[34:35], s[30:31], 3
	s_add_u32 s34, s12, s34
	s_addc_u32 s35, s13, s35
	s_load_dwordx4 s[36:39], s[34:35], 0x0
	v_mov_b32_e32 v10, 0
	s_waitcnt lgkmcnt(0)
	s_sub_u32 s34, s38, s10
	v_lshl_add_u64 v[4:5], s[36:37], 0, v[2:3]
	s_subb_u32 s35, s39, 0
	v_cmp_gt_i64_e32 vcc, s[34:35], v[4:5]
	s_and_saveexec_b64 s[36:37], vcc
	s_cbranch_execz .LBB54_16
; %bb.13:                               ;   in Loop: Header=BB54_12 Depth=1
	v_lshl_add_u64 v[6:7], v[4:5], 3, s[14:15]
	v_mov_b32_e32 v10, 0
	s_mov_b64 s[38:39], 0
.LBB54_14:                              ;   Parent Loop BB54_12 Depth=1
                                        ; =>  This Inner Loop Header: Depth=2
	global_load_dwordx2 v[12:13], v[6:7], off
	v_lshl_add_u64 v[14:15], s[16:17], 0, v[4:5]
	global_load_sbyte v11, v[14:15], off
	v_lshl_add_u64 v[4:5], v[4:5], 0, s[26:27]
	v_lshl_add_u64 v[6:7], v[6:7], 0, s[28:29]
	s_waitcnt vmcnt(1)
	v_subrev_co_u32_e32 v12, vcc, s10, v12
	s_nop 1
	v_subbrev_co_u32_e32 v13, vcc, 0, v13, vcc
	v_lshl_add_u64 v[12:13], s[18:19], 0, v[12:13]
	global_load_sbyte v12, v[12:13], off
	v_cmp_le_i64_e32 vcc, s[34:35], v[4:5]
	s_or_b64 s[38:39], vcc, s[38:39]
	s_waitcnt vmcnt(0)
	v_mad_i32_i24 v10, v12, v11, v10
	s_andn2_b64 exec, exec, s[38:39]
	s_cbranch_execnz .LBB54_14
; %bb.15:                               ;   in Loop: Header=BB54_12 Depth=1
	s_or_b64 exec, exec, s[38:39]
.LBB54_16:                              ;   in Loop: Header=BB54_12 Depth=1
	s_or_b64 exec, exec, s[36:37]
	ds_write_b32 v8, v10
	s_waitcnt lgkmcnt(0)
	s_barrier
	s_and_saveexec_b64 s[34:35], s[0:1]
	s_cbranch_execz .LBB54_18
; %bb.17:                               ;   in Loop: Header=BB54_12 Depth=1
	ds_read2st64_b32 v[4:5], v8 offset1:4
	ds_read2st64_b32 v[6:7], v8 offset0:8 offset1:12
	s_waitcnt lgkmcnt(0)
	v_add_u32_e32 v5, v6, v5
	v_add3_u32 v4, v5, v7, v4
	ds_write_b32 v8, v4
.LBB54_18:                              ;   in Loop: Header=BB54_12 Depth=1
	s_or_b64 exec, exec, s[34:35]
	s_waitcnt lgkmcnt(0)
	s_barrier
	s_and_saveexec_b64 s[34:35], s[2:3]
	s_cbranch_execz .LBB54_20
; %bb.19:                               ;   in Loop: Header=BB54_12 Depth=1
	ds_read2st64_b32 v[4:5], v8 offset1:1
	ds_read2st64_b32 v[6:7], v8 offset0:2 offset1:3
	s_waitcnt lgkmcnt(0)
	v_add_u32_e32 v5, v6, v5
	v_add3_u32 v4, v5, v7, v4
	ds_write_b32 v8, v4
.LBB54_20:                              ;   in Loop: Header=BB54_12 Depth=1
	s_or_b64 exec, exec, s[34:35]
	s_waitcnt lgkmcnt(0)
	s_barrier
	s_and_saveexec_b64 s[34:35], s[4:5]
	s_cbranch_execz .LBB54_22
; %bb.21:                               ;   in Loop: Header=BB54_12 Depth=1
	ds_read2_b32 v[4:5], v8 offset1:16
	ds_read2_b32 v[6:7], v8 offset0:32 offset1:48
	s_waitcnt lgkmcnt(0)
	v_add_u32_e32 v5, v6, v5
	v_add3_u32 v4, v5, v7, v4
	ds_write_b32 v8, v4
.LBB54_22:                              ;   in Loop: Header=BB54_12 Depth=1
	s_or_b64 exec, exec, s[34:35]
	s_waitcnt lgkmcnt(0)
	s_barrier
	s_and_saveexec_b64 s[34:35], s[6:7]
	s_cbranch_execz .LBB54_24
; %bb.23:                               ;   in Loop: Header=BB54_12 Depth=1
	ds_read2_b32 v[4:5], v8 offset1:4
	ds_read2_b32 v[6:7], v8 offset0:8 offset1:12
	s_waitcnt lgkmcnt(0)
	v_add_u32_e32 v5, v6, v5
	v_add3_u32 v4, v5, v7, v4
	ds_write_b32 v8, v4
.LBB54_24:                              ;   in Loop: Header=BB54_12 Depth=1
	s_or_b64 exec, exec, s[34:35]
	s_waitcnt lgkmcnt(0)
	s_barrier
	s_and_saveexec_b64 s[34:35], s[8:9]
	s_cbranch_execz .LBB54_26
; %bb.25:                               ;   in Loop: Header=BB54_12 Depth=1
	ds_read2_b32 v[4:5], v9 offset0:1 offset1:2
	ds_read_b32 v6, v9 offset:12
	ds_read_b32 v7, v8
	s_waitcnt lgkmcnt(2)
	v_add_u32_e32 v4, v5, v4
	s_waitcnt lgkmcnt(1)
	v_add_u32_e32 v4, v4, v6
	;; [unrolled: 2-line block ×3, first 2 shown]
	ds_write_b32 v8, v4
.LBB54_26:                              ;   in Loop: Header=BB54_12 Depth=1
	s_or_b64 exec, exec, s[34:35]
	s_waitcnt lgkmcnt(0)
	s_barrier
	s_and_saveexec_b64 s[34:35], s[8:9]
	s_cbranch_execz .LBB54_11
; %bb.27:                               ;   in Loop: Header=BB54_12 Depth=1
	s_mov_b64 s[36:37], exec
	v_mbcnt_lo_u32_b32 v4, s36, 0
	v_mbcnt_hi_u32_b32 v4, s37, v4
	v_cmp_eq_u32_e32 vcc, 0, v4
	s_and_b64 s[38:39], exec, vcc
	s_mov_b64 exec, s[38:39]
	s_cbranch_execz .LBB54_11
; %bb.28:                               ;   in Loop: Header=BB54_12 Depth=1
	ds_read_b32 v4, v9
	s_lshl_b64 s[38:39], s[30:31], 2
	s_add_u32 s38, s24, s38
	s_addc_u32 s39, s25, s39
	s_bcnt1_i32_b64 s33, s[36:37]
	s_waitcnt lgkmcnt(0)
	v_mul_lo_u32 v4, v4, s11
	v_mul_lo_u32 v4, v4, s33
	global_atomic_add v9, v4, s[38:39]
	s_branch .LBB54_11
.LBB54_29:
	s_lshl_b64 s[0:1], s[20:21], 3
	s_add_u32 s0, s12, s0
	s_addc_u32 s1, s13, s1
	s_lshl_b64 s[2:3], s[22:23], 3
	s_add_u32 s2, s12, s2
	s_addc_u32 s3, s13, s3
	s_load_dwordx2 s[4:5], s[2:3], 0x0
	s_load_dwordx2 s[6:7], s[0:1], 0x0
	s_waitcnt lgkmcnt(0)
	s_sub_u32 s4, s4, s10
	s_subb_u32 s5, s5, 0
	v_lshl_add_u64 v[0:1], s[6:7], 0, v[2:3]
	v_cmp_gt_i64_e32 vcc, s[4:5], v[0:1]
	s_and_saveexec_b64 s[0:1], vcc
	s_cbranch_execz .LBB54_38
; %bb.30:
	s_add_u32 s6, s22, -1
	s_addc_u32 s7, s23, -1
	s_add_u32 s0, s22, -2
	s_addc_u32 s1, s23, -1
	v_mov_b64_e32 v[2:3], s[6:7]
	s_cmp_lg_u64 s[20:21], s[0:1]
	v_cmp_lt_i64_e32 vcc, s[20:21], v[2:3]
	s_cselect_b64 s[0:1], -1, 0
	s_and_b64 s[0:1], vcc, s[0:1]
	v_cndmask_b32_e64 v2, 0, 1, s[0:1]
	s_mov_b64 s[8:9], 0
	v_cmp_ne_u32_e64 s[0:1], 1, v2
	v_mov_b32_e32 v3, 0
	s_mov_b64 s[22:23], 0x100
	s_branch .LBB54_32
.LBB54_31:                              ;   in Loop: Header=BB54_32 Depth=1
	s_or_b64 exec, exec, s[2:3]
	v_lshl_add_u64 v[0:1], v[0:1], 0, s[22:23]
	v_cmp_le_i64_e32 vcc, s[4:5], v[0:1]
	s_or_b64 s[8:9], vcc, s[8:9]
	s_andn2_b64 exec, exec, s[8:9]
	s_cbranch_execz .LBB54_38
.LBB54_32:                              ; =>This Loop Header: Depth=1
                                        ;     Child Loop BB54_34 Depth 2
	s_and_b64 vcc, exec, s[0:1]
	v_mov_b64_e32 v[4:5], s[20:21]
	v_mov_b64_e32 v[6:7], s[6:7]
	s_cbranch_vccnz .LBB54_36
; %bb.33:                               ;   in Loop: Header=BB54_32 Depth=1
	s_mov_b64 s[26:27], 0
	v_mov_b64_e32 v[4:5], s[20:21]
	v_mov_b64_e32 v[6:7], s[6:7]
.LBB54_34:                              ;   Parent Loop BB54_32 Depth=1
                                        ; =>  This Inner Loop Header: Depth=2
	v_lshl_add_u64 v[8:9], v[6:7], 0, v[4:5]
	v_lshrrev_b32_e32 v2, 31, v9
	v_lshl_add_u64 v[8:9], v[8:9], 0, v[2:3]
	v_ashrrev_i64 v[8:9], 1, v[8:9]
	v_lshl_add_u64 v[10:11], v[8:9], 3, s[12:13]
	global_load_dwordx2 v[10:11], v[10:11], off
	s_waitcnt vmcnt(0)
	v_subrev_co_u32_e32 v10, vcc, s10, v10
	s_nop 1
	v_subbrev_co_u32_e32 v11, vcc, 0, v11, vcc
	v_cmp_lt_i64_e32 vcc, v[0:1], v[10:11]
	s_nop 1
	v_cndmask_b32_e32 v7, v7, v9, vcc
	v_cndmask_b32_e32 v6, v6, v8, vcc
	;; [unrolled: 1-line block ×4, first 2 shown]
	v_lshl_add_u64 v[8:9], v[6:7], 0, -1
	v_cmp_ge_i64_e32 vcc, v[4:5], v[6:7]
	v_cmp_eq_u64_e64 s[2:3], v[4:5], v[8:9]
	s_or_b64 s[2:3], vcc, s[2:3]
	s_and_b64 s[2:3], exec, s[2:3]
	s_or_b64 s[26:27], s[2:3], s[26:27]
	s_andn2_b64 exec, exec, s[26:27]
	s_cbranch_execnz .LBB54_34
; %bb.35:                               ;   in Loop: Header=BB54_32 Depth=1
	s_or_b64 exec, exec, s[26:27]
.LBB54_36:                              ;   in Loop: Header=BB54_32 Depth=1
	v_lshl_add_u64 v[8:9], v[6:7], 3, s[12:13]
	global_load_dwordx2 v[8:9], v[8:9], off
	v_lshl_add_u64 v[10:11], v[0:1], 3, s[14:15]
	global_load_dwordx2 v[10:11], v[10:11], off
	s_waitcnt vmcnt(1)
	v_subrev_co_u32_e32 v8, vcc, s10, v8
	s_nop 1
	v_subbrev_co_u32_e32 v9, vcc, 0, v9, vcc
	v_cmp_lt_i64_e32 vcc, v[0:1], v[8:9]
	s_nop 1
	v_cndmask_b32_e32 v7, v7, v5, vcc
	v_cndmask_b32_e32 v6, v6, v4, vcc
	s_waitcnt vmcnt(0)
	v_subrev_co_u32_e32 v4, vcc, s10, v10
	s_nop 1
	v_subbrev_co_u32_e32 v5, vcc, 0, v11, vcc
	v_cmp_ne_u64_e32 vcc, v[4:5], v[6:7]
	s_and_saveexec_b64 s[2:3], vcc
	s_cbranch_execz .LBB54_31
; %bb.37:                               ;   in Loop: Header=BB54_32 Depth=1
	v_lshl_add_u64 v[8:9], s[16:17], 0, v[0:1]
	global_load_sbyte v2, v[8:9], off
	v_lshl_add_u64 v[6:7], s[18:19], 0, v[6:7]
	global_load_sbyte v6, v[6:7], off
	v_lshl_add_u64 v[4:5], v[4:5], 2, s[24:25]
	s_waitcnt vmcnt(1)
	v_mul_lo_u32 v2, s11, v2
	s_waitcnt vmcnt(0)
	v_mul_lo_u32 v2, v2, v6
	global_atomic_add v[4:5], v2, off
	s_branch .LBB54_31
.LBB54_38:
	s_endpgm
	.section	.rodata,"a",@progbits
	.p2align	6, 0x0
	.amdhsa_kernel _ZL33csrmvn_symm_large_adaptive_kernelIllaaiiEvbT_PKS0_N9rocsparse24const_host_device_scalarIT4_EES2_PKT0_PKT1_PKT2_S6_PT3_21rocsparse_index_base_b
		.amdhsa_group_segment_fixed_size 4096
		.amdhsa_private_segment_fixed_size 0
		.amdhsa_kernarg_size 88
		.amdhsa_user_sgpr_count 2
		.amdhsa_user_sgpr_dispatch_ptr 0
		.amdhsa_user_sgpr_queue_ptr 0
		.amdhsa_user_sgpr_kernarg_segment_ptr 1
		.amdhsa_user_sgpr_dispatch_id 0
		.amdhsa_user_sgpr_kernarg_preload_length 0
		.amdhsa_user_sgpr_kernarg_preload_offset 0
		.amdhsa_user_sgpr_private_segment_size 0
		.amdhsa_uses_dynamic_stack 0
		.amdhsa_enable_private_segment 0
		.amdhsa_system_sgpr_workgroup_id_x 1
		.amdhsa_system_sgpr_workgroup_id_y 0
		.amdhsa_system_sgpr_workgroup_id_z 0
		.amdhsa_system_sgpr_workgroup_info 0
		.amdhsa_system_vgpr_workitem_id 0
		.amdhsa_next_free_vgpr 16
		.amdhsa_next_free_sgpr 40
		.amdhsa_accum_offset 16
		.amdhsa_reserve_vcc 1
		.amdhsa_float_round_mode_32 0
		.amdhsa_float_round_mode_16_64 0
		.amdhsa_float_denorm_mode_32 3
		.amdhsa_float_denorm_mode_16_64 3
		.amdhsa_dx10_clamp 1
		.amdhsa_ieee_mode 1
		.amdhsa_fp16_overflow 0
		.amdhsa_tg_split 0
		.amdhsa_exception_fp_ieee_invalid_op 0
		.amdhsa_exception_fp_denorm_src 0
		.amdhsa_exception_fp_ieee_div_zero 0
		.amdhsa_exception_fp_ieee_overflow 0
		.amdhsa_exception_fp_ieee_underflow 0
		.amdhsa_exception_fp_ieee_inexact 0
		.amdhsa_exception_int_div_zero 0
	.end_amdhsa_kernel
	.section	.text._ZL33csrmvn_symm_large_adaptive_kernelIllaaiiEvbT_PKS0_N9rocsparse24const_host_device_scalarIT4_EES2_PKT0_PKT1_PKT2_S6_PT3_21rocsparse_index_base_b,"axG",@progbits,_ZL33csrmvn_symm_large_adaptive_kernelIllaaiiEvbT_PKS0_N9rocsparse24const_host_device_scalarIT4_EES2_PKT0_PKT1_PKT2_S6_PT3_21rocsparse_index_base_b,comdat
.Lfunc_end54:
	.size	_ZL33csrmvn_symm_large_adaptive_kernelIllaaiiEvbT_PKS0_N9rocsparse24const_host_device_scalarIT4_EES2_PKT0_PKT1_PKT2_S6_PT3_21rocsparse_index_base_b, .Lfunc_end54-_ZL33csrmvn_symm_large_adaptive_kernelIllaaiiEvbT_PKS0_N9rocsparse24const_host_device_scalarIT4_EES2_PKT0_PKT1_PKT2_S6_PT3_21rocsparse_index_base_b
                                        ; -- End function
	.set _ZL33csrmvn_symm_large_adaptive_kernelIllaaiiEvbT_PKS0_N9rocsparse24const_host_device_scalarIT4_EES2_PKT0_PKT1_PKT2_S6_PT3_21rocsparse_index_base_b.num_vgpr, 16
	.set _ZL33csrmvn_symm_large_adaptive_kernelIllaaiiEvbT_PKS0_N9rocsparse24const_host_device_scalarIT4_EES2_PKT0_PKT1_PKT2_S6_PT3_21rocsparse_index_base_b.num_agpr, 0
	.set _ZL33csrmvn_symm_large_adaptive_kernelIllaaiiEvbT_PKS0_N9rocsparse24const_host_device_scalarIT4_EES2_PKT0_PKT1_PKT2_S6_PT3_21rocsparse_index_base_b.numbered_sgpr, 40
	.set _ZL33csrmvn_symm_large_adaptive_kernelIllaaiiEvbT_PKS0_N9rocsparse24const_host_device_scalarIT4_EES2_PKT0_PKT1_PKT2_S6_PT3_21rocsparse_index_base_b.num_named_barrier, 0
	.set _ZL33csrmvn_symm_large_adaptive_kernelIllaaiiEvbT_PKS0_N9rocsparse24const_host_device_scalarIT4_EES2_PKT0_PKT1_PKT2_S6_PT3_21rocsparse_index_base_b.private_seg_size, 0
	.set _ZL33csrmvn_symm_large_adaptive_kernelIllaaiiEvbT_PKS0_N9rocsparse24const_host_device_scalarIT4_EES2_PKT0_PKT1_PKT2_S6_PT3_21rocsparse_index_base_b.uses_vcc, 1
	.set _ZL33csrmvn_symm_large_adaptive_kernelIllaaiiEvbT_PKS0_N9rocsparse24const_host_device_scalarIT4_EES2_PKT0_PKT1_PKT2_S6_PT3_21rocsparse_index_base_b.uses_flat_scratch, 0
	.set _ZL33csrmvn_symm_large_adaptive_kernelIllaaiiEvbT_PKS0_N9rocsparse24const_host_device_scalarIT4_EES2_PKT0_PKT1_PKT2_S6_PT3_21rocsparse_index_base_b.has_dyn_sized_stack, 0
	.set _ZL33csrmvn_symm_large_adaptive_kernelIllaaiiEvbT_PKS0_N9rocsparse24const_host_device_scalarIT4_EES2_PKT0_PKT1_PKT2_S6_PT3_21rocsparse_index_base_b.has_recursion, 0
	.set _ZL33csrmvn_symm_large_adaptive_kernelIllaaiiEvbT_PKS0_N9rocsparse24const_host_device_scalarIT4_EES2_PKT0_PKT1_PKT2_S6_PT3_21rocsparse_index_base_b.has_indirect_call, 0
	.section	.AMDGPU.csdata,"",@progbits
; Kernel info:
; codeLenInByte = 1488
; TotalNumSgprs: 46
; NumVgprs: 16
; NumAgprs: 0
; TotalNumVgprs: 16
; ScratchSize: 0
; MemoryBound: 0
; FloatMode: 240
; IeeeMode: 1
; LDSByteSize: 4096 bytes/workgroup (compile time only)
; SGPRBlocks: 5
; VGPRBlocks: 1
; NumSGPRsForWavesPerEU: 46
; NumVGPRsForWavesPerEU: 16
; AccumOffset: 16
; Occupancy: 8
; WaveLimiterHint : 1
; COMPUTE_PGM_RSRC2:SCRATCH_EN: 0
; COMPUTE_PGM_RSRC2:USER_SGPR: 2
; COMPUTE_PGM_RSRC2:TRAP_HANDLER: 0
; COMPUTE_PGM_RSRC2:TGID_X_EN: 1
; COMPUTE_PGM_RSRC2:TGID_Y_EN: 0
; COMPUTE_PGM_RSRC2:TGID_Z_EN: 0
; COMPUTE_PGM_RSRC2:TIDIG_COMP_CNT: 0
; COMPUTE_PGM_RSRC3_GFX90A:ACCUM_OFFSET: 3
; COMPUTE_PGM_RSRC3_GFX90A:TG_SPLIT: 0
	.section	.text._ZN9rocsparseL22csrmvn_adaptive_kernelIiiaaffEEvbT_PKS1_PjPKT0_NS_24const_host_device_scalarIT4_EES3_S7_PKT1_PKT2_SA_PT3_21rocsparse_index_base_b,"axG",@progbits,_ZN9rocsparseL22csrmvn_adaptive_kernelIiiaaffEEvbT_PKS1_PjPKT0_NS_24const_host_device_scalarIT4_EES3_S7_PKT1_PKT2_SA_PT3_21rocsparse_index_base_b,comdat
	.globl	_ZN9rocsparseL22csrmvn_adaptive_kernelIiiaaffEEvbT_PKS1_PjPKT0_NS_24const_host_device_scalarIT4_EES3_S7_PKT1_PKT2_SA_PT3_21rocsparse_index_base_b ; -- Begin function _ZN9rocsparseL22csrmvn_adaptive_kernelIiiaaffEEvbT_PKS1_PjPKT0_NS_24const_host_device_scalarIT4_EES3_S7_PKT1_PKT2_SA_PT3_21rocsparse_index_base_b
	.p2align	8
	.type	_ZN9rocsparseL22csrmvn_adaptive_kernelIiiaaffEEvbT_PKS1_PjPKT0_NS_24const_host_device_scalarIT4_EES3_S7_PKT1_PKT2_SA_PT3_21rocsparse_index_base_b,@function
_ZN9rocsparseL22csrmvn_adaptive_kernelIiiaaffEEvbT_PKS1_PjPKT0_NS_24const_host_device_scalarIT4_EES3_S7_PKT1_PKT2_SA_PT3_21rocsparse_index_base_b: ; @_ZN9rocsparseL22csrmvn_adaptive_kernelIiiaaffEEvbT_PKS1_PjPKT0_NS_24const_host_device_scalarIT4_EES3_S7_PKT1_PKT2_SA_PT3_21rocsparse_index_base_b
; %bb.0:
	s_load_dwordx2 s[42:43], s[0:1], 0x58
	s_load_dwordx2 s[40:41], s[0:1], 0x20
	;; [unrolled: 1-line block ×3, first 2 shown]
	s_waitcnt lgkmcnt(0)
	s_bitcmp1_b32 s43, 0
	s_cselect_b64 s[6:7], -1, 0
	s_xor_b64 s[4:5], s[6:7], -1
	s_and_b64 vcc, exec, s[6:7]
	s_cbranch_vccnz .LBB55_2
; %bb.1:
	s_load_dword s40, s[40:41], 0x0
.LBB55_2:
	s_andn2_b64 vcc, exec, s[4:5]
	s_cbranch_vccnz .LBB55_4
; %bb.3:
	s_load_dword s22, s[22:23], 0x0
.LBB55_4:
	s_waitcnt lgkmcnt(0)
	v_cmp_neq_f32_e64 s[4:5], s40, 0
	v_cmp_neq_f32_e64 s[6:7], s22, 1.0
	s_or_b64 s[4:5], s[4:5], s[6:7]
	s_andn2_b64 vcc, exec, s[4:5]
	s_cbranch_vccnz .LBB55_121
; %bb.5:
	s_load_dwordx2 s[4:5], s[0:1], 0x8
	s_load_dwordx2 s[6:7], s[0:1], 0x18
	s_ashr_i32 s3, s2, 31
	s_lshl_b64 s[46:47], s[2:3], 2
	s_waitcnt lgkmcnt(0)
	s_add_u32 s4, s4, s46
	s_addc_u32 s5, s5, s47
	s_load_dwordx2 s[36:37], s[4:5], 0x0
	s_load_dwordx2 s[34:35], s[0:1], 0x50
	s_load_dwordx8 s[24:31], s[0:1], 0x28
	s_waitcnt lgkmcnt(0)
	s_sub_i32 s3, s37, s36
	s_add_u32 s6, s6, s46
	s_mov_b32 s4, s36
	s_addc_u32 s7, s7, s47
	s_ashr_i32 s5, s36, 31
	s_lshl_b64 s[44:45], s[4:5], 2
	s_add_u32 s38, s24, s44
	s_addc_u32 s39, s25, s45
	s_load_dword s23, s[6:7], 0x0
	s_load_dword s33, s[38:39], 0x0
	s_cmp_lt_i32 s3, 2
	s_mov_b64 s[4:5], -1
	s_cbranch_scc0 .LBB55_70
; %bb.6:
	s_cmp_lg_u32 s3, 1
	s_cselect_b64 s[4:5], -1, 0
	s_waitcnt lgkmcnt(0)
	s_cmp_lg_u32 s23, 0
	s_cselect_b64 s[6:7], -1, 0
	s_or_b64 s[4:5], s[4:5], s[6:7]
	s_mov_b64 s[18:19], -1
	s_and_b64 vcc, exec, s[4:5]
	v_cmp_gt_u32_e64 s[4:5], 64, v0
	v_cmp_gt_u32_e64 s[6:7], 32, v0
	;; [unrolled: 1-line block ×6, first 2 shown]
	v_cmp_eq_u32_e64 s[16:17], 0, v0
	s_cbranch_vccnz .LBB55_34
; %bb.7:
	v_cmp_neq_f32_e64 s[20:21], s22, 0
	s_movk_i32 s3, 0x80
	v_subrev_u32_e32 v1, s42, v0
	v_cndmask_b32_e64 v2, 0, 1, s[20:21]
	v_lshlrev_b32_e32 v8, 2, v0
	v_cmp_gt_u32_e64 s[18:19], s3, v0
	s_mov_b64 s[48:49], 0x100
	s_mov_b64 s[50:51], 0x400
	v_mov_b32_e32 v9, 0
	v_cmp_ne_u32_e64 s[20:21], 1, v2
	s_mov_b32 s52, s36
	s_branch .LBB55_10
.LBB55_8:                               ;   in Loop: Header=BB55_10 Depth=1
	s_add_u32 s54, s34, s54
	s_addc_u32 s55, s35, s55
	s_waitcnt lgkmcnt(0)
	global_store_dword v9, v2, s[54:55]
.LBB55_9:                               ;   in Loop: Header=BB55_10 Depth=1
	s_or_b64 exec, exec, s[56:57]
	s_add_i32 s52, s52, 1
	s_cmp_ge_i32 s52, s37
	s_cbranch_scc1 .LBB55_33
.LBB55_10:                              ; =>This Loop Header: Depth=1
                                        ;     Child Loop BB55_12 Depth 2
	s_ashr_i32 s53, s52, 31
	s_lshl_b64 s[54:55], s[52:53], 2
	s_add_u32 s56, s24, s54
	s_addc_u32 s57, s25, s55
	s_load_dwordx2 s[58:59], s[56:57], 0x0
	v_mov_b32_e32 v3, 0
	s_waitcnt lgkmcnt(0)
	s_sub_i32 s3, s59, s42
	v_add_u32_e32 v2, s58, v1
	v_cmp_gt_i32_e32 vcc, s3, v2
	s_and_saveexec_b64 s[56:57], vcc
	s_cbranch_execz .LBB55_14
; %bb.11:                               ;   in Loop: Header=BB55_10 Depth=1
	v_ashrrev_i32_e32 v3, 31, v2
	v_lshl_add_u64 v[4:5], s[28:29], 0, v[2:3]
	v_lshl_add_u64 v[6:7], v[2:3], 2, s[26:27]
	v_mov_b32_e32 v3, 0
	s_mov_b64 s[58:59], 0
.LBB55_12:                              ;   Parent Loop BB55_10 Depth=1
                                        ; =>  This Inner Loop Header: Depth=2
	global_load_dword v10, v[6:7], off
	global_load_sbyte v12, v[4:5], off
	v_add_u32_e32 v2, 0x100, v2
	v_cmp_le_i32_e32 vcc, s3, v2
	v_lshl_add_u64 v[4:5], v[4:5], 0, s[48:49]
	v_lshl_add_u64 v[6:7], v[6:7], 0, s[50:51]
	s_or_b64 s[58:59], vcc, s[58:59]
	s_waitcnt vmcnt(1)
	v_subrev_u32_e32 v10, s42, v10
	v_ashrrev_i32_e32 v11, 31, v10
	v_lshl_add_u64 v[10:11], s[30:31], 0, v[10:11]
	global_load_sbyte v10, v[10:11], off
	s_waitcnt vmcnt(1)
	v_cvt_f32_i32_e32 v11, v12
	v_mul_f32_e32 v11, s40, v11
	s_waitcnt vmcnt(0)
	v_cvt_f32_i32_e32 v10, v10
	v_fmac_f32_e32 v3, v11, v10
	s_andn2_b64 exec, exec, s[58:59]
	s_cbranch_execnz .LBB55_12
; %bb.13:                               ;   in Loop: Header=BB55_10 Depth=1
	s_or_b64 exec, exec, s[58:59]
.LBB55_14:                              ;   in Loop: Header=BB55_10 Depth=1
	s_or_b64 exec, exec, s[56:57]
	ds_write_b32 v8, v3
	s_waitcnt lgkmcnt(0)
	s_barrier
	s_and_saveexec_b64 s[56:57], s[18:19]
	s_cbranch_execz .LBB55_16
; %bb.15:                               ;   in Loop: Header=BB55_10 Depth=1
	ds_read2st64_b32 v[2:3], v8 offset1:2
	s_waitcnt lgkmcnt(0)
	v_add_f32_e32 v2, v2, v3
	ds_write_b32 v8, v2
.LBB55_16:                              ;   in Loop: Header=BB55_10 Depth=1
	s_or_b64 exec, exec, s[56:57]
	s_waitcnt lgkmcnt(0)
	s_barrier
	s_and_saveexec_b64 s[56:57], s[4:5]
	s_cbranch_execz .LBB55_18
; %bb.17:                               ;   in Loop: Header=BB55_10 Depth=1
	ds_read2st64_b32 v[2:3], v8 offset1:1
	s_waitcnt lgkmcnt(0)
	v_add_f32_e32 v2, v2, v3
	ds_write_b32 v8, v2
.LBB55_18:                              ;   in Loop: Header=BB55_10 Depth=1
	s_or_b64 exec, exec, s[56:57]
	s_waitcnt lgkmcnt(0)
	s_barrier
	s_and_saveexec_b64 s[56:57], s[6:7]
	s_cbranch_execz .LBB55_20
; %bb.19:                               ;   in Loop: Header=BB55_10 Depth=1
	ds_read2_b32 v[2:3], v8 offset1:32
	s_waitcnt lgkmcnt(0)
	v_add_f32_e32 v2, v2, v3
	ds_write_b32 v8, v2
.LBB55_20:                              ;   in Loop: Header=BB55_10 Depth=1
	s_or_b64 exec, exec, s[56:57]
	s_waitcnt lgkmcnt(0)
	s_barrier
	s_and_saveexec_b64 s[56:57], s[8:9]
	s_cbranch_execz .LBB55_22
; %bb.21:                               ;   in Loop: Header=BB55_10 Depth=1
	ds_read2_b32 v[2:3], v8 offset1:16
	s_waitcnt lgkmcnt(0)
	v_add_f32_e32 v2, v2, v3
	ds_write_b32 v8, v2
.LBB55_22:                              ;   in Loop: Header=BB55_10 Depth=1
	;; [unrolled: 11-line block ×5, first 2 shown]
	s_or_b64 exec, exec, s[56:57]
	s_waitcnt lgkmcnt(0)
	s_barrier
	s_and_saveexec_b64 s[56:57], s[16:17]
	s_cbranch_execz .LBB55_30
; %bb.29:                               ;   in Loop: Header=BB55_10 Depth=1
	ds_read_b64 v[2:3], v9
	s_waitcnt lgkmcnt(0)
	v_add_f32_e32 v2, v2, v3
	ds_write_b32 v9, v2
.LBB55_30:                              ;   in Loop: Header=BB55_10 Depth=1
	s_or_b64 exec, exec, s[56:57]
	s_waitcnt lgkmcnt(0)
	s_barrier
	s_and_saveexec_b64 s[56:57], s[16:17]
	s_cbranch_execz .LBB55_9
; %bb.31:                               ;   in Loop: Header=BB55_10 Depth=1
	ds_read_b32 v2, v9
	s_and_b64 vcc, exec, s[20:21]
	s_cbranch_vccnz .LBB55_8
; %bb.32:                               ;   in Loop: Header=BB55_10 Depth=1
	s_add_u32 s58, s34, s54
	s_addc_u32 s59, s35, s55
	global_load_dword v3, v9, s[58:59]
	s_waitcnt vmcnt(0) lgkmcnt(0)
	v_fmac_f32_e32 v2, s22, v3
	s_branch .LBB55_8
.LBB55_33:
	s_mov_b64 s[18:19], 0
.LBB55_34:
	s_and_b64 vcc, exec, s[18:19]
	s_cbranch_vccz .LBB55_69
; %bb.35:
	s_load_dwordx2 s[4:5], s[0:1], 0x10
	s_sub_i32 s6, s2, s23
	v_mov_b32_e32 v8, 0
	v_or_b32_e32 v2, s23, v0
	v_cmp_eq_u32_e32 vcc, 0, v2
	s_waitcnt lgkmcnt(0)
	s_add_u32 s2, s4, s46
	s_addc_u32 s3, s5, s47
	global_load_dword v1, v8, s[2:3]
	s_and_saveexec_b64 s[8:9], vcc
	s_cbranch_execz .LBB55_39
; %bb.36:
	s_add_u32 s12, s34, s44
	s_addc_u32 s13, s35, s45
	v_mov_b32_e32 v4, 0
	global_load_dword v2, v4, s[12:13]
	s_mov_b64 s[10:11], exec
	v_mbcnt_lo_u32_b32 v5, s10, 0
	v_mbcnt_hi_u32_b32 v5, s11, v5
	v_add_f32_e64 v3, s22, -1.0
	v_cmp_eq_u32_e32 vcc, 0, v5
	s_waitcnt vmcnt(0) expcnt(0) lgkmcnt(0)
	s_and_saveexec_b64 s[12:13], vcc
	s_cbranch_execz .LBB55_38
; %bb.37:
	s_ashr_i32 s7, s6, 31
	s_lshl_b64 s[14:15], s[6:7], 2
	s_add_u32 s14, s4, s14
	s_addc_u32 s15, s5, s15
	s_bcnt1_i32_b64 s7, s[10:11]
	s_and_b32 s7, s7, 1
	v_mov_b32_e32 v5, s7
	global_atomic_xor v4, v5, s[14:15]
.LBB55_38:
	s_or_b64 exec, exec, s[12:13]
	v_mul_f32_e32 v8, v3, v2
.LBB55_39:
	s_or_b64 exec, exec, s[8:9]
	s_load_dword s8, s[38:39], 0x4
	s_mul_i32 s7, s23, 0xc00
	s_sub_i32 s9, s33, s42
	s_add_i32 s7, s9, s7
	v_add_u32_e32 v2, s7, v0
	s_waitcnt lgkmcnt(0)
	s_sub_i32 s10, s8, s42
	v_cmp_gt_i32_e32 vcc, s10, v2
	s_and_saveexec_b64 s[8:9], vcc
	s_cbranch_execz .LBB55_43
; %bb.40:
	s_addk_i32 s7, 0xc00
	v_ashrrev_i32_e32 v3, 31, v2
	s_min_i32 s7, s7, s10
	v_lshl_add_u64 v[4:5], s[28:29], 0, v[2:3]
	v_lshl_add_u64 v[6:7], v[2:3], 2, s[26:27]
	s_mov_b64 s[10:11], 0
	s_mov_b64 s[12:13], 0x100
	;; [unrolled: 1-line block ×3, first 2 shown]
.LBB55_41:                              ; =>This Inner Loop Header: Depth=1
	global_load_dword v3, v[6:7], off
	global_load_sbyte v9, v[4:5], off
	v_add_u32_e32 v2, 0x100, v2
	v_cmp_le_i32_e32 vcc, s7, v2
	v_lshl_add_u64 v[4:5], v[4:5], 0, s[12:13]
	v_lshl_add_u64 v[6:7], v[6:7], 0, s[14:15]
	s_or_b64 s[10:11], vcc, s[10:11]
	s_waitcnt vmcnt(1)
	v_subrev_u32_e32 v10, s42, v3
	v_ashrrev_i32_e32 v11, 31, v10
	v_lshl_add_u64 v[10:11], s[30:31], 0, v[10:11]
	global_load_sbyte v3, v[10:11], off
	s_waitcnt vmcnt(1)
	v_cvt_f32_i32_e32 v9, v9
	v_mul_f32_e32 v9, s40, v9
	s_waitcnt vmcnt(0)
	v_cvt_f32_i32_e32 v3, v3
	v_fmac_f32_e32 v8, v9, v3
	s_andn2_b64 exec, exec, s[10:11]
	s_cbranch_execnz .LBB55_41
; %bb.42:
	s_or_b64 exec, exec, s[10:11]
.LBB55_43:
	s_or_b64 exec, exec, s[8:9]
	s_movk_i32 s7, 0x80
	v_lshlrev_b32_e32 v2, 2, v0
	v_cmp_gt_u32_e32 vcc, s7, v0
	ds_write_b32 v2, v8
	s_waitcnt lgkmcnt(0)
	s_barrier
	s_and_saveexec_b64 s[8:9], vcc
	s_cbranch_execz .LBB55_45
; %bb.44:
	ds_read2st64_b32 v[4:5], v2 offset1:2
	s_waitcnt lgkmcnt(0)
	v_add_f32_e32 v3, v4, v5
	ds_write_b32 v2, v3
.LBB55_45:
	s_or_b64 exec, exec, s[8:9]
	v_cmp_gt_u32_e32 vcc, 64, v0
	s_waitcnt lgkmcnt(0)
	s_barrier
	s_and_saveexec_b64 s[8:9], vcc
	s_cbranch_execz .LBB55_47
; %bb.46:
	ds_read2st64_b32 v[4:5], v2 offset1:1
	s_waitcnt lgkmcnt(0)
	v_add_f32_e32 v3, v4, v5
	ds_write_b32 v2, v3
.LBB55_47:
	s_or_b64 exec, exec, s[8:9]
	v_cmp_gt_u32_e32 vcc, 32, v0
	s_waitcnt lgkmcnt(0)
	s_barrier
	s_and_saveexec_b64 s[8:9], vcc
	s_cbranch_execz .LBB55_49
; %bb.48:
	ds_read2_b32 v[4:5], v2 offset1:32
	s_waitcnt lgkmcnt(0)
	v_add_f32_e32 v3, v4, v5
	ds_write_b32 v2, v3
.LBB55_49:
	s_or_b64 exec, exec, s[8:9]
	v_cmp_gt_u32_e32 vcc, 16, v0
	s_waitcnt lgkmcnt(0)
	s_barrier
	s_and_saveexec_b64 s[8:9], vcc
	s_cbranch_execz .LBB55_51
; %bb.50:
	ds_read2_b32 v[4:5], v2 offset1:16
	s_waitcnt lgkmcnt(0)
	v_add_f32_e32 v3, v4, v5
	ds_write_b32 v2, v3
.LBB55_51:
	;; [unrolled: 12-line block ×5, first 2 shown]
	s_or_b64 exec, exec, s[8:9]
	v_cmp_eq_u32_e32 vcc, 0, v0
	s_waitcnt lgkmcnt(0)
	s_barrier
	s_and_saveexec_b64 s[8:9], vcc
	s_cbranch_execz .LBB55_59
; %bb.58:
	v_mov_b32_e32 v4, 0
	ds_read_b64 v[2:3], v4
	s_waitcnt lgkmcnt(0)
	v_add_f32_e32 v2, v2, v3
	ds_write_b32 v4, v2
.LBB55_59:
	s_or_b64 exec, exec, s[8:9]
	s_waitcnt lgkmcnt(0)
	s_barrier
	s_and_saveexec_b64 s[8:9], vcc
	s_cbranch_execz .LBB55_68
; %bb.60:
	s_cmp_eq_u32 s23, 0
	s_cbranch_scc1 .LBB55_66
; %bb.61:
	s_ashr_i32 s7, s6, 31
	s_lshl_b64 s[6:7], s[6:7], 2
	s_add_u32 s4, s4, s6
	s_addc_u32 s5, s5, s7
	v_mov_b32_e32 v2, 0
	s_branch .LBB55_63
.LBB55_62:                              ;   in Loop: Header=BB55_63 Depth=1
	s_or_b64 exec, exec, s[6:7]
	s_waitcnt vmcnt(0)
	v_readfirstlane_b32 s6, v3
	s_nop 1
	v_cmp_eq_u32_e32 vcc, s6, v1
	s_cbranch_vccz .LBB55_65
.LBB55_63:                              ; =>This Inner Loop Header: Depth=1
	v_mbcnt_lo_u32_b32 v3, exec_lo, 0
	v_mbcnt_hi_u32_b32 v3, exec_hi, v3
	v_cmp_eq_u32_e32 vcc, 0, v3
                                        ; implicit-def: $vgpr3
	s_and_saveexec_b64 s[6:7], vcc
	s_cbranch_execz .LBB55_62
; %bb.64:                               ;   in Loop: Header=BB55_63 Depth=1
	global_load_dword v3, v2, s[4:5] sc1
	s_branch .LBB55_62
.LBB55_65:
	v_mov_b32_e32 v1, 0
	global_load_ushort v2, v1, s[2:3]
	s_waitcnt vmcnt(0)
	v_xor_b32_e32 v2, 1, v2
	global_store_short v1, v2, s[2:3]
.LBB55_66:
	s_mov_b64 s[2:3], exec
	s_waitcnt vmcnt(0)
	v_mbcnt_lo_u32_b32 v1, s2, 0
	v_mbcnt_hi_u32_b32 v1, s3, v1
	v_cmp_eq_u32_e32 vcc, 0, v1
	s_and_b64 s[4:5], exec, vcc
	s_mov_b64 exec, s[4:5]
	s_cbranch_execz .LBB55_68
; %bb.67:
	v_mov_b32_e32 v1, 0
	ds_read_b32 v2, v1
	s_add_u32 s4, s34, s44
	s_addc_u32 s5, s35, s45
	s_bcnt1_i32_b64 s2, s[2:3]
	v_cvt_f32_ubyte0_e32 v3, s2
	s_waitcnt lgkmcnt(0)
	v_mul_f32_e32 v2, v2, v3
	global_atomic_add_f32 v1, v2, s[4:5]
.LBB55_68:
	s_or_b64 exec, exec, s[8:9]
.LBB55_69:
	s_mov_b64 s[4:5], 0
.LBB55_70:
	s_andn2_b64 vcc, exec, s[4:5]
	s_cbranch_vccnz .LBB55_121
; %bb.71:
	s_load_dword s0, s[0:1], 0x4
	s_waitcnt vmcnt(0)
	v_subrev_u32_e32 v1, s42, v0
	s_waitcnt lgkmcnt(0)
	v_add_u32_e32 v2, s33, v1
	v_add_u32_e32 v1, 0x300, v2
	v_cmp_le_i32_e32 vcc, s0, v1
	s_and_saveexec_b64 s[0:1], vcc
	s_xor_b64 s[0:1], exec, s[0:1]
	s_cbranch_execz .LBB55_83
; %bb.72:
	s_ashr_i32 s3, s37, 31
	s_mov_b32 s2, s37
	s_lshl_b64 s[2:3], s[2:3], 2
	s_add_u32 s2, s24, s2
	s_addc_u32 s3, s25, s3
	s_load_dword s2, s[2:3], 0x0
	s_waitcnt lgkmcnt(0)
	s_sub_i32 s12, s2, s42
	v_cmp_gt_i32_e32 vcc, s12, v2
	s_and_saveexec_b64 s[2:3], vcc
	s_cbranch_execz .LBB55_82
; %bb.73:
	v_add_u32_e32 v1, s33, v0
	v_subrev_u32_e32 v1, s42, v1
	v_add_u32_e32 v1, 0x100, v1
	v_max_i32_e32 v1, s12, v1
	v_not_b32_e32 v3, v0
	v_add3_u32 v1, s42, v1, v3
	v_subrev_u32_e32 v3, s33, v1
	s_movk_i32 s4, 0xf00
	s_movk_i32 s6, 0xeff
	v_cmp_gt_u32_e64 s[4:5], s4, v3
	v_cmp_lt_u32_e32 vcc, s6, v3
	v_mov_b32_e32 v1, 0
	s_and_saveexec_b64 s[6:7], vcc
	s_cbranch_execz .LBB55_79
; %bb.74:
	v_and_b32_e32 v1, 0xffffff00, v3
	v_add_u32_e32 v1, v2, v1
	v_cmp_ge_i32_e32 vcc, v1, v2
	s_mov_b64 s[10:11], -1
	v_mov_b32_e32 v1, 0
	s_and_saveexec_b64 s[8:9], vcc
	s_cbranch_execz .LBB55_78
; %bb.75:
	v_lshrrev_b32_e32 v1, 8, v3
	v_add_u32_e32 v3, 1, v1
	v_and_b32_e32 v4, 0x1fffffe, v3
	v_lshlrev_b32_e32 v5, 2, v0
	v_mov_b32_e32 v1, v2
	s_mov_b32 s41, s40
	s_mov_b32 s13, s42
	s_movk_i32 s14, 0x100
	s_mov_b32 s15, 0
	s_mov_b64 s[10:11], 0
	v_mov_b32_e32 v6, v4
.LBB55_76:                              ; =>This Inner Loop Header: Depth=1
	v_add_u32_e32 v8, s15, v2
	v_add_u32_e32 v10, s14, v1
	v_ashrrev_i32_e32 v9, 31, v8
	v_ashrrev_i32_e32 v11, 31, v10
	v_lshl_add_u64 v[12:13], v[8:9], 2, s[26:27]
	v_lshl_add_u64 v[14:15], v[10:11], 2, s[26:27]
	global_load_dword v7, v[12:13], off
	global_load_dword v16, v[14:15], off
	v_lshl_add_u64 v[8:9], s[28:29], 0, v[8:9]
	v_lshl_add_u64 v[10:11], s[28:29], 0, v[10:11]
	global_load_sbyte v12, v[8:9], off
	global_load_sbyte v13, v[10:11], off
	v_add_u32_e32 v6, -2, v6
	s_addk_i32 s15, 0x200
	s_addk_i32 s14, 0x200
	v_cmp_eq_u32_e32 vcc, 0, v6
	s_or_b64 s[10:11], vcc, s[10:11]
	s_waitcnt vmcnt(3)
	v_subrev_u32_e32 v8, s42, v7
	s_waitcnt vmcnt(2)
	v_subrev_u32_e32 v10, s13, v16
	v_ashrrev_i32_e32 v11, 31, v10
	v_ashrrev_i32_e32 v9, 31, v8
	v_lshl_add_u64 v[10:11], s[30:31], 0, v[10:11]
	v_lshl_add_u64 v[8:9], s[30:31], 0, v[8:9]
	global_load_sbyte v7, v[10:11], off
	global_load_sbyte v14, v[8:9], off
	s_waitcnt vmcnt(2)
	v_cvt_f32_i32_e32 v9, v13
	v_cvt_f32_i32_e32 v8, v12
	v_pk_mul_f32 v[8:9], s[40:41], v[8:9]
	s_waitcnt vmcnt(1)
	v_cvt_f32_i32_e32 v11, v7
	s_waitcnt vmcnt(0)
	v_cvt_f32_i32_e32 v10, v14
	v_pk_mul_f32 v[8:9], v[8:9], v[10:11]
	ds_write2st64_b32 v5, v8, v9 offset1:4
	v_add_u32_e32 v5, 0x800, v5
	s_andn2_b64 exec, exec, s[10:11]
	s_cbranch_execnz .LBB55_76
; %bb.77:
	s_or_b64 exec, exec, s[10:11]
	v_cmp_ne_u32_e32 vcc, v3, v4
	v_lshlrev_b32_e32 v1, 8, v4
	s_orn2_b64 s[10:11], vcc, exec
.LBB55_78:
	s_or_b64 exec, exec, s[8:9]
	s_andn2_b64 s[4:5], s[4:5], exec
	s_and_b64 s[8:9], s[10:11], exec
	s_or_b64 s[4:5], s[4:5], s[8:9]
.LBB55_79:
	s_or_b64 exec, exec, s[6:7]
	s_and_b64 exec, exec, s[4:5]
	s_cbranch_execz .LBB55_82
; %bb.80:
	v_add3_u32 v2, v0, v1, s33
	v_lshlrev_b32_e32 v1, 2, v1
	v_subrev_u32_e32 v2, s42, v2
	v_lshl_add_u32 v1, v0, 2, v1
	s_mov_b64 s[4:5], 0
.LBB55_81:                              ; =>This Inner Loop Header: Depth=1
	v_ashrrev_i32_e32 v3, 31, v2
	v_lshl_add_u64 v[4:5], v[2:3], 2, s[26:27]
	global_load_dword v6, v[4:5], off
	v_lshl_add_u64 v[4:5], s[28:29], 0, v[2:3]
	global_load_sbyte v3, v[4:5], off
	v_add_u32_e32 v2, 0x100, v2
	v_cmp_le_i32_e32 vcc, s12, v2
	s_or_b64 s[4:5], vcc, s[4:5]
	s_waitcnt vmcnt(1)
	v_subrev_u32_e32 v4, s42, v6
	v_ashrrev_i32_e32 v5, 31, v4
	v_lshl_add_u64 v[4:5], s[30:31], 0, v[4:5]
	global_load_sbyte v4, v[4:5], off
	s_waitcnt vmcnt(1)
	v_cvt_f32_i32_e32 v3, v3
	v_mul_f32_e32 v3, s40, v3
	s_waitcnt vmcnt(0)
	v_cvt_f32_i32_e32 v4, v4
	v_mul_f32_e32 v3, v3, v4
	ds_write_b32 v1, v3
	v_add_u32_e32 v1, 0x400, v1
	s_andn2_b64 exec, exec, s[4:5]
	s_cbranch_execnz .LBB55_81
.LBB55_82:
	s_or_b64 exec, exec, s[2:3]
                                        ; implicit-def: $vgpr2
.LBB55_83:
	s_or_saveexec_b64 s[0:1], s[0:1]
	v_lshlrev_b32_e32 v1, 2, v0
	s_xor_b64 exec, exec, s[0:1]
	s_cbranch_execz .LBB55_85
; %bb.84:
	v_ashrrev_i32_e32 v3, 31, v2
	v_lshl_add_u64 v[4:5], v[2:3], 2, s[26:27]
	global_load_dword v6, v[4:5], off
	global_load_dword v7, v[4:5], off offset:1024
	global_load_dword v8, v[4:5], off offset:2048
	;; [unrolled: 1-line block ×3, first 2 shown]
	v_lshl_add_u64 v[2:3], s[28:29], 0, v[2:3]
	global_load_sbyte v10, v[2:3], off
	global_load_sbyte v11, v[2:3], off offset:256
	global_load_sbyte v12, v[2:3], off offset:512
	;; [unrolled: 1-line block ×3, first 2 shown]
	s_waitcnt vmcnt(7)
	v_subrev_u32_e32 v2, s42, v6
	s_waitcnt vmcnt(6)
	v_subrev_u32_e32 v4, s42, v7
	;; [unrolled: 2-line block ×4, first 2 shown]
	v_ashrrev_i32_e32 v3, 31, v2
	v_ashrrev_i32_e32 v5, 31, v4
	;; [unrolled: 1-line block ×4, first 2 shown]
	v_lshl_add_u64 v[2:3], s[30:31], 0, v[2:3]
	v_lshl_add_u64 v[4:5], s[30:31], 0, v[4:5]
	;; [unrolled: 1-line block ×4, first 2 shown]
	global_load_sbyte v14, v[2:3], off
	global_load_sbyte v15, v[4:5], off
	;; [unrolled: 1-line block ×4, first 2 shown]
	s_waitcnt vmcnt(7)
	v_cvt_f32_i32_e32 v2, v10
	s_waitcnt vmcnt(6)
	v_cvt_f32_i32_e32 v3, v11
	;; [unrolled: 2-line block ×4, first 2 shown]
	v_mul_f32_e32 v2, s40, v2
	v_mul_f32_e32 v3, s40, v3
	v_mul_f32_e32 v4, s40, v4
	v_mul_f32_e32 v5, s40, v5
	s_waitcnt vmcnt(3)
	v_cvt_f32_i32_e32 v6, v14
	s_waitcnt vmcnt(2)
	v_cvt_f32_i32_e32 v7, v15
	;; [unrolled: 2-line block ×4, first 2 shown]
	v_mul_f32_e32 v2, v2, v6
	v_mul_f32_e32 v3, v3, v7
	;; [unrolled: 1-line block ×4, first 2 shown]
	ds_write2st64_b32 v1, v2, v3 offset1:4
	ds_write2st64_b32 v1, v4, v5 offset0:8 offset1:12
.LBB55_85:
	s_or_b64 exec, exec, s[0:1]
	s_cmp_lt_i32 s23, 2
	s_mov_b64 s[0:1], -1
	s_waitcnt lgkmcnt(0)
	s_barrier
	s_cbranch_scc0 .LBB55_96
; %bb.86:
	v_add_u32_e32 v2, s36, v0
	v_cmp_gt_i32_e32 vcc, s37, v2
	s_and_saveexec_b64 s[0:1], vcc
	s_cbranch_execz .LBB55_95
; %bb.87:
	s_lshl_b32 s4, s33, 2
	v_cmp_neq_f32_e64 s[2:3], s22, 0
	s_sub_i32 s10, 0, s4
	s_mov_b64 s[4:5], 0
	s_branch .LBB55_89
.LBB55_88:                              ;   in Loop: Header=BB55_89 Depth=1
	v_add_u32_e32 v2, 0x100, v2
	v_cmp_le_i32_e32 vcc, s37, v2
	s_or_b64 s[4:5], vcc, s[4:5]
	global_store_dword v[4:5], v6, off
	s_andn2_b64 exec, exec, s[4:5]
	s_cbranch_execz .LBB55_95
.LBB55_89:                              ; =>This Loop Header: Depth=1
                                        ;     Child Loop BB55_91 Depth 2
	v_ashrrev_i32_e32 v3, 31, v2
	v_lshl_add_u64 v[4:5], v[2:3], 2, s[24:25]
	global_load_dwordx2 v[4:5], v[4:5], off
	v_mov_b32_e32 v6, 0
	s_waitcnt vmcnt(0)
	v_cmp_lt_i32_e32 vcc, v4, v5
	s_and_saveexec_b64 s[6:7], vcc
	s_cbranch_execz .LBB55_93
; %bb.90:                               ;   in Loop: Header=BB55_89 Depth=1
	v_subrev_u32_e32 v5, s33, v5
	v_subrev_u32_e32 v7, s33, v4
	v_lshl_add_u32 v4, v4, 2, s10
	v_mov_b32_e32 v6, 0
	s_mov_b64 s[8:9], 0
.LBB55_91:                              ;   Parent Loop BB55_89 Depth=1
                                        ; =>  This Inner Loop Header: Depth=2
	ds_read_b32 v8, v4
	v_add_u32_e32 v7, 1, v7
	v_cmp_ge_i32_e32 vcc, v7, v5
	v_add_u32_e32 v4, 4, v4
	s_or_b64 s[8:9], vcc, s[8:9]
	s_waitcnt lgkmcnt(0)
	v_add_f32_e32 v6, v6, v8
	s_andn2_b64 exec, exec, s[8:9]
	s_cbranch_execnz .LBB55_91
; %bb.92:                               ;   in Loop: Header=BB55_89 Depth=1
	s_or_b64 exec, exec, s[8:9]
.LBB55_93:                              ;   in Loop: Header=BB55_89 Depth=1
	s_or_b64 exec, exec, s[6:7]
	s_and_b64 vcc, exec, s[2:3]
	v_lshl_add_u64 v[4:5], v[2:3], 2, s[34:35]
	s_cbranch_vccz .LBB55_88
; %bb.94:                               ;   in Loop: Header=BB55_89 Depth=1
	global_load_dword v3, v[4:5], off
	s_waitcnt vmcnt(0)
	v_fmac_f32_e32 v6, s22, v3
	s_branch .LBB55_88
.LBB55_95:
	s_or_b64 exec, exec, s[0:1]
	s_mov_b64 s[0:1], 0
.LBB55_96:
	s_andn2_b64 vcc, exec, s[0:1]
	s_cbranch_vccnz .LBB55_121
; %bb.97:
	s_flbit_i32_b32 s0, s23
	s_xor_b32 s0, s0, 31
	v_lshrrev_b32_e32 v4, s0, v0
	v_add_u32_e32 v2, s36, v4
	s_add_i32 s0, s23, -1
	v_and_b32_e32 v0, s0, v0
	v_cmp_le_i32_e32 vcc, s37, v2
	v_cmp_gt_i32_e64 s[0:1], s37, v2
	v_mov_b32_e32 v3, 0
	s_and_saveexec_b64 s[2:3], s[0:1]
	s_cbranch_execz .LBB55_103
; %bb.98:
	v_lshlrev_b32_e32 v3, 2, v4
	global_load_dwordx2 v[6:7], v3, s[38:39]
	v_subrev_u32_e32 v3, s33, v0
	s_waitcnt vmcnt(0)
	v_subrev_u32_e32 v4, s33, v7
	v_add_u32_e32 v5, v6, v3
	v_cmp_lt_i32_e64 s[0:1], v5, v4
	v_mov_b32_e32 v3, 0
	s_and_saveexec_b64 s[4:5], s[0:1]
	s_cbranch_execz .LBB55_102
; %bb.99:
	v_lshlrev_b32_e32 v6, 2, v5
	s_lshl_b32 s8, s23, 2
	v_mov_b32_e32 v3, 0
	s_mov_b64 s[6:7], 0
.LBB55_100:                             ; =>This Inner Loop Header: Depth=1
	ds_read_b32 v7, v6
	v_add_u32_e32 v5, s23, v5
	v_cmp_ge_i32_e64 s[0:1], v5, v4
	v_add_u32_e32 v6, s8, v6
	s_or_b64 s[6:7], s[0:1], s[6:7]
	s_waitcnt lgkmcnt(0)
	v_add_f32_e32 v3, v3, v7
	s_andn2_b64 exec, exec, s[6:7]
	s_cbranch_execnz .LBB55_100
; %bb.101:
	s_or_b64 exec, exec, s[6:7]
.LBB55_102:
	s_or_b64 exec, exec, s[4:5]
.LBB55_103:
	s_or_b64 exec, exec, s[2:3]
	s_cmpk_lt_u32 s23, 0x81
	s_barrier
	ds_write_b32 v1, v3
	s_waitcnt lgkmcnt(0)
	s_barrier
	s_cbranch_scc1 .LBB55_105
; %bb.104:
	ds_read_b32 v4, v1 offset:512
	s_waitcnt lgkmcnt(0)
	s_barrier
	v_add_f32_e32 v3, v3, v4
	ds_write_b32 v1, v3
.LBB55_105:
	s_cmpk_lt_u32 s23, 0x41
	s_waitcnt lgkmcnt(0)
	s_barrier
	s_cbranch_scc1 .LBB55_107
; %bb.106:
	ds_read_b32 v4, v1 offset:256
	s_waitcnt lgkmcnt(0)
	s_barrier
	v_add_f32_e32 v3, v3, v4
	ds_write_b32 v1, v3
.LBB55_107:
	s_cmp_lt_u32 s23, 33
	s_waitcnt lgkmcnt(0)
	s_barrier
	s_cbranch_scc1 .LBB55_109
; %bb.108:
	ds_read_b32 v4, v1 offset:128
	s_waitcnt lgkmcnt(0)
	s_barrier
	v_add_f32_e32 v3, v3, v4
	ds_write_b32 v1, v3
.LBB55_109:
	s_cmp_lt_u32 s23, 17
	;; [unrolled: 11-line block ×4, first 2 shown]
	s_waitcnt lgkmcnt(0)
	s_barrier
	s_cbranch_scc1 .LBB55_115
; %bb.114:
	ds_read_b32 v4, v1 offset:16
	s_waitcnt lgkmcnt(0)
	s_barrier
	v_add_f32_e32 v3, v3, v4
	ds_write_b32 v1, v3
.LBB55_115:
	s_cmp_eq_u32 s23, 2
	s_waitcnt lgkmcnt(0)
	s_barrier
	s_cbranch_scc1 .LBB55_117
; %bb.116:
	ds_read_b32 v4, v1 offset:8
	s_waitcnt lgkmcnt(0)
	s_barrier
	v_add_f32_e32 v3, v3, v4
	ds_write_b32 v1, v3
.LBB55_117:
	s_waitcnt lgkmcnt(0)
	s_barrier
	ds_read_b32 v4, v1 offset:4
	v_cmp_eq_u32_e64 s[0:1], 0, v0
	s_xor_b64 s[2:3], vcc, -1
	s_and_b64 s[0:1], s[0:1], s[2:3]
	s_waitcnt lgkmcnt(0)
	v_add_f32_e32 v4, v3, v4
	s_barrier
	ds_write_b32 v1, v4
	s_and_saveexec_b64 s[2:3], s[0:1]
	s_cbranch_execz .LBB55_121
; %bb.118:
	v_ashrrev_i32_e32 v3, 31, v2
	v_cmp_eq_f32_e64 s[0:1], s22, 0
	s_and_b64 vcc, exec, s[0:1]
	v_lshl_add_u64 v[0:1], v[2:3], 2, s[34:35]
	s_cbranch_vccnz .LBB55_120
; %bb.119:
	global_load_dword v2, v[0:1], off
	s_waitcnt vmcnt(0)
	v_fmac_f32_e32 v4, s22, v2
.LBB55_120:
	global_store_dword v[0:1], v4, off
.LBB55_121:
	s_endpgm
	.section	.rodata,"a",@progbits
	.p2align	6, 0x0
	.amdhsa_kernel _ZN9rocsparseL22csrmvn_adaptive_kernelIiiaaffEEvbT_PKS1_PjPKT0_NS_24const_host_device_scalarIT4_EES3_S7_PKT1_PKT2_SA_PT3_21rocsparse_index_base_b
		.amdhsa_group_segment_fixed_size 4096
		.amdhsa_private_segment_fixed_size 0
		.amdhsa_kernarg_size 96
		.amdhsa_user_sgpr_count 2
		.amdhsa_user_sgpr_dispatch_ptr 0
		.amdhsa_user_sgpr_queue_ptr 0
		.amdhsa_user_sgpr_kernarg_segment_ptr 1
		.amdhsa_user_sgpr_dispatch_id 0
		.amdhsa_user_sgpr_kernarg_preload_length 0
		.amdhsa_user_sgpr_kernarg_preload_offset 0
		.amdhsa_user_sgpr_private_segment_size 0
		.amdhsa_uses_dynamic_stack 0
		.amdhsa_enable_private_segment 0
		.amdhsa_system_sgpr_workgroup_id_x 1
		.amdhsa_system_sgpr_workgroup_id_y 0
		.amdhsa_system_sgpr_workgroup_id_z 0
		.amdhsa_system_sgpr_workgroup_info 0
		.amdhsa_system_vgpr_workitem_id 0
		.amdhsa_next_free_vgpr 18
		.amdhsa_next_free_sgpr 60
		.amdhsa_accum_offset 20
		.amdhsa_reserve_vcc 1
		.amdhsa_float_round_mode_32 0
		.amdhsa_float_round_mode_16_64 0
		.amdhsa_float_denorm_mode_32 3
		.amdhsa_float_denorm_mode_16_64 3
		.amdhsa_dx10_clamp 1
		.amdhsa_ieee_mode 1
		.amdhsa_fp16_overflow 0
		.amdhsa_tg_split 0
		.amdhsa_exception_fp_ieee_invalid_op 0
		.amdhsa_exception_fp_denorm_src 0
		.amdhsa_exception_fp_ieee_div_zero 0
		.amdhsa_exception_fp_ieee_overflow 0
		.amdhsa_exception_fp_ieee_underflow 0
		.amdhsa_exception_fp_ieee_inexact 0
		.amdhsa_exception_int_div_zero 0
	.end_amdhsa_kernel
	.section	.text._ZN9rocsparseL22csrmvn_adaptive_kernelIiiaaffEEvbT_PKS1_PjPKT0_NS_24const_host_device_scalarIT4_EES3_S7_PKT1_PKT2_SA_PT3_21rocsparse_index_base_b,"axG",@progbits,_ZN9rocsparseL22csrmvn_adaptive_kernelIiiaaffEEvbT_PKS1_PjPKT0_NS_24const_host_device_scalarIT4_EES3_S7_PKT1_PKT2_SA_PT3_21rocsparse_index_base_b,comdat
.Lfunc_end55:
	.size	_ZN9rocsparseL22csrmvn_adaptive_kernelIiiaaffEEvbT_PKS1_PjPKT0_NS_24const_host_device_scalarIT4_EES3_S7_PKT1_PKT2_SA_PT3_21rocsparse_index_base_b, .Lfunc_end55-_ZN9rocsparseL22csrmvn_adaptive_kernelIiiaaffEEvbT_PKS1_PjPKT0_NS_24const_host_device_scalarIT4_EES3_S7_PKT1_PKT2_SA_PT3_21rocsparse_index_base_b
                                        ; -- End function
	.set _ZN9rocsparseL22csrmvn_adaptive_kernelIiiaaffEEvbT_PKS1_PjPKT0_NS_24const_host_device_scalarIT4_EES3_S7_PKT1_PKT2_SA_PT3_21rocsparse_index_base_b.num_vgpr, 18
	.set _ZN9rocsparseL22csrmvn_adaptive_kernelIiiaaffEEvbT_PKS1_PjPKT0_NS_24const_host_device_scalarIT4_EES3_S7_PKT1_PKT2_SA_PT3_21rocsparse_index_base_b.num_agpr, 0
	.set _ZN9rocsparseL22csrmvn_adaptive_kernelIiiaaffEEvbT_PKS1_PjPKT0_NS_24const_host_device_scalarIT4_EES3_S7_PKT1_PKT2_SA_PT3_21rocsparse_index_base_b.numbered_sgpr, 60
	.set _ZN9rocsparseL22csrmvn_adaptive_kernelIiiaaffEEvbT_PKS1_PjPKT0_NS_24const_host_device_scalarIT4_EES3_S7_PKT1_PKT2_SA_PT3_21rocsparse_index_base_b.num_named_barrier, 0
	.set _ZN9rocsparseL22csrmvn_adaptive_kernelIiiaaffEEvbT_PKS1_PjPKT0_NS_24const_host_device_scalarIT4_EES3_S7_PKT1_PKT2_SA_PT3_21rocsparse_index_base_b.private_seg_size, 0
	.set _ZN9rocsparseL22csrmvn_adaptive_kernelIiiaaffEEvbT_PKS1_PjPKT0_NS_24const_host_device_scalarIT4_EES3_S7_PKT1_PKT2_SA_PT3_21rocsparse_index_base_b.uses_vcc, 1
	.set _ZN9rocsparseL22csrmvn_adaptive_kernelIiiaaffEEvbT_PKS1_PjPKT0_NS_24const_host_device_scalarIT4_EES3_S7_PKT1_PKT2_SA_PT3_21rocsparse_index_base_b.uses_flat_scratch, 0
	.set _ZN9rocsparseL22csrmvn_adaptive_kernelIiiaaffEEvbT_PKS1_PjPKT0_NS_24const_host_device_scalarIT4_EES3_S7_PKT1_PKT2_SA_PT3_21rocsparse_index_base_b.has_dyn_sized_stack, 0
	.set _ZN9rocsparseL22csrmvn_adaptive_kernelIiiaaffEEvbT_PKS1_PjPKT0_NS_24const_host_device_scalarIT4_EES3_S7_PKT1_PKT2_SA_PT3_21rocsparse_index_base_b.has_recursion, 0
	.set _ZN9rocsparseL22csrmvn_adaptive_kernelIiiaaffEEvbT_PKS1_PjPKT0_NS_24const_host_device_scalarIT4_EES3_S7_PKT1_PKT2_SA_PT3_21rocsparse_index_base_b.has_indirect_call, 0
	.section	.AMDGPU.csdata,"",@progbits
; Kernel info:
; codeLenInByte = 3936
; TotalNumSgprs: 66
; NumVgprs: 18
; NumAgprs: 0
; TotalNumVgprs: 18
; ScratchSize: 0
; MemoryBound: 0
; FloatMode: 240
; IeeeMode: 1
; LDSByteSize: 4096 bytes/workgroup (compile time only)
; SGPRBlocks: 8
; VGPRBlocks: 2
; NumSGPRsForWavesPerEU: 66
; NumVGPRsForWavesPerEU: 18
; AccumOffset: 20
; Occupancy: 8
; WaveLimiterHint : 1
; COMPUTE_PGM_RSRC2:SCRATCH_EN: 0
; COMPUTE_PGM_RSRC2:USER_SGPR: 2
; COMPUTE_PGM_RSRC2:TRAP_HANDLER: 0
; COMPUTE_PGM_RSRC2:TGID_X_EN: 1
; COMPUTE_PGM_RSRC2:TGID_Y_EN: 0
; COMPUTE_PGM_RSRC2:TGID_Z_EN: 0
; COMPUTE_PGM_RSRC2:TIDIG_COMP_CNT: 0
; COMPUTE_PGM_RSRC3_GFX90A:ACCUM_OFFSET: 4
; COMPUTE_PGM_RSRC3_GFX90A:TG_SPLIT: 0
	.section	.text._ZN9rocsparseL27csrmvn_symm_adaptive_kernelIiiaaffEEvbT_S1_PKS1_NS_24const_host_device_scalarIT4_EES3_PKT0_PKT1_PKT2_S6_PT3_21rocsparse_index_base_b,"axG",@progbits,_ZN9rocsparseL27csrmvn_symm_adaptive_kernelIiiaaffEEvbT_S1_PKS1_NS_24const_host_device_scalarIT4_EES3_PKT0_PKT1_PKT2_S6_PT3_21rocsparse_index_base_b,comdat
	.globl	_ZN9rocsparseL27csrmvn_symm_adaptive_kernelIiiaaffEEvbT_S1_PKS1_NS_24const_host_device_scalarIT4_EES3_PKT0_PKT1_PKT2_S6_PT3_21rocsparse_index_base_b ; -- Begin function _ZN9rocsparseL27csrmvn_symm_adaptive_kernelIiiaaffEEvbT_S1_PKS1_NS_24const_host_device_scalarIT4_EES3_PKT0_PKT1_PKT2_S6_PT3_21rocsparse_index_base_b
	.p2align	8
	.type	_ZN9rocsparseL27csrmvn_symm_adaptive_kernelIiiaaffEEvbT_S1_PKS1_NS_24const_host_device_scalarIT4_EES3_PKT0_PKT1_PKT2_S6_PT3_21rocsparse_index_base_b,@function
_ZN9rocsparseL27csrmvn_symm_adaptive_kernelIiiaaffEEvbT_S1_PKS1_NS_24const_host_device_scalarIT4_EES3_PKT0_PKT1_PKT2_S6_PT3_21rocsparse_index_base_b: ; @_ZN9rocsparseL27csrmvn_symm_adaptive_kernelIiiaaffEEvbT_S1_PKS1_NS_24const_host_device_scalarIT4_EES3_PKT0_PKT1_PKT2_S6_PT3_21rocsparse_index_base_b
; %bb.0:
	s_load_dwordx2 s[22:23], s[0:1], 0x50
	s_load_dwordx2 s[24:25], s[0:1], 0x18
	;; [unrolled: 1-line block ×3, first 2 shown]
	s_waitcnt lgkmcnt(0)
	s_bitcmp1_b32 s23, 0
	s_cselect_b64 s[8:9], -1, 0
	s_xor_b64 s[6:7], s[8:9], -1
	s_and_b64 vcc, exec, s[8:9]
	s_cbranch_vccnz .LBB56_2
; %bb.1:
	s_load_dword s24, s[24:25], 0x0
.LBB56_2:
	s_andn2_b64 vcc, exec, s[6:7]
	s_cbranch_vccnz .LBB56_4
; %bb.3:
	s_load_dword s4, s[4:5], 0x0
.LBB56_4:
	s_waitcnt lgkmcnt(0)
	v_cmp_neq_f32_e64 s[6:7], s24, 0
	v_cmp_neq_f32_e64 s[4:5], s4, 1.0
	s_or_b64 s[4:5], s[6:7], s[4:5]
	s_andn2_b64 vcc, exec, s[4:5]
	s_cbranch_vccnz .LBB56_148
; %bb.5:
	s_load_dwordx2 s[4:5], s[0:1], 0x10
	s_ashr_i32 s3, s2, 31
	s_lshl_b64 s[2:3], s[2:3], 2
	v_lshlrev_b32_e32 v10, 2, v0
	v_mov_b32_e32 v1, 0
	s_waitcnt lgkmcnt(0)
	s_add_u32 s2, s4, s2
	s_addc_u32 s3, s5, s3
	ds_write2st64_b32 v10, v1, v1 offset1:4
	ds_write2st64_b32 v10, v1, v1 offset0:8 offset1:12
	s_waitcnt lgkmcnt(0)
	s_barrier
	s_load_dwordx2 s[20:21], s[2:3], 0x0
	s_load_dwordx8 s[12:19], s[0:1], 0x20
	s_load_dwordx2 s[10:11], s[0:1], 0x48
	s_mov_b64 s[2:3], -1
	v_subrev_u32_e32 v1, s22, v0
	s_waitcnt lgkmcnt(0)
	s_sub_i32 s23, s21, s20
	s_cmp_gt_i32 s23, 2
	s_cbranch_scc1 .LBB56_34
; %bb.6:
	s_cmp_le_i32 s21, s20
	s_cbranch_scc1 .LBB56_24
; %bb.7:
	v_cmp_gt_u32_e32 vcc, 64, v0
	v_cmp_gt_u32_e64 s[2:3], 16, v0
	v_cmp_gt_u32_e64 s[4:5], 4, v0
	v_cmp_eq_u32_e64 s[6:7], 0, v0
	s_mov_b64 s[26:27], 0x400
	s_mov_b64 s[28:29], 0x100
	v_mov_b32_e32 v8, 0
	s_mov_b32 s30, s20
	s_branch .LBB56_9
.LBB56_8:                               ;   in Loop: Header=BB56_9 Depth=1
	s_or_b64 exec, exec, s[36:37]
	s_add_i32 s30, s30, 1
	s_cmp_ge_i32 s30, s21
	s_cbranch_scc1 .LBB56_24
.LBB56_9:                               ; =>This Loop Header: Depth=1
                                        ;     Child Loop BB56_11 Depth 2
	s_ashr_i32 s31, s30, 31
	s_lshl_b64 s[34:35], s[30:31], 2
	s_add_u32 s8, s12, s34
	s_addc_u32 s9, s13, s35
	s_load_dwordx2 s[36:37], s[8:9], 0x0
	v_mov_b32_e32 v3, 0
	s_waitcnt lgkmcnt(0)
	v_add_u32_e32 v2, s36, v1
	s_sub_i32 s25, s37, s22
	v_cmp_gt_i32_e64 s[8:9], s25, v2
	s_and_saveexec_b64 s[36:37], s[8:9]
	s_cbranch_execz .LBB56_13
; %bb.10:                               ;   in Loop: Header=BB56_9 Depth=1
	v_ashrrev_i32_e32 v3, 31, v2
	v_lshl_add_u64 v[4:5], v[2:3], 2, s[14:15]
	v_lshl_add_u64 v[6:7], s[16:17], 0, v[2:3]
	v_mov_b32_e32 v3, 0
	s_mov_b64 s[38:39], 0
.LBB56_11:                              ;   Parent Loop BB56_9 Depth=1
                                        ; =>  This Inner Loop Header: Depth=2
	global_load_dword v9, v[4:5], off
	global_load_sbyte v11, v[6:7], off
	v_add_u32_e32 v2, 0x100, v2
	v_cmp_le_i32_e64 s[8:9], s25, v2
	v_lshl_add_u64 v[4:5], v[4:5], 0, s[26:27]
	v_lshl_add_u64 v[6:7], v[6:7], 0, s[28:29]
	s_or_b64 s[38:39], s[8:9], s[38:39]
	s_waitcnt vmcnt(1)
	v_subrev_u32_e32 v12, s22, v9
	v_ashrrev_i32_e32 v13, 31, v12
	v_lshl_add_u64 v[12:13], s[18:19], 0, v[12:13]
	global_load_sbyte v9, v[12:13], off
	s_waitcnt vmcnt(1)
	v_cvt_f32_i32_e32 v11, v11
	s_waitcnt vmcnt(0)
	v_cvt_f32_i32_e32 v9, v9
	v_fmac_f32_e32 v3, v11, v9
	s_andn2_b64 exec, exec, s[38:39]
	s_cbranch_execnz .LBB56_11
; %bb.12:                               ;   in Loop: Header=BB56_9 Depth=1
	s_or_b64 exec, exec, s[38:39]
.LBB56_13:                              ;   in Loop: Header=BB56_9 Depth=1
	s_or_b64 exec, exec, s[36:37]
	ds_write_b32 v10, v3
	s_waitcnt lgkmcnt(0)
	s_barrier
	ds_read2st64_b32 v[2:3], v10 offset1:4
	ds_read2st64_b32 v[4:5], v10 offset0:8 offset1:12
	s_waitcnt lgkmcnt(0)
	v_add_f32_e32 v3, v3, v4
	v_add_f32_e32 v3, v3, v5
	;; [unrolled: 1-line block ×3, first 2 shown]
	ds_write_b32 v10, v2
	s_waitcnt lgkmcnt(0)
	s_barrier
	s_and_saveexec_b64 s[8:9], vcc
	s_cbranch_execz .LBB56_15
; %bb.14:                               ;   in Loop: Header=BB56_9 Depth=1
	ds_read2st64_b32 v[2:3], v10 offset1:1
	ds_read2st64_b32 v[4:5], v10 offset0:2 offset1:3
	s_waitcnt lgkmcnt(0)
	v_add_f32_e32 v3, v3, v4
	v_add_f32_e32 v3, v3, v5
	;; [unrolled: 1-line block ×3, first 2 shown]
	ds_write_b32 v10, v2
.LBB56_15:                              ;   in Loop: Header=BB56_9 Depth=1
	s_or_b64 exec, exec, s[8:9]
	s_waitcnt lgkmcnt(0)
	s_barrier
	s_and_saveexec_b64 s[8:9], s[2:3]
	s_cbranch_execz .LBB56_17
; %bb.16:                               ;   in Loop: Header=BB56_9 Depth=1
	ds_read2_b32 v[2:3], v10 offset1:16
	ds_read2_b32 v[4:5], v10 offset0:32 offset1:48
	s_waitcnt lgkmcnt(0)
	v_add_f32_e32 v3, v3, v4
	v_add_f32_e32 v3, v3, v5
	v_add_f32_e32 v2, v2, v3
	ds_write_b32 v10, v2
.LBB56_17:                              ;   in Loop: Header=BB56_9 Depth=1
	s_or_b64 exec, exec, s[8:9]
	s_waitcnt lgkmcnt(0)
	s_barrier
	s_and_saveexec_b64 s[8:9], s[4:5]
	s_cbranch_execz .LBB56_19
; %bb.18:                               ;   in Loop: Header=BB56_9 Depth=1
	ds_read2_b32 v[2:3], v10 offset1:4
	ds_read2_b32 v[4:5], v10 offset0:8 offset1:12
	s_waitcnt lgkmcnt(0)
	v_add_f32_e32 v3, v3, v4
	v_add_f32_e32 v3, v3, v5
	;; [unrolled: 1-line block ×3, first 2 shown]
	ds_write_b32 v10, v2
.LBB56_19:                              ;   in Loop: Header=BB56_9 Depth=1
	s_or_b64 exec, exec, s[8:9]
	s_waitcnt lgkmcnt(0)
	s_barrier
	s_and_saveexec_b64 s[8:9], s[6:7]
	s_cbranch_execz .LBB56_21
; %bb.20:                               ;   in Loop: Header=BB56_9 Depth=1
	ds_read2_b32 v[2:3], v8 offset0:1 offset1:2
	ds_read_b32 v4, v8 offset:12
	ds_read_b32 v5, v10
	s_waitcnt lgkmcnt(2)
	v_add_f32_e32 v2, v2, v3
	s_waitcnt lgkmcnt(1)
	v_add_f32_e32 v2, v2, v4
	;; [unrolled: 2-line block ×3, first 2 shown]
	ds_write_b32 v10, v2
.LBB56_21:                              ;   in Loop: Header=BB56_9 Depth=1
	s_or_b64 exec, exec, s[8:9]
	s_waitcnt lgkmcnt(0)
	s_barrier
	s_and_saveexec_b64 s[36:37], s[6:7]
	s_cbranch_execz .LBB56_8
; %bb.22:                               ;   in Loop: Header=BB56_9 Depth=1
	s_mov_b64 s[38:39], exec
	v_mbcnt_lo_u32_b32 v2, s38, 0
	v_mbcnt_hi_u32_b32 v2, s39, v2
	v_cmp_eq_u32_e64 s[8:9], 0, v2
	s_and_b64 s[8:9], exec, s[8:9]
	s_mov_b64 exec, s[8:9]
	s_cbranch_execz .LBB56_8
; %bb.23:                               ;   in Loop: Header=BB56_9 Depth=1
	ds_read_b32 v2, v8
	s_add_u32 s8, s10, s34
	s_addc_u32 s9, s11, s35
	s_bcnt1_i32_b64 s25, s[38:39]
	v_cvt_f32_ubyte0_e32 v3, s25
	s_waitcnt lgkmcnt(0)
	v_mul_f32_e32 v2, s24, v2
	v_mul_f32_e32 v2, v2, v3
	global_atomic_add_f32 v8, v2, s[8:9]
	s_branch .LBB56_8
.LBB56_24:
	s_ashr_i32 s3, s20, 31
	s_mov_b32 s2, s20
	s_lshl_b64 s[2:3], s[2:3], 2
	s_add_u32 s2, s12, s2
	s_addc_u32 s3, s13, s3
	s_ashr_i32 s5, s21, 31
	s_mov_b32 s4, s21
	s_lshl_b64 s[4:5], s[4:5], 2
	s_add_u32 s4, s12, s4
	s_addc_u32 s5, s13, s5
	s_load_dword s6, s[4:5], 0x0
	s_load_dword s7, s[2:3], 0x0
	s_waitcnt lgkmcnt(0)
	s_sub_i32 s25, s6, s22
	v_add_u32_e32 v2, s7, v1
	v_cmp_gt_i32_e32 vcc, s25, v2
	s_and_saveexec_b64 s[6:7], vcc
	s_cbranch_execz .LBB56_33
; %bb.25:
	s_add_i32 s28, s21, -1
	s_cmp_lt_i32 s20, s28
	s_cselect_b64 s[2:3], -1, 0
	s_add_i32 s4, s21, -2
	s_cmp_lg_u32 s20, s4
	s_cselect_b64 s[4:5], -1, 0
	s_and_b64 s[2:3], s[2:3], s[4:5]
	v_cndmask_b32_e64 v3, 0, 1, s[2:3]
	s_mov_b64 s[8:9], 0
	v_cmp_ne_u32_e64 s[2:3], 1, v3
	s_branch .LBB56_27
.LBB56_26:                              ;   in Loop: Header=BB56_27 Depth=1
	s_or_b64 exec, exec, s[4:5]
	v_add_u32_e32 v2, 0x100, v2
	v_cmp_le_i32_e32 vcc, s25, v2
	s_or_b64 s[8:9], vcc, s[8:9]
	s_andn2_b64 exec, exec, s[8:9]
	s_cbranch_execz .LBB56_33
.LBB56_27:                              ; =>This Loop Header: Depth=1
                                        ;     Child Loop BB56_29 Depth 2
	s_and_b64 vcc, exec, s[2:3]
	v_mov_b32_e32 v6, s20
	v_mov_b32_e32 v4, s28
	s_cbranch_vccnz .LBB56_31
; %bb.28:                               ;   in Loop: Header=BB56_27 Depth=1
	s_mov_b64 s[26:27], 0
	v_mov_b32_e32 v6, s20
	v_mov_b32_e32 v4, s28
.LBB56_29:                              ;   Parent Loop BB56_27 Depth=1
                                        ; =>  This Inner Loop Header: Depth=2
	v_add_u32_e32 v3, v4, v6
	v_lshrrev_b32_e32 v5, 31, v3
	v_add_u32_e32 v3, v3, v5
	v_ashrrev_i32_e32 v8, 1, v3
	v_ashrrev_i32_e32 v9, 31, v8
	v_lshl_add_u64 v[12:13], v[8:9], 2, s[12:13]
	global_load_dword v3, v[12:13], off
	s_waitcnt vmcnt(0)
	v_subrev_u32_e32 v3, s22, v3
	v_cmp_lt_i32_e32 vcc, v2, v3
	s_nop 1
	v_cndmask_b32_e32 v4, v4, v8, vcc
	v_cndmask_b32_e32 v6, v8, v6, vcc
	v_add_u32_e32 v3, -1, v4
	v_cmp_ge_i32_e32 vcc, v6, v4
	v_cmp_eq_u32_e64 s[4:5], v6, v3
	s_or_b64 s[4:5], vcc, s[4:5]
	s_and_b64 s[4:5], exec, s[4:5]
	s_or_b64 s[26:27], s[4:5], s[26:27]
	s_andn2_b64 exec, exec, s[26:27]
	s_cbranch_execnz .LBB56_29
; %bb.30:                               ;   in Loop: Header=BB56_27 Depth=1
	s_or_b64 exec, exec, s[26:27]
.LBB56_31:                              ;   in Loop: Header=BB56_27 Depth=1
	v_ashrrev_i32_e32 v5, 31, v4
	v_lshl_add_u64 v[8:9], v[4:5], 2, s[12:13]
	global_load_dword v5, v[8:9], off
	v_ashrrev_i32_e32 v3, 31, v2
	v_lshl_add_u64 v[8:9], v[2:3], 2, s[14:15]
	global_load_dword v7, v[8:9], off
	s_waitcnt vmcnt(1)
	v_subrev_u32_e32 v5, s22, v5
	v_cmp_lt_i32_e32 vcc, v2, v5
	s_nop 1
	v_cndmask_b32_e32 v6, v4, v6, vcc
	s_waitcnt vmcnt(0)
	v_subrev_u32_e32 v4, s22, v7
	v_cmp_ne_u32_e32 vcc, v4, v6
	s_and_saveexec_b64 s[4:5], vcc
	s_cbranch_execz .LBB56_26
; %bb.32:                               ;   in Loop: Header=BB56_27 Depth=1
	v_lshl_add_u64 v[8:9], s[16:17], 0, v[2:3]
	v_ashrrev_i32_e32 v7, 31, v6
	global_load_sbyte v3, v[8:9], off
	v_lshl_add_u64 v[6:7], s[18:19], 0, v[6:7]
	global_load_sbyte v5, v[6:7], off
	s_waitcnt vmcnt(1)
	v_cvt_f32_i32_e32 v3, v3
	s_waitcnt vmcnt(0)
	v_cvt_f32_i32_e32 v6, v5
	v_ashrrev_i32_e32 v5, 31, v4
	v_mul_f32_e32 v3, s24, v3
	v_lshl_add_u64 v[4:5], v[4:5], 2, s[10:11]
	v_mul_f32_e32 v3, v3, v6
	global_atomic_add_f32 v[4:5], v3, off
	s_branch .LBB56_26
.LBB56_33:
	s_or_b64 exec, exec, s[6:7]
	s_mov_b64 s[2:3], 0
.LBB56_34:
	s_and_b64 vcc, exec, s[2:3]
	s_cbranch_vccz .LBB56_148
; %bb.35:
	v_cvt_f32_u32_e32 v2, s23
	s_ashr_i32 s3, s20, 31
	s_mov_b32 s2, s20
	s_sub_i32 s8, 0, s23
	v_rcp_iflag_f32_e32 v2, v2
	s_lshl_b64 s[2:3], s[2:3], 2
	s_add_u32 s4, s12, s2
	s_addc_u32 s5, s13, s3
	v_mul_f32_e32 v2, 0x4f7ffffe, v2
	v_cvt_u32_f32_e32 v2, v2
	s_load_dword s33, s[4:5], 0x0
	s_load_dwordx2 s[6:7], s[0:1], 0x4
	s_load_dword s36, s[0:1], 0x64
	v_readfirstlane_b32 s37, v2
	s_waitcnt lgkmcnt(0)
	v_add_u32_e32 v2, s33, v1
	s_mul_i32 s8, s8, s37
	v_add_u32_e32 v11, 0x300, v2
	s_mul_hi_u32 s38, s37, s8
	v_cmp_le_i32_e32 vcc, s6, v11
	s_and_saveexec_b64 s[0:1], vcc
	s_xor_b64 s[2:3], exec, s[0:1]
	s_cbranch_execz .LBB56_47
; %bb.36:
	s_ashr_i32 s1, s21, 31
	s_mov_b32 s0, s21
	s_lshl_b64 s[0:1], s[0:1], 2
	s_add_u32 s0, s12, s0
	s_addc_u32 s1, s13, s1
	s_load_dword s25, s[0:1], 0x0
	s_waitcnt lgkmcnt(0)
	s_sub_i32 s6, s25, s33
	v_cmp_gt_i32_e64 s[0:1], s6, v0
	s_and_saveexec_b64 s[8:9], s[0:1]
	s_cbranch_execz .LBB56_46
; %bb.37:
	v_xad_u32 v1, v0, -1, s25
	v_subrev_u32_e32 v3, s33, v1
	s_movk_i32 s0, 0x1100
	v_cmp_gt_u32_e64 s[26:27], s0, v3
	s_movk_i32 s0, 0x10ff
	v_cmp_lt_u32_e64 s[0:1], s0, v3
	v_mov_b32_e32 v1, 0
	s_and_saveexec_b64 s[28:29], s[0:1]
	s_cbranch_execz .LBB56_43
; %bb.38:
	v_and_b32_e32 v1, 0xffffff00, v3
	v_add_u32_e32 v1, v2, v1
	v_cmp_ge_i32_e64 s[0:1], v1, v2
	s_mov_b64 s[34:35], -1
	v_mov_b32_e32 v1, 0
	s_and_saveexec_b64 s[30:31], s[0:1]
	s_cbranch_execz .LBB56_42
; %bb.39:
	v_lshrrev_b32_e32 v1, 8, v3
	v_add_u32_e32 v3, 1, v1
	v_and_b32_e32 v4, 0x1fffffe, v3
	v_mov_b32_e32 v1, v2
	s_mov_b32 s25, s24
	s_movk_i32 s39, 0x100
	s_mov_b32 s40, 0
	s_mov_b64 s[34:35], 0
	v_mov_b32_e32 v5, v4
	v_mov_b32_e32 v6, v10
.LBB56_40:                              ; =>This Inner Loop Header: Depth=1
	v_add_u32_e32 v12, s39, v1
	v_add_u32_e32 v8, s40, v2
	v_ashrrev_i32_e32 v13, 31, v12
	v_ashrrev_i32_e32 v9, 31, v8
	v_lshl_add_u64 v[12:13], s[16:17], 0, v[12:13]
	v_lshl_add_u64 v[8:9], s[16:17], 0, v[8:9]
	global_load_sbyte v7, v[12:13], off
	global_load_sbyte v14, v[8:9], off
	v_add_u32_e32 v5, -2, v5
	s_addk_i32 s40, 0x200
	s_addk_i32 s39, 0x200
	v_cmp_eq_u32_e64 s[0:1], 0, v5
	s_or_b64 s[34:35], s[0:1], s[34:35]
	s_waitcnt vmcnt(1)
	v_cvt_f32_i32_e32 v9, v7
	s_waitcnt vmcnt(0)
	v_cvt_f32_i32_e32 v8, v14
	v_pk_mul_f32 v[8:9], s[24:25], v[8:9]
	ds_write2st64_b32 v6, v8, v9 offset1:4
	v_add_u32_e32 v6, 0x800, v6
	s_andn2_b64 exec, exec, s[34:35]
	s_cbranch_execnz .LBB56_40
; %bb.41:
	s_or_b64 exec, exec, s[34:35]
	v_cmp_ne_u32_e64 s[0:1], v3, v4
	v_lshlrev_b32_e32 v1, 8, v4
	s_orn2_b64 s[34:35], s[0:1], exec
.LBB56_42:
	s_or_b64 exec, exec, s[30:31]
	s_andn2_b64 s[0:1], s[26:27], exec
	s_and_b64 s[26:27], s[34:35], exec
	s_or_b64 s[26:27], s[0:1], s[26:27]
.LBB56_43:
	s_or_b64 exec, exec, s[28:29]
	s_and_b64 exec, exec, s[26:27]
	s_cbranch_execz .LBB56_46
; %bb.44:
	v_add_u32_e32 v3, v0, v1
	v_lshlrev_b32_e32 v1, 2, v1
	v_lshl_add_u32 v1, v0, 2, v1
	s_sub_i32 s25, s33, s22
	s_mov_b64 s[26:27], 0
.LBB56_45:                              ; =>This Inner Loop Header: Depth=1
	v_add_u32_e32 v4, s25, v3
	v_ashrrev_i32_e32 v5, 31, v4
	v_lshl_add_u64 v[4:5], s[16:17], 0, v[4:5]
	global_load_sbyte v4, v[4:5], off
	v_add_u32_e32 v3, 0x100, v3
	v_cmp_le_i32_e64 s[0:1], s6, v3
	s_or_b64 s[26:27], s[0:1], s[26:27]
	s_waitcnt vmcnt(0)
	v_cvt_f32_i32_e32 v4, v4
	v_mul_f32_e32 v4, s24, v4
	ds_write_b32 v1, v4
	v_add_u32_e32 v1, 0x400, v1
	s_andn2_b64 exec, exec, s[26:27]
	s_cbranch_execnz .LBB56_45
.LBB56_46:
	s_or_b64 exec, exec, s[8:9]
.LBB56_47:
	s_or_saveexec_b64 s[0:1], s[2:3]
	s_and_b32 s28, s36, 0xffff
	s_add_i32 s37, s37, s38
	v_ashrrev_i32_e32 v3, 31, v2
	s_xor_b64 exec, exec, s[0:1]
	s_cbranch_execz .LBB56_49
; %bb.48:
	v_lshl_add_u64 v[4:5], s[16:17], 0, v[2:3]
	global_load_sbyte v1, v[4:5], off
	global_load_sbyte v6, v[4:5], off offset:256
	global_load_sbyte v7, v[4:5], off offset:512
	;; [unrolled: 1-line block ×3, first 2 shown]
	s_waitcnt vmcnt(3)
	v_cvt_f32_i32_e32 v1, v1
	s_waitcnt vmcnt(2)
	v_cvt_f32_i32_e32 v4, v6
	;; [unrolled: 2-line block ×4, first 2 shown]
	v_mul_f32_e32 v1, s24, v1
	v_mul_f32_e32 v4, s24, v4
	;; [unrolled: 1-line block ×4, first 2 shown]
	ds_write2st64_b32 v10, v1, v4 offset1:4
	ds_write2st64_b32 v10, v5, v6 offset0:8 offset1:12
.LBB56_49:
	s_or_b64 exec, exec, s[0:1]
	s_mul_hi_u32 s6, s28, s37
	v_cmp_gt_i32_e64 s[0:1], s7, v0
	s_and_saveexec_b64 s[2:3], s[0:1]
	s_cbranch_execz .LBB56_52
; %bb.50:
	v_mov_b32_e32 v1, 0x1000
	v_lshl_add_u32 v1, v0, 2, v1
	s_mov_b64 s[8:9], 0
	v_mov_b32_e32 v4, 0
	v_mov_b32_e32 v5, v0
.LBB56_51:                              ; =>This Inner Loop Header: Depth=1
	v_add_u32_e32 v5, 0x100, v5
	v_cmp_le_i32_e64 s[0:1], s7, v5
	ds_write_b32 v1, v4
	s_or_b64 s[8:9], s[0:1], s[8:9]
	v_add_u32_e32 v1, 0x400, v1
	s_andn2_b64 exec, exec, s[8:9]
	s_cbranch_execnz .LBB56_51
.LBB56_52:
	s_or_b64 exec, exec, s[2:3]
	s_sub_i32 s0, s21, s7
	s_cmp_ge_i32 s21, s7
	s_cselect_b32 s29, s0, 0
	s_waitcnt lgkmcnt(0)
	s_barrier
	s_and_saveexec_b64 s[0:1], vcc
	s_xor_b64 s[8:9], exec, s[0:1]
	s_cbranch_execz .LBB56_69
; %bb.53:
	s_ashr_i32 s1, s21, 31
	s_mov_b32 s0, s21
	s_lshl_b64 s[0:1], s[0:1], 2
	s_add_u32 s0, s12, s0
	s_addc_u32 s1, s13, s1
	s_load_dword s0, s[0:1], 0x0
	s_waitcnt lgkmcnt(0)
	s_sub_i32 s30, s0, s33
	v_cmp_gt_i32_e32 vcc, s30, v0
	s_and_saveexec_b64 s[16:17], vcc
	s_cbranch_execz .LBB56_68
; %bb.54:
	s_add_i32 s31, s21, -1
	s_add_i32 s1, s21, -2
	s_cmp_lg_u32 s20, s1
	s_cselect_b64 s[2:3], -1, 0
	v_cndmask_b32_e64 v1, 0, 1, s[2:3]
	s_sub_i32 s34, s0, s22
	s_mov_b32 s35, 0
	s_mov_b64 s[24:25], 0
	v_cmp_ne_u32_e64 s[0:1], 1, v1
	v_mov_b32_e32 v1, 0x1000
	s_branch .LBB56_57
.LBB56_55:                              ;   in Loop: Header=BB56_57 Depth=1
	s_or_b64 exec, exec, s[2:3]
.LBB56_56:                              ;   in Loop: Header=BB56_57 Depth=1
	s_or_b64 exec, exec, s[26:27]
	v_ashrrev_i32_e32 v5, 31, v4
	v_lshl_add_u64 v[4:5], s[18:19], 0, v[4:5]
	global_load_sbyte v4, v[4:5], off
	s_addk_i32 s35, 0x100
	v_add_u32_e32 v5, s35, v0
	v_cmp_le_i32_e32 vcc, s30, v5
	s_or_b64 s[24:25], vcc, s[24:25]
	s_waitcnt vmcnt(0)
	v_cvt_f32_i32_e32 v4, v4
	s_waitcnt lgkmcnt(0)
	v_mul_f32_e32 v4, v7, v4
	ds_write_b32 v3, v4
	s_andn2_b64 exec, exec, s[24:25]
	s_cbranch_execz .LBB56_68
.LBB56_57:                              ; =>This Loop Header: Depth=1
                                        ;     Child Loop BB56_59 Depth 2
	v_add_u32_e32 v6, s35, v2
	s_and_b64 vcc, exec, s[0:1]
	v_mov_b32_e32 v3, s20
	v_mov_b32_e32 v8, s31
	s_cbranch_vccnz .LBB56_61
; %bb.58:                               ;   in Loop: Header=BB56_57 Depth=1
	s_mov_b64 s[26:27], 0
	v_mov_b32_e32 v3, s20
	v_mov_b32_e32 v8, s31
.LBB56_59:                              ;   Parent Loop BB56_57 Depth=1
                                        ; =>  This Inner Loop Header: Depth=2
	v_add_u32_e32 v4, v8, v3
	v_lshrrev_b32_e32 v5, 31, v4
	v_add_u32_e32 v4, v4, v5
	v_ashrrev_i32_e32 v4, 1, v4
	v_ashrrev_i32_e32 v5, 31, v4
	v_lshl_add_u64 v[12:13], v[4:5], 2, s[12:13]
	global_load_dword v5, v[12:13], off
	s_waitcnt vmcnt(0)
	v_subrev_u32_e32 v5, s22, v5
	v_cmp_lt_i32_e32 vcc, v6, v5
	s_nop 1
	v_cndmask_b32_e32 v8, v8, v4, vcc
	v_cndmask_b32_e32 v3, v4, v3, vcc
	v_add_u32_e32 v4, -1, v8
	v_cmp_ge_i32_e32 vcc, v3, v8
	v_cmp_eq_u32_e64 s[2:3], v3, v4
	s_or_b64 s[2:3], vcc, s[2:3]
	s_and_b64 s[2:3], exec, s[2:3]
	s_or_b64 s[26:27], s[2:3], s[26:27]
	s_andn2_b64 exec, exec, s[26:27]
	s_cbranch_execnz .LBB56_59
; %bb.60:                               ;   in Loop: Header=BB56_57 Depth=1
	s_or_b64 exec, exec, s[26:27]
.LBB56_61:                              ;   in Loop: Header=BB56_57 Depth=1
	v_ashrrev_i32_e32 v9, 31, v8
	v_lshl_add_u64 v[4:5], v[8:9], 2, s[12:13]
	global_load_dword v9, v[4:5], off
	v_ashrrev_i32_e32 v7, 31, v6
	v_lshl_add_u64 v[4:5], v[6:7], 2, s[14:15]
	global_load_dword v4, v[4:5], off
	v_cmp_le_i32_e32 vcc, s34, v6
                                        ; implicit-def: $vgpr7
	s_waitcnt vmcnt(1)
	v_subrev_u32_e32 v5, s22, v9
	v_cmp_lt_i32_e64 s[2:3], v6, v5
	s_waitcnt vmcnt(0)
	v_subrev_u32_e32 v4, s22, v4
	v_cndmask_b32_e64 v6, v8, v3, s[2:3]
	v_cmp_eq_u32_e64 s[2:3], v4, v6
	s_or_b64 s[2:3], s[2:3], vcc
	v_lshl_add_u32 v3, s35, 2, v10
	s_and_saveexec_b64 s[26:27], s[2:3]
	s_xor_b64 s[2:3], exec, s[26:27]
; %bb.62:                               ;   in Loop: Header=BB56_57 Depth=1
	ds_read_b32 v7, v3
                                        ; implicit-def: $vgpr6
; %bb.63:                               ;   in Loop: Header=BB56_57 Depth=1
	s_andn2_saveexec_b64 s[26:27], s[2:3]
	s_cbranch_execz .LBB56_56
; %bb.64:                               ;   in Loop: Header=BB56_57 Depth=1
	s_waitcnt lgkmcnt(0)
	v_ashrrev_i32_e32 v7, 31, v6
	v_lshl_add_u64 v[6:7], s[18:19], 0, v[6:7]
	global_load_sbyte v5, v[6:7], off
	ds_read_b32 v7, v3
	v_cmp_gt_i32_e32 vcc, s29, v4
	v_cmp_le_i32_e64 s[2:3], s21, v4
	s_or_b64 s[2:3], vcc, s[2:3]
	s_waitcnt vmcnt(0)
	v_cvt_f32_i32_e32 v5, v5
	s_waitcnt lgkmcnt(0)
	v_mul_f32_e32 v6, v7, v5
	s_and_saveexec_b64 s[36:37], s[2:3]
	s_xor_b64 s[2:3], exec, s[36:37]
	s_cbranch_execz .LBB56_66
; %bb.65:                               ;   in Loop: Header=BB56_57 Depth=1
	v_ashrrev_i32_e32 v5, 31, v4
	v_lshl_add_u64 v[8:9], v[4:5], 2, s[10:11]
	global_atomic_add_f32 v[8:9], v6, off
                                        ; implicit-def: $vgpr6
.LBB56_66:                              ;   in Loop: Header=BB56_57 Depth=1
	s_andn2_saveexec_b64 s[2:3], s[2:3]
	s_cbranch_execz .LBB56_55
; %bb.67:                               ;   in Loop: Header=BB56_57 Depth=1
	v_subrev_u32_e32 v5, s29, v4
	v_lshl_add_u32 v5, v5, 2, v1
	ds_add_f32 v5, v6
	s_branch .LBB56_55
.LBB56_68:
	s_or_b64 exec, exec, s[16:17]
                                        ; implicit-def: $vgpr11
                                        ; implicit-def: $vgpr2
.LBB56_69:
	s_andn2_saveexec_b64 s[8:9], s[8:9]
	s_cbranch_execz .LBB56_123
; %bb.70:
	s_add_i32 s26, s21, -1
	s_add_i32 s0, s21, -2
	s_cmp_lg_u32 s20, s0
	s_cselect_b64 s[2:3], -1, 0
	s_cmp_eq_u32 s20, s0
	v_mov_b32_e32 v1, s20
	v_mov_b32_e32 v6, s26
	s_cbranch_scc1 .LBB56_74
; %bb.71:
	s_mov_b64 s[16:17], 0
	v_mov_b32_e32 v1, s20
	v_mov_b32_e32 v6, s26
.LBB56_72:                              ; =>This Inner Loop Header: Depth=1
	v_add_u32_e32 v4, v6, v1
	v_lshrrev_b32_e32 v5, 31, v4
	v_add_u32_e32 v4, v4, v5
	v_ashrrev_i32_e32 v4, 1, v4
	v_ashrrev_i32_e32 v5, 31, v4
	v_lshl_add_u64 v[8:9], v[4:5], 2, s[12:13]
	global_load_dword v5, v[8:9], off
	s_waitcnt vmcnt(0)
	v_subrev_u32_e32 v5, s22, v5
	v_cmp_lt_i32_e32 vcc, v2, v5
	s_nop 1
	v_cndmask_b32_e32 v6, v6, v4, vcc
	v_cndmask_b32_e32 v1, v4, v1, vcc
	v_add_u32_e32 v4, -1, v6
	v_cmp_ge_i32_e32 vcc, v1, v6
	v_cmp_eq_u32_e64 s[0:1], v1, v4
	s_or_b64 s[0:1], vcc, s[0:1]
	s_and_b64 s[0:1], exec, s[0:1]
	s_or_b64 s[16:17], s[0:1], s[16:17]
	s_andn2_b64 exec, exec, s[16:17]
	s_cbranch_execnz .LBB56_72
; %bb.73:
	s_or_b64 exec, exec, s[16:17]
.LBB56_74:
	v_ashrrev_i32_e32 v7, 31, v6
	v_lshl_add_u64 v[4:5], v[6:7], 2, s[12:13]
	global_load_dword v7, v[4:5], off
	v_lshl_add_u64 v[4:5], v[2:3], 2, s[14:15]
	global_load_dword v3, v[4:5], off
	s_ashr_i32 s1, s21, 31
	s_mov_b32 s0, s21
	s_lshl_b64 s[0:1], s[0:1], 2
	s_add_u32 s14, s12, s0
	s_addc_u32 s15, s13, s1
	s_waitcnt vmcnt(1)
	v_subrev_u32_e32 v7, s22, v7
	v_cmp_lt_i32_e32 vcc, v2, v7
	s_nop 1
	v_cndmask_b32_e32 v8, v6, v1, vcc
	s_waitcnt vmcnt(0)
	v_subrev_u32_e32 v6, s22, v3
	v_cmp_ne_u32_e32 vcc, v6, v8
                                        ; implicit-def: $vgpr3
	s_and_saveexec_b64 s[0:1], vcc
	s_xor_b64 s[16:17], exec, s[0:1]
	s_cbranch_execz .LBB56_81
; %bb.75:
	s_load_dword s0, s[14:15], 0x0
	ds_read_b32 v3, v10
	s_waitcnt lgkmcnt(0)
	s_sub_i32 s0, s0, s22
	v_cmp_gt_i32_e32 vcc, s0, v2
	s_and_saveexec_b64 s[24:25], vcc
	s_cbranch_execz .LBB56_80
; %bb.76:
	v_ashrrev_i32_e32 v9, 31, v8
	v_lshl_add_u64 v[8:9], s[18:19], 0, v[8:9]
	global_load_sbyte v1, v[8:9], off
	v_cmp_gt_i32_e32 vcc, s29, v6
	v_cmp_le_i32_e64 s[0:1], s21, v6
	s_or_b64 s[0:1], vcc, s[0:1]
	s_waitcnt vmcnt(0)
	v_cvt_f32_i32_e32 v1, v1
	v_mul_f32_e32 v1, v3, v1
	s_and_saveexec_b64 s[30:31], s[0:1]
	s_xor_b64 s[0:1], exec, s[30:31]
	s_cbranch_execz .LBB56_78
; %bb.77:
	v_ashrrev_i32_e32 v7, 31, v6
	v_lshl_add_u64 v[8:9], v[6:7], 2, s[10:11]
	global_atomic_add_f32 v[8:9], v1, off
                                        ; implicit-def: $vgpr1
.LBB56_78:
	s_andn2_saveexec_b64 s[0:1], s[0:1]
; %bb.79:
	v_subrev_u32_e32 v7, s29, v6
	v_mov_b32_e32 v8, 0x1000
	v_lshl_add_u32 v7, v7, 2, v8
	ds_add_f32 v7, v1
.LBB56_80:
	s_or_b64 exec, exec, s[24:25]
.LBB56_81:
	s_andn2_saveexec_b64 s[0:1], s[16:17]
; %bb.82:
	ds_read_b32 v3, v10
; %bb.83:
	s_or_b64 exec, exec, s[0:1]
	v_ashrrev_i32_e32 v7, 31, v6
	v_lshl_add_u64 v[6:7], s[18:19], 0, v[6:7]
	global_load_sbyte v6, v[6:7], off
	v_cndmask_b32_e64 v7, 0, 1, s[2:3]
	v_add_u32_e32 v1, 0x100, v2
	v_mov_b32_e32 v8, s20
	v_cmp_ne_u32_e64 s[0:1], 1, v7
	s_andn2_b64 vcc, exec, s[2:3]
	s_waitcnt vmcnt(0)
	v_cvt_f32_i32_e32 v6, v6
	s_waitcnt lgkmcnt(0)
	v_mul_f32_e32 v3, v3, v6
	v_mov_b32_e32 v6, s26
	ds_write_b32 v10, v3
	s_cbranch_vccnz .LBB56_87
; %bb.84:
	s_mov_b64 s[16:17], 0
	v_mov_b32_e32 v8, s20
	v_mov_b32_e32 v6, s26
.LBB56_85:                              ; =>This Inner Loop Header: Depth=1
	v_add_u32_e32 v3, v6, v8
	v_lshrrev_b32_e32 v7, 31, v3
	v_add_u32_e32 v3, v3, v7
	v_ashrrev_i32_e32 v12, 1, v3
	v_ashrrev_i32_e32 v13, 31, v12
	v_lshl_add_u64 v[14:15], v[12:13], 2, s[12:13]
	global_load_dword v3, v[14:15], off
	s_waitcnt vmcnt(0)
	v_subrev_u32_e32 v3, s22, v3
	v_cmp_lt_i32_e32 vcc, v1, v3
	s_nop 1
	v_cndmask_b32_e32 v6, v6, v12, vcc
	v_cndmask_b32_e32 v8, v12, v8, vcc
	v_add_u32_e32 v3, -1, v6
	v_cmp_ge_i32_e32 vcc, v8, v6
	v_cmp_eq_u32_e64 s[2:3], v8, v3
	s_or_b64 s[2:3], vcc, s[2:3]
	s_and_b64 s[2:3], exec, s[2:3]
	s_or_b64 s[16:17], s[2:3], s[16:17]
	s_andn2_b64 exec, exec, s[16:17]
	s_cbranch_execnz .LBB56_85
; %bb.86:
	s_or_b64 exec, exec, s[16:17]
.LBB56_87:
	v_ashrrev_i32_e32 v7, 31, v6
	v_lshl_add_u64 v[12:13], v[6:7], 2, s[12:13]
	global_load_dword v3, v[12:13], off
	global_load_dword v7, v[4:5], off offset:1024
	s_waitcnt vmcnt(1)
	v_subrev_u32_e32 v3, s22, v3
	v_cmp_lt_i32_e32 vcc, v1, v3
                                        ; implicit-def: $vgpr3
	s_nop 1
	v_cndmask_b32_e32 v8, v6, v8, vcc
	s_waitcnt vmcnt(0)
	v_subrev_u32_e32 v6, s22, v7
	v_cmp_ne_u32_e32 vcc, v6, v8
	s_and_saveexec_b64 s[2:3], vcc
	s_xor_b64 s[16:17], exec, s[2:3]
	s_cbranch_execz .LBB56_94
; %bb.88:
	s_load_dword s2, s[14:15], 0x0
	ds_read_b32 v3, v10 offset:1024
	s_waitcnt lgkmcnt(0)
	s_sub_i32 s2, s2, s22
	v_cmp_gt_i32_e32 vcc, s2, v1
	s_and_saveexec_b64 s[24:25], vcc
	s_cbranch_execz .LBB56_93
; %bb.89:
	v_ashrrev_i32_e32 v9, 31, v8
	v_lshl_add_u64 v[8:9], s[18:19], 0, v[8:9]
	global_load_sbyte v1, v[8:9], off
	v_cmp_gt_i32_e32 vcc, s29, v6
	v_cmp_le_i32_e64 s[2:3], s21, v6
	s_or_b64 s[2:3], vcc, s[2:3]
	s_waitcnt vmcnt(0)
	v_cvt_f32_i32_e32 v1, v1
	v_mul_f32_e32 v1, v3, v1
	s_and_saveexec_b64 s[30:31], s[2:3]
	s_xor_b64 s[2:3], exec, s[30:31]
	s_cbranch_execz .LBB56_91
; %bb.90:
	v_ashrrev_i32_e32 v7, 31, v6
	v_lshl_add_u64 v[8:9], v[6:7], 2, s[10:11]
	global_atomic_add_f32 v[8:9], v1, off
                                        ; implicit-def: $vgpr1
.LBB56_91:
	s_andn2_saveexec_b64 s[2:3], s[2:3]
; %bb.92:
	v_subrev_u32_e32 v7, s29, v6
	v_mov_b32_e32 v8, 0x1000
	v_lshl_add_u32 v7, v7, 2, v8
	ds_add_f32 v7, v1
.LBB56_93:
	s_or_b64 exec, exec, s[24:25]
.LBB56_94:
	s_andn2_saveexec_b64 s[2:3], s[16:17]
; %bb.95:
	ds_read_b32 v3, v10 offset:1024
; %bb.96:
	s_or_b64 exec, exec, s[2:3]
	v_ashrrev_i32_e32 v7, 31, v6
	v_lshl_add_u64 v[6:7], s[18:19], 0, v[6:7]
	global_load_sbyte v1, v[6:7], off
	s_and_b64 vcc, exec, s[0:1]
	v_mov_b32_e32 v6, s20
	s_waitcnt vmcnt(0)
	v_cvt_f32_i32_e32 v7, v1
	v_add_u32_e32 v1, 0x200, v2
	s_waitcnt lgkmcnt(0)
	v_mul_f32_e32 v2, v3, v7
	ds_write_b32 v10, v2 offset:1024
	v_mov_b32_e32 v2, s26
	s_cbranch_vccnz .LBB56_100
; %bb.97:
	s_mov_b64 s[16:17], 0
	v_mov_b32_e32 v6, s20
	v_mov_b32_e32 v2, s26
.LBB56_98:                              ; =>This Inner Loop Header: Depth=1
	v_add_u32_e32 v3, v2, v6
	v_lshrrev_b32_e32 v7, 31, v3
	v_add_u32_e32 v3, v3, v7
	v_ashrrev_i32_e32 v8, 1, v3
	v_ashrrev_i32_e32 v9, 31, v8
	v_lshl_add_u64 v[12:13], v[8:9], 2, s[12:13]
	global_load_dword v3, v[12:13], off
	s_waitcnt vmcnt(0)
	v_subrev_u32_e32 v3, s22, v3
	v_cmp_lt_i32_e32 vcc, v1, v3
	s_nop 1
	v_cndmask_b32_e32 v2, v2, v8, vcc
	v_cndmask_b32_e32 v6, v8, v6, vcc
	v_add_u32_e32 v3, -1, v2
	v_cmp_ge_i32_e32 vcc, v6, v2
	v_cmp_eq_u32_e64 s[2:3], v6, v3
	s_or_b64 s[2:3], vcc, s[2:3]
	s_and_b64 s[2:3], exec, s[2:3]
	s_or_b64 s[16:17], s[2:3], s[16:17]
	s_andn2_b64 exec, exec, s[16:17]
	s_cbranch_execnz .LBB56_98
; %bb.99:
	s_or_b64 exec, exec, s[16:17]
.LBB56_100:
	v_ashrrev_i32_e32 v3, 31, v2
	v_lshl_add_u64 v[8:9], v[2:3], 2, s[12:13]
	global_load_dword v3, v[8:9], off
	global_load_dword v7, v[4:5], off offset:2048
                                        ; implicit-def: $vgpr8
	s_waitcnt vmcnt(1)
	v_subrev_u32_e32 v3, s22, v3
	v_cmp_lt_i32_e32 vcc, v1, v3
	s_nop 1
	v_cndmask_b32_e32 v6, v2, v6, vcc
	s_waitcnt vmcnt(0)
	v_subrev_u32_e32 v2, s22, v7
	v_cmp_ne_u32_e32 vcc, v2, v6
	s_and_saveexec_b64 s[2:3], vcc
	s_xor_b64 s[16:17], exec, s[2:3]
	s_cbranch_execz .LBB56_107
; %bb.101:
	s_load_dword s2, s[14:15], 0x0
	ds_read_b32 v8, v10 offset:2048
	s_waitcnt lgkmcnt(0)
	s_sub_i32 s2, s2, s22
	v_cmp_gt_i32_e32 vcc, s2, v1
	s_and_saveexec_b64 s[24:25], vcc
	s_cbranch_execz .LBB56_106
; %bb.102:
	v_ashrrev_i32_e32 v7, 31, v6
	v_lshl_add_u64 v[6:7], s[18:19], 0, v[6:7]
	global_load_sbyte v1, v[6:7], off
	v_cmp_gt_i32_e32 vcc, s29, v2
	v_cmp_le_i32_e64 s[2:3], s21, v2
	s_or_b64 s[2:3], vcc, s[2:3]
	s_waitcnt vmcnt(0)
	v_cvt_f32_i32_e32 v1, v1
	v_mul_f32_e32 v1, v8, v1
	s_and_saveexec_b64 s[30:31], s[2:3]
	s_xor_b64 s[2:3], exec, s[30:31]
	s_cbranch_execz .LBB56_104
; %bb.103:
	v_ashrrev_i32_e32 v3, 31, v2
	v_lshl_add_u64 v[6:7], v[2:3], 2, s[10:11]
	global_atomic_add_f32 v[6:7], v1, off
                                        ; implicit-def: $vgpr1
.LBB56_104:
	s_andn2_saveexec_b64 s[2:3], s[2:3]
; %bb.105:
	v_subrev_u32_e32 v3, s29, v2
	v_mov_b32_e32 v6, 0x1000
	v_lshl_add_u32 v3, v3, 2, v6
	ds_add_f32 v3, v1
.LBB56_106:
	s_or_b64 exec, exec, s[24:25]
.LBB56_107:
	s_andn2_saveexec_b64 s[2:3], s[16:17]
; %bb.108:
	ds_read_b32 v8, v10 offset:2048
; %bb.109:
	s_or_b64 exec, exec, s[2:3]
	v_ashrrev_i32_e32 v3, 31, v2
	v_lshl_add_u64 v[2:3], s[18:19], 0, v[2:3]
	global_load_sbyte v1, v[2:3], off
	s_and_b64 vcc, exec, s[0:1]
	s_waitcnt vmcnt(0)
	v_cvt_f32_i32_e32 v2, v1
	v_mov_b32_e32 v1, s20
	s_waitcnt lgkmcnt(0)
	v_mul_f32_e32 v2, v8, v2
	ds_write_b32 v10, v2 offset:2048
	v_mov_b32_e32 v2, s26
	s_cbranch_vccnz .LBB56_113
; %bb.110:
	s_mov_b64 s[2:3], 0
	v_mov_b32_e32 v1, s20
	v_mov_b32_e32 v2, s26
.LBB56_111:                             ; =>This Inner Loop Header: Depth=1
	v_add_u32_e32 v3, v2, v1
	v_lshrrev_b32_e32 v6, 31, v3
	v_add_u32_e32 v3, v3, v6
	v_ashrrev_i32_e32 v6, 1, v3
	v_ashrrev_i32_e32 v7, 31, v6
	v_lshl_add_u64 v[8:9], v[6:7], 2, s[12:13]
	global_load_dword v3, v[8:9], off
	s_waitcnt vmcnt(0)
	v_subrev_u32_e32 v3, s22, v3
	v_cmp_lt_i32_e32 vcc, v11, v3
	s_nop 1
	v_cndmask_b32_e32 v2, v2, v6, vcc
	v_cndmask_b32_e32 v1, v6, v1, vcc
	v_add_u32_e32 v3, -1, v2
	v_cmp_ge_i32_e32 vcc, v1, v2
	v_cmp_eq_u32_e64 s[0:1], v1, v3
	s_or_b64 s[0:1], vcc, s[0:1]
	s_and_b64 s[0:1], exec, s[0:1]
	s_or_b64 s[2:3], s[0:1], s[2:3]
	s_andn2_b64 exec, exec, s[2:3]
	s_cbranch_execnz .LBB56_111
; %bb.112:
	s_or_b64 exec, exec, s[2:3]
.LBB56_113:
	v_ashrrev_i32_e32 v3, 31, v2
	v_lshl_add_u64 v[6:7], v[2:3], 2, s[12:13]
	global_load_dword v3, v[6:7], off
	global_load_dword v8, v[4:5], off offset:3072
	s_waitcnt vmcnt(1)
	v_subrev_u32_e32 v3, s22, v3
	v_cmp_lt_i32_e32 vcc, v11, v3
	s_nop 1
	v_cndmask_b32_e32 v4, v2, v1, vcc
	s_waitcnt vmcnt(0)
	v_subrev_u32_e32 v2, s22, v8
	v_cmp_ne_u32_e32 vcc, v2, v4
                                        ; implicit-def: $vgpr1
	s_and_saveexec_b64 s[0:1], vcc
	s_xor_b64 s[2:3], exec, s[0:1]
	s_cbranch_execz .LBB56_120
; %bb.114:
	s_load_dword s0, s[14:15], 0x0
	ds_read_b32 v1, v10 offset:3072
	s_waitcnt lgkmcnt(0)
	s_sub_i32 s0, s0, s22
	v_cmp_gt_i32_e32 vcc, s0, v11
	s_and_saveexec_b64 s[14:15], vcc
	s_cbranch_execz .LBB56_119
; %bb.115:
	v_ashrrev_i32_e32 v5, 31, v4
	v_lshl_add_u64 v[4:5], s[18:19], 0, v[4:5]
	global_load_sbyte v3, v[4:5], off
	v_cmp_gt_i32_e32 vcc, s29, v2
	v_cmp_le_i32_e64 s[0:1], s21, v2
	s_or_b64 s[0:1], vcc, s[0:1]
	s_waitcnt vmcnt(0)
	v_cvt_f32_i32_e32 v3, v3
	v_mul_f32_e32 v4, v1, v3
	s_and_saveexec_b64 s[16:17], s[0:1]
	s_xor_b64 s[0:1], exec, s[16:17]
	s_cbranch_execz .LBB56_117
; %bb.116:
	v_ashrrev_i32_e32 v3, 31, v2
	v_lshl_add_u64 v[6:7], v[2:3], 2, s[10:11]
	global_atomic_add_f32 v[6:7], v4, off
                                        ; implicit-def: $vgpr4
.LBB56_117:
	s_andn2_saveexec_b64 s[0:1], s[0:1]
; %bb.118:
	v_subrev_u32_e32 v3, s29, v2
	v_mov_b32_e32 v5, 0x1000
	v_lshl_add_u32 v3, v3, 2, v5
	ds_add_f32 v3, v4
.LBB56_119:
	s_or_b64 exec, exec, s[14:15]
.LBB56_120:
	s_andn2_saveexec_b64 s[0:1], s[2:3]
; %bb.121:
	ds_read_b32 v1, v10 offset:3072
; %bb.122:
	s_or_b64 exec, exec, s[0:1]
	v_ashrrev_i32_e32 v3, 31, v2
	v_lshl_add_u64 v[2:3], s[18:19], 0, v[2:3]
	global_load_sbyte v2, v[2:3], off
	s_waitcnt vmcnt(0)
	v_cvt_f32_i32_e32 v2, v2
	s_waitcnt lgkmcnt(0)
	v_mul_f32_e32 v1, v1, v2
	ds_write_b32 v10, v1 offset:3072
.LBB56_123:
	s_or_b64 exec, exec, s[8:9]
	s_min_i32 s7, s21, s7
	s_sub_i32 s14, s7, s23
	v_cmp_gt_i32_e32 vcc, s14, v0
	s_waitcnt lgkmcnt(0)
	s_barrier
	s_and_saveexec_b64 s[0:1], vcc
	s_cbranch_execz .LBB56_126
; %bb.124:
	v_mov_b32_e32 v1, 0x1000
	v_lshl_add_u32 v1, v0, 2, v1
	s_mov_b64 s[2:3], 0
	v_mov_b32_e32 v2, v0
.LBB56_125:                             ; =>This Inner Loop Header: Depth=1
	ds_read_b32 v3, v1
	v_add_u32_e32 v4, s29, v2
	v_ashrrev_i32_e32 v5, 31, v4
	v_lshl_add_u64 v[4:5], v[4:5], 2, s[10:11]
	v_add_u32_e32 v2, 0x100, v2
	s_waitcnt lgkmcnt(0)
	global_atomic_add_f32 v[4:5], v3, off
	v_cmp_le_i32_e32 vcc, s14, v2
	s_or_b64 s[2:3], vcc, s[2:3]
	v_add_u32_e32 v1, 0x400, v1
	s_andn2_b64 exec, exec, s[2:3]
	s_cbranch_execnz .LBB56_125
.LBB56_126:
	s_or_b64 exec, exec, s[0:1]
	s_mul_i32 s0, s6, s23
	s_sub_i32 s0, s28, s0
	s_add_i32 s1, s6, 1
	s_sub_i32 s2, s0, s23
	s_cmp_ge_u32 s0, s23
	s_cselect_b32 s1, s1, s6
	s_cselect_b32 s0, s2, s0
	s_add_i32 s2, s1, 1
	s_cmp_ge_u32 s0, s23
	s_cselect_b32 s0, s2, s1
	s_add_i32 s0, s0, -1
	s_ashr_i32 s1, s0, 1
	s_or_b32 s0, s1, s0
	s_ashr_i32 s1, s0, 2
	s_or_b32 s0, s1, s0
	s_ashr_i32 s1, s0, 4
	s_or_b32 s0, s1, s0
	s_ashr_i32 s1, s0, 8
	s_or_b32 s0, s1, s0
	s_ashr_i32 s1, s0, 16
	s_or_b32 s0, s1, s0
	s_add_i32 s0, s0, 1
	s_ashr_i32 s15, s0, 1
	v_add_u32_e32 v2, s20, v0
	s_cmp_gt_i32 s15, 1
	s_mov_b64 s[0:1], -1
	s_barrier
	s_cbranch_scc1 .LBB56_135
; %bb.127:
	v_cmp_gt_i32_e32 vcc, s21, v2
	s_and_saveexec_b64 s[0:1], vcc
	s_cbranch_execz .LBB56_134
; %bb.128:
	s_sub_i32 s2, s7, s21
	s_lshl_b32 s2, s2, 2
	s_add_i32 s16, s2, 0x1000
	s_lshl_b32 s2, s33, 2
	s_sub_i32 s17, 0, s2
	s_mov_b64 s[2:3], 0
	v_mov_b32_e32 v4, v2
	s_branch .LBB56_130
.LBB56_129:                             ;   in Loop: Header=BB56_130 Depth=1
	s_or_b64 exec, exec, s[6:7]
	v_lshl_add_u32 v3, v4, 2, s16
	ds_read_b32 v3, v3
	v_lshl_add_u64 v[6:7], v[4:5], 2, s[10:11]
	v_add_u32_e32 v4, s28, v4
	v_cmp_le_i32_e32 vcc, s21, v4
	s_or_b64 s[2:3], vcc, s[2:3]
	s_waitcnt lgkmcnt(0)
	v_add_f32_e32 v1, v1, v3
	global_atomic_add_f32 v[6:7], v1, off
	s_andn2_b64 exec, exec, s[2:3]
	s_cbranch_execz .LBB56_134
.LBB56_130:                             ; =>This Loop Header: Depth=1
                                        ;     Child Loop BB56_132 Depth 2
	v_ashrrev_i32_e32 v5, 31, v4
	v_lshl_add_u64 v[6:7], v[4:5], 2, s[12:13]
	global_load_dwordx2 v[6:7], v[6:7], off
	v_mov_b32_e32 v1, 0
	s_waitcnt vmcnt(0)
	v_cmp_lt_i32_e32 vcc, v6, v7
	s_and_saveexec_b64 s[6:7], vcc
	s_cbranch_execz .LBB56_129
; %bb.131:                              ;   in Loop: Header=BB56_130 Depth=1
	v_subrev_u32_e32 v3, s33, v7
	v_subrev_u32_e32 v7, s33, v6
	v_lshl_add_u32 v6, v6, 2, s17
	v_mov_b32_e32 v1, 0
	s_mov_b64 s[8:9], 0
.LBB56_132:                             ;   Parent Loop BB56_130 Depth=1
                                        ; =>  This Inner Loop Header: Depth=2
	ds_read_b32 v8, v6
	v_add_u32_e32 v7, 1, v7
	v_cmp_ge_i32_e32 vcc, v7, v3
	v_add_u32_e32 v6, 4, v6
	s_or_b64 s[8:9], vcc, s[8:9]
	s_waitcnt lgkmcnt(0)
	v_add_f32_e32 v1, v1, v8
	s_andn2_b64 exec, exec, s[8:9]
	s_cbranch_execnz .LBB56_132
; %bb.133:                              ;   in Loop: Header=BB56_130 Depth=1
	s_or_b64 exec, exec, s[8:9]
	s_branch .LBB56_129
.LBB56_134:
	s_or_b64 exec, exec, s[0:1]
	s_mov_b64 s[0:1], 0
.LBB56_135:
	s_andn2_b64 vcc, exec, s[0:1]
	s_cbranch_vccnz .LBB56_148
; %bb.136:
	v_cvt_f32_u32_e32 v1, s15
	s_sub_i32 s0, 0, s15
	v_rcp_iflag_f32_e32 v1, v1
	s_nop 0
	v_mul_f32_e32 v1, 0x4f7ffffe, v1
	v_cvt_u32_f32_e32 v1, v1
	v_mul_lo_u32 v3, s0, v1
	v_mul_hi_u32 v3, v1, v3
	v_add_u32_e32 v1, v1, v3
	v_mul_hi_u32 v1, v0, v1
	v_mul_lo_u32 v3, v1, s15
	v_sub_u32_e32 v3, v0, v3
	v_add_u32_e32 v4, 1, v1
	v_cmp_le_u32_e32 vcc, s15, v3
	s_nop 1
	v_cndmask_b32_e32 v1, v1, v4, vcc
	v_subrev_u32_e32 v4, s15, v3
	v_cndmask_b32_e32 v3, v3, v4, vcc
	v_add_u32_e32 v4, 1, v1
	v_cmp_le_u32_e32 vcc, s15, v3
	s_nop 1
	v_cndmask_b32_e32 v1, v1, v4, vcc
	v_lshlrev_b32_e32 v3, 2, v1
	global_load_dwordx2 v[4:5], v3, s[4:5]
	v_cmp_gt_i32_e32 vcc, s23, v1
	v_mov_b32_e32 v3, 0
	s_and_saveexec_b64 s[0:1], vcc
	s_cbranch_execz .LBB56_144
; %bb.137:
	s_abs_i32 s4, s15
	v_cvt_f32_u32_e32 v3, s4
	s_waitcnt vmcnt(0)
	v_subrev_u32_e32 v4, s33, v4
	v_subrev_u32_e32 v1, s33, v5
	v_sub_u32_e32 v5, v1, v4
	v_rcp_iflag_f32_e32 v3, v3
	s_sub_i32 s2, 0, s4
	v_sub_u32_e32 v6, 0, v5
	v_ashrrev_i32_e32 v8, 31, v5
	v_mul_f32_e32 v3, 0x4f7ffffe, v3
	v_cvt_u32_f32_e32 v3, v3
	v_max_i32_e32 v5, v5, v6
	s_ashr_i32 s5, s15, 31
	v_mul_lo_u32 v6, s2, v3
	v_mul_hi_u32 v6, v3, v6
	v_add_u32_e32 v3, v3, v6
	v_mad_u64_u32 v[6:7], s[2:3], v5, v3, 0
	v_mul_lo_u32 v6, v7, s4
	v_sub_u32_e32 v5, v5, v6
	v_add_u32_e32 v6, 1, v7
	v_cmp_le_u32_e32 vcc, s4, v5
	v_xor_b32_e32 v3, s5, v8
	s_add_i32 s2, s15, -1
	v_cndmask_b32_e32 v6, v7, v6, vcc
	v_subrev_u32_e32 v7, s4, v5
	v_cndmask_b32_e32 v5, v5, v7, vcc
	v_add_u32_e32 v7, 1, v6
	v_cmp_le_u32_e32 vcc, s4, v5
	s_nop 1
	v_cndmask_b32_e32 v5, v6, v7, vcc
	v_xor_b32_e32 v5, v5, v3
	v_sub_u32_e32 v5, v5, v3
	v_and_b32_e32 v7, s2, v0
	v_cmp_lt_i32_e32 vcc, 0, v5
	v_mov_b32_e32 v3, 0
	v_lshlrev_b32_e32 v6, 2, v7
	s_and_saveexec_b64 s[2:3], vcc
	s_cbranch_execz .LBB56_141
; %bb.138:
	v_lshl_add_u32 v8, v4, 2, v6
	s_lshl_b32 s6, s15, 2
	v_mov_b32_e32 v3, 0
	s_mov_b64 s[4:5], 0
	v_mov_b32_e32 v9, v5
.LBB56_139:                             ; =>This Inner Loop Header: Depth=1
	ds_read_b32 v11, v8
	v_add_u32_e32 v9, -1, v9
	v_cmp_eq_u32_e32 vcc, 0, v9
	v_add_u32_e32 v8, s6, v8
	s_or_b64 s[4:5], vcc, s[4:5]
	s_waitcnt lgkmcnt(0)
	v_add_f32_e32 v3, v3, v11
	s_andn2_b64 exec, exec, s[4:5]
	s_cbranch_execnz .LBB56_139
; %bb.140:
	s_or_b64 exec, exec, s[4:5]
.LBB56_141:
	s_or_b64 exec, exec, s[2:3]
	v_mad_u64_u32 v[4:5], s[2:3], v5, s15, v[4:5]
	v_sub_u32_e32 v1, v1, v4
	v_cmp_lt_i32_e32 vcc, v7, v1
	s_and_saveexec_b64 s[2:3], vcc
	s_cbranch_execz .LBB56_143
; %bb.142:
	v_lshl_add_u32 v1, v4, 2, v6
	ds_read_b32 v1, v1
	s_waitcnt lgkmcnt(0)
	v_add_f32_e32 v3, v3, v1
.LBB56_143:
	s_or_b64 exec, exec, s[2:3]
.LBB56_144:
	s_or_b64 exec, exec, s[0:1]
	v_cmp_gt_i32_e32 vcc, s23, v0
	s_barrier
	ds_write_b32 v10, v3
	s_waitcnt lgkmcnt(0)
	s_barrier
	s_and_saveexec_b64 s[0:1], vcc
	s_cbranch_execz .LBB56_148
; %bb.145:
	v_mul_lo_u32 v1, s15, v0
	v_lshlrev_b32_e32 v3, 2, v1
	v_mov_b32_e32 v1, 0
.LBB56_146:                             ; =>This Inner Loop Header: Depth=1
	s_waitcnt vmcnt(0)
	ds_read_b32 v4, v3
	s_add_i32 s15, s15, -1
	v_add_u32_e32 v3, 4, v3
	s_cmp_eq_u32 s15, 0
	s_waitcnt lgkmcnt(0)
	v_add_f32_e32 v1, v1, v4
	s_cbranch_scc0 .LBB56_146
; %bb.147:
	s_lshl_b32 s0, s14, 2
	s_addk_i32 s0, 0x1000
	v_lshl_add_u32 v0, v0, 2, s0
	ds_read_b32 v0, v0
	v_ashrrev_i32_e32 v3, 31, v2
	s_waitcnt lgkmcnt(0)
	v_add_f32_e32 v4, v1, v0
	v_lshl_add_u64 v[0:1], v[2:3], 2, s[10:11]
	global_atomic_add_f32 v[0:1], v4, off
.LBB56_148:
	s_endpgm
	.section	.rodata,"a",@progbits
	.p2align	6, 0x0
	.amdhsa_kernel _ZN9rocsparseL27csrmvn_symm_adaptive_kernelIiiaaffEEvbT_S1_PKS1_NS_24const_host_device_scalarIT4_EES3_PKT0_PKT1_PKT2_S6_PT3_21rocsparse_index_base_b
		.amdhsa_group_segment_fixed_size 4096
		.amdhsa_private_segment_fixed_size 0
		.amdhsa_kernarg_size 344
		.amdhsa_user_sgpr_count 2
		.amdhsa_user_sgpr_dispatch_ptr 0
		.amdhsa_user_sgpr_queue_ptr 0
		.amdhsa_user_sgpr_kernarg_segment_ptr 1
		.amdhsa_user_sgpr_dispatch_id 0
		.amdhsa_user_sgpr_kernarg_preload_length 0
		.amdhsa_user_sgpr_kernarg_preload_offset 0
		.amdhsa_user_sgpr_private_segment_size 0
		.amdhsa_uses_dynamic_stack 0
		.amdhsa_enable_private_segment 0
		.amdhsa_system_sgpr_workgroup_id_x 1
		.amdhsa_system_sgpr_workgroup_id_y 0
		.amdhsa_system_sgpr_workgroup_id_z 0
		.amdhsa_system_sgpr_workgroup_info 0
		.amdhsa_system_vgpr_workitem_id 0
		.amdhsa_next_free_vgpr 16
		.amdhsa_next_free_sgpr 41
		.amdhsa_accum_offset 16
		.amdhsa_reserve_vcc 1
		.amdhsa_float_round_mode_32 0
		.amdhsa_float_round_mode_16_64 0
		.amdhsa_float_denorm_mode_32 3
		.amdhsa_float_denorm_mode_16_64 3
		.amdhsa_dx10_clamp 1
		.amdhsa_ieee_mode 1
		.amdhsa_fp16_overflow 0
		.amdhsa_tg_split 0
		.amdhsa_exception_fp_ieee_invalid_op 0
		.amdhsa_exception_fp_denorm_src 0
		.amdhsa_exception_fp_ieee_div_zero 0
		.amdhsa_exception_fp_ieee_overflow 0
		.amdhsa_exception_fp_ieee_underflow 0
		.amdhsa_exception_fp_ieee_inexact 0
		.amdhsa_exception_int_div_zero 0
	.end_amdhsa_kernel
	.section	.text._ZN9rocsparseL27csrmvn_symm_adaptive_kernelIiiaaffEEvbT_S1_PKS1_NS_24const_host_device_scalarIT4_EES3_PKT0_PKT1_PKT2_S6_PT3_21rocsparse_index_base_b,"axG",@progbits,_ZN9rocsparseL27csrmvn_symm_adaptive_kernelIiiaaffEEvbT_S1_PKS1_NS_24const_host_device_scalarIT4_EES3_PKT0_PKT1_PKT2_S6_PT3_21rocsparse_index_base_b,comdat
.Lfunc_end56:
	.size	_ZN9rocsparseL27csrmvn_symm_adaptive_kernelIiiaaffEEvbT_S1_PKS1_NS_24const_host_device_scalarIT4_EES3_PKT0_PKT1_PKT2_S6_PT3_21rocsparse_index_base_b, .Lfunc_end56-_ZN9rocsparseL27csrmvn_symm_adaptive_kernelIiiaaffEEvbT_S1_PKS1_NS_24const_host_device_scalarIT4_EES3_PKT0_PKT1_PKT2_S6_PT3_21rocsparse_index_base_b
                                        ; -- End function
	.set _ZN9rocsparseL27csrmvn_symm_adaptive_kernelIiiaaffEEvbT_S1_PKS1_NS_24const_host_device_scalarIT4_EES3_PKT0_PKT1_PKT2_S6_PT3_21rocsparse_index_base_b.num_vgpr, 16
	.set _ZN9rocsparseL27csrmvn_symm_adaptive_kernelIiiaaffEEvbT_S1_PKS1_NS_24const_host_device_scalarIT4_EES3_PKT0_PKT1_PKT2_S6_PT3_21rocsparse_index_base_b.num_agpr, 0
	.set _ZN9rocsparseL27csrmvn_symm_adaptive_kernelIiiaaffEEvbT_S1_PKS1_NS_24const_host_device_scalarIT4_EES3_PKT0_PKT1_PKT2_S6_PT3_21rocsparse_index_base_b.numbered_sgpr, 41
	.set _ZN9rocsparseL27csrmvn_symm_adaptive_kernelIiiaaffEEvbT_S1_PKS1_NS_24const_host_device_scalarIT4_EES3_PKT0_PKT1_PKT2_S6_PT3_21rocsparse_index_base_b.num_named_barrier, 0
	.set _ZN9rocsparseL27csrmvn_symm_adaptive_kernelIiiaaffEEvbT_S1_PKS1_NS_24const_host_device_scalarIT4_EES3_PKT0_PKT1_PKT2_S6_PT3_21rocsparse_index_base_b.private_seg_size, 0
	.set _ZN9rocsparseL27csrmvn_symm_adaptive_kernelIiiaaffEEvbT_S1_PKS1_NS_24const_host_device_scalarIT4_EES3_PKT0_PKT1_PKT2_S6_PT3_21rocsparse_index_base_b.uses_vcc, 1
	.set _ZN9rocsparseL27csrmvn_symm_adaptive_kernelIiiaaffEEvbT_S1_PKS1_NS_24const_host_device_scalarIT4_EES3_PKT0_PKT1_PKT2_S6_PT3_21rocsparse_index_base_b.uses_flat_scratch, 0
	.set _ZN9rocsparseL27csrmvn_symm_adaptive_kernelIiiaaffEEvbT_S1_PKS1_NS_24const_host_device_scalarIT4_EES3_PKT0_PKT1_PKT2_S6_PT3_21rocsparse_index_base_b.has_dyn_sized_stack, 0
	.set _ZN9rocsparseL27csrmvn_symm_adaptive_kernelIiiaaffEEvbT_S1_PKS1_NS_24const_host_device_scalarIT4_EES3_PKT0_PKT1_PKT2_S6_PT3_21rocsparse_index_base_b.has_recursion, 0
	.set _ZN9rocsparseL27csrmvn_symm_adaptive_kernelIiiaaffEEvbT_S1_PKS1_NS_24const_host_device_scalarIT4_EES3_PKT0_PKT1_PKT2_S6_PT3_21rocsparse_index_base_b.has_indirect_call, 0
	.section	.AMDGPU.csdata,"",@progbits
; Kernel info:
; codeLenInByte = 5564
; TotalNumSgprs: 47
; NumVgprs: 16
; NumAgprs: 0
; TotalNumVgprs: 16
; ScratchSize: 0
; MemoryBound: 0
; FloatMode: 240
; IeeeMode: 1
; LDSByteSize: 4096 bytes/workgroup (compile time only)
; SGPRBlocks: 5
; VGPRBlocks: 1
; NumSGPRsForWavesPerEU: 47
; NumVGPRsForWavesPerEU: 16
; AccumOffset: 16
; Occupancy: 8
; WaveLimiterHint : 1
; COMPUTE_PGM_RSRC2:SCRATCH_EN: 0
; COMPUTE_PGM_RSRC2:USER_SGPR: 2
; COMPUTE_PGM_RSRC2:TRAP_HANDLER: 0
; COMPUTE_PGM_RSRC2:TGID_X_EN: 1
; COMPUTE_PGM_RSRC2:TGID_Y_EN: 0
; COMPUTE_PGM_RSRC2:TGID_Z_EN: 0
; COMPUTE_PGM_RSRC2:TIDIG_COMP_CNT: 0
; COMPUTE_PGM_RSRC3_GFX90A:ACCUM_OFFSET: 3
; COMPUTE_PGM_RSRC3_GFX90A:TG_SPLIT: 0
	.section	.text._ZL33csrmvn_symm_large_adaptive_kernelIiiaaffEvbT_PKS0_N9rocsparse24const_host_device_scalarIT4_EES2_PKT0_PKT1_PKT2_S6_PT3_21rocsparse_index_base_b,"axG",@progbits,_ZL33csrmvn_symm_large_adaptive_kernelIiiaaffEvbT_PKS0_N9rocsparse24const_host_device_scalarIT4_EES2_PKT0_PKT1_PKT2_S6_PT3_21rocsparse_index_base_b,comdat
	.globl	_ZL33csrmvn_symm_large_adaptive_kernelIiiaaffEvbT_PKS0_N9rocsparse24const_host_device_scalarIT4_EES2_PKT0_PKT1_PKT2_S6_PT3_21rocsparse_index_base_b ; -- Begin function _ZL33csrmvn_symm_large_adaptive_kernelIiiaaffEvbT_PKS0_N9rocsparse24const_host_device_scalarIT4_EES2_PKT0_PKT1_PKT2_S6_PT3_21rocsparse_index_base_b
	.p2align	8
	.type	_ZL33csrmvn_symm_large_adaptive_kernelIiiaaffEvbT_PKS0_N9rocsparse24const_host_device_scalarIT4_EES2_PKT0_PKT1_PKT2_S6_PT3_21rocsparse_index_base_b,@function
_ZL33csrmvn_symm_large_adaptive_kernelIiiaaffEvbT_PKS0_N9rocsparse24const_host_device_scalarIT4_EES2_PKT0_PKT1_PKT2_S6_PT3_21rocsparse_index_base_b: ; @_ZL33csrmvn_symm_large_adaptive_kernelIiiaaffEvbT_PKS0_N9rocsparse24const_host_device_scalarIT4_EES2_PKT0_PKT1_PKT2_S6_PT3_21rocsparse_index_base_b
; %bb.0:
	s_load_dwordx2 s[16:17], s[0:1], 0x48
	s_load_dwordx2 s[18:19], s[0:1], 0x10
	;; [unrolled: 1-line block ×3, first 2 shown]
	s_waitcnt lgkmcnt(0)
	s_bitcmp1_b32 s17, 0
	s_cselect_b64 s[8:9], -1, 0
	s_xor_b64 s[6:7], s[8:9], -1
	s_and_b64 vcc, exec, s[8:9]
	s_cbranch_vccnz .LBB57_2
; %bb.1:
	s_load_dword s18, s[18:19], 0x0
.LBB57_2:
	s_andn2_b64 vcc, exec, s[6:7]
	s_cbranch_vccnz .LBB57_4
; %bb.3:
	s_load_dword s4, s[4:5], 0x0
.LBB57_4:
	s_waitcnt lgkmcnt(0)
	v_cmp_neq_f32_e64 s[6:7], s18, 0
	v_cmp_neq_f32_e64 s[4:5], s4, 1.0
	s_or_b64 s[4:5], s[6:7], s[4:5]
	s_andn2_b64 vcc, exec, s[4:5]
	s_cbranch_vccnz .LBB57_32
; %bb.5:
	s_load_dwordx2 s[4:5], s[0:1], 0x8
	s_ashr_i32 s3, s2, 31
	s_lshl_b64 s[2:3], s[2:3], 2
	v_lshlrev_b32_e32 v7, 2, v0
	v_mov_b32_e32 v8, 0
	s_waitcnt lgkmcnt(0)
	s_add_u32 s2, s4, s2
	s_addc_u32 s3, s5, s3
	ds_write2st64_b32 v7, v8, v8 offset1:4
	ds_write2st64_b32 v7, v8, v8 offset0:8 offset1:12
	s_waitcnt lgkmcnt(0)
	s_barrier
	s_load_dwordx2 s[20:21], s[2:3], 0x0
	s_load_dwordx8 s[8:15], s[0:1], 0x18
	s_load_dwordx2 s[22:23], s[0:1], 0x40
	v_subrev_u32_e32 v6, s16, v0
	s_waitcnt lgkmcnt(0)
	s_cmp_ge_i32 s20, s21
	s_cbranch_scc1 .LBB57_23
; %bb.6:
	v_cmp_gt_u32_e32 vcc, 64, v0
	v_cmp_gt_u32_e64 s[0:1], 16, v0
	v_cmp_gt_u32_e64 s[2:3], 4, v0
	v_cmp_eq_u32_e64 s[4:5], 0, v0
	s_mov_b64 s[24:25], 0x400
	s_mov_b64 s[26:27], 0x100
	s_mov_b32 s28, s20
	s_branch .LBB57_8
.LBB57_7:                               ;   in Loop: Header=BB57_8 Depth=1
	s_or_b64 exec, exec, s[34:35]
	s_add_i32 s28, s28, 1
	s_cmp_ge_i32 s28, s21
	s_cbranch_scc1 .LBB57_23
.LBB57_8:                               ; =>This Loop Header: Depth=1
                                        ;     Child Loop BB57_10 Depth 2
	s_ashr_i32 s29, s28, 31
	s_lshl_b64 s[30:31], s[28:29], 2
	s_add_u32 s6, s8, s30
	s_addc_u32 s7, s9, s31
	s_load_dwordx2 s[34:35], s[6:7], 0x0
	v_mov_b32_e32 v1, 0
	s_waitcnt lgkmcnt(0)
	v_add_u32_e32 v0, s34, v6
	s_sub_i32 s17, s35, s16
	v_cmp_gt_i32_e64 s[6:7], s17, v0
	s_and_saveexec_b64 s[34:35], s[6:7]
	s_cbranch_execz .LBB57_12
; %bb.9:                                ;   in Loop: Header=BB57_8 Depth=1
	v_ashrrev_i32_e32 v1, 31, v0
	v_lshl_add_u64 v[2:3], v[0:1], 2, s[10:11]
	v_lshl_add_u64 v[4:5], s[12:13], 0, v[0:1]
	v_mov_b32_e32 v1, 0
	s_mov_b64 s[36:37], 0
.LBB57_10:                              ;   Parent Loop BB57_8 Depth=1
                                        ; =>  This Inner Loop Header: Depth=2
	global_load_dword v9, v[2:3], off
	global_load_sbyte v12, v[4:5], off
	v_add_u32_e32 v0, 0x100, v0
	v_cmp_le_i32_e64 s[6:7], s17, v0
	v_lshl_add_u64 v[2:3], v[2:3], 0, s[24:25]
	v_lshl_add_u64 v[4:5], v[4:5], 0, s[26:27]
	s_or_b64 s[36:37], s[6:7], s[36:37]
	s_waitcnt vmcnt(1)
	v_subrev_u32_e32 v10, s16, v9
	v_ashrrev_i32_e32 v11, 31, v10
	v_lshl_add_u64 v[10:11], s[14:15], 0, v[10:11]
	global_load_sbyte v9, v[10:11], off
	s_waitcnt vmcnt(1)
	v_cvt_f32_i32_e32 v10, v12
	s_waitcnt vmcnt(0)
	v_cvt_f32_i32_e32 v9, v9
	v_fmac_f32_e32 v1, v10, v9
	s_andn2_b64 exec, exec, s[36:37]
	s_cbranch_execnz .LBB57_10
; %bb.11:                               ;   in Loop: Header=BB57_8 Depth=1
	s_or_b64 exec, exec, s[36:37]
.LBB57_12:                              ;   in Loop: Header=BB57_8 Depth=1
	s_or_b64 exec, exec, s[34:35]
	ds_write_b32 v7, v1
	s_waitcnt lgkmcnt(0)
	s_barrier
	ds_read2st64_b32 v[0:1], v7 offset1:4
	ds_read2st64_b32 v[2:3], v7 offset0:8 offset1:12
	s_waitcnt lgkmcnt(0)
	v_add_f32_e32 v1, v1, v2
	v_add_f32_e32 v1, v1, v3
	;; [unrolled: 1-line block ×3, first 2 shown]
	ds_write_b32 v7, v0
	s_waitcnt lgkmcnt(0)
	s_barrier
	s_and_saveexec_b64 s[6:7], vcc
	s_cbranch_execz .LBB57_14
; %bb.13:                               ;   in Loop: Header=BB57_8 Depth=1
	ds_read2st64_b32 v[0:1], v7 offset1:1
	ds_read2st64_b32 v[2:3], v7 offset0:2 offset1:3
	s_waitcnt lgkmcnt(0)
	v_add_f32_e32 v1, v1, v2
	v_add_f32_e32 v1, v1, v3
	;; [unrolled: 1-line block ×3, first 2 shown]
	ds_write_b32 v7, v0
.LBB57_14:                              ;   in Loop: Header=BB57_8 Depth=1
	s_or_b64 exec, exec, s[6:7]
	s_waitcnt lgkmcnt(0)
	s_barrier
	s_and_saveexec_b64 s[6:7], s[0:1]
	s_cbranch_execz .LBB57_16
; %bb.15:                               ;   in Loop: Header=BB57_8 Depth=1
	ds_read2_b32 v[0:1], v7 offset1:16
	ds_read2_b32 v[2:3], v7 offset0:32 offset1:48
	s_waitcnt lgkmcnt(0)
	v_add_f32_e32 v1, v1, v2
	v_add_f32_e32 v1, v1, v3
	;; [unrolled: 1-line block ×3, first 2 shown]
	ds_write_b32 v7, v0
.LBB57_16:                              ;   in Loop: Header=BB57_8 Depth=1
	s_or_b64 exec, exec, s[6:7]
	s_waitcnt lgkmcnt(0)
	s_barrier
	s_and_saveexec_b64 s[6:7], s[2:3]
	s_cbranch_execz .LBB57_18
; %bb.17:                               ;   in Loop: Header=BB57_8 Depth=1
	ds_read2_b32 v[0:1], v7 offset1:4
	ds_read2_b32 v[2:3], v7 offset0:8 offset1:12
	s_waitcnt lgkmcnt(0)
	v_add_f32_e32 v1, v1, v2
	v_add_f32_e32 v1, v1, v3
	;; [unrolled: 1-line block ×3, first 2 shown]
	ds_write_b32 v7, v0
.LBB57_18:                              ;   in Loop: Header=BB57_8 Depth=1
	s_or_b64 exec, exec, s[6:7]
	s_waitcnt lgkmcnt(0)
	s_barrier
	s_and_saveexec_b64 s[6:7], s[4:5]
	s_cbranch_execz .LBB57_20
; %bb.19:                               ;   in Loop: Header=BB57_8 Depth=1
	ds_read2_b32 v[0:1], v8 offset0:1 offset1:2
	ds_read_b32 v2, v8 offset:12
	ds_read_b32 v3, v7
	s_waitcnt lgkmcnt(2)
	v_add_f32_e32 v0, v0, v1
	s_waitcnt lgkmcnt(1)
	v_add_f32_e32 v0, v0, v2
	;; [unrolled: 2-line block ×3, first 2 shown]
	ds_write_b32 v7, v0
.LBB57_20:                              ;   in Loop: Header=BB57_8 Depth=1
	s_or_b64 exec, exec, s[6:7]
	s_waitcnt lgkmcnt(0)
	s_barrier
	s_and_saveexec_b64 s[34:35], s[4:5]
	s_cbranch_execz .LBB57_7
; %bb.21:                               ;   in Loop: Header=BB57_8 Depth=1
	s_mov_b64 s[36:37], exec
	v_mbcnt_lo_u32_b32 v0, s36, 0
	v_mbcnt_hi_u32_b32 v0, s37, v0
	v_cmp_eq_u32_e64 s[6:7], 0, v0
	s_and_b64 s[6:7], exec, s[6:7]
	s_mov_b64 exec, s[6:7]
	s_cbranch_execz .LBB57_7
; %bb.22:                               ;   in Loop: Header=BB57_8 Depth=1
	ds_read_b32 v0, v8
	s_add_u32 s6, s22, s30
	s_addc_u32 s7, s23, s31
	s_bcnt1_i32_b64 s17, s[36:37]
	v_cvt_f32_ubyte0_e32 v1, s17
	s_waitcnt lgkmcnt(0)
	v_mul_f32_e32 v0, s18, v0
	v_mul_f32_e32 v0, v0, v1
	global_atomic_add_f32 v8, v0, s[6:7]
	s_branch .LBB57_7
.LBB57_23:
	s_ashr_i32 s1, s20, 31
	s_mov_b32 s0, s20
	s_lshl_b64 s[0:1], s[0:1], 2
	s_add_u32 s0, s8, s0
	s_addc_u32 s1, s9, s1
	s_ashr_i32 s3, s21, 31
	s_mov_b32 s2, s21
	s_lshl_b64 s[2:3], s[2:3], 2
	s_add_u32 s2, s8, s2
	s_addc_u32 s3, s9, s3
	s_load_dword s4, s[2:3], 0x0
	s_load_dword s5, s[0:1], 0x0
	s_waitcnt lgkmcnt(0)
	s_sub_i32 s17, s4, s16
	v_add_u32_e32 v0, s5, v6
	v_cmp_gt_i32_e32 vcc, s17, v0
	s_and_saveexec_b64 s[0:1], vcc
	s_cbranch_execz .LBB57_32
; %bb.24:
	s_add_i32 s19, s21, -1
	s_cmp_lt_i32 s20, s19
	s_cselect_b64 s[0:1], -1, 0
	s_add_i32 s2, s21, -2
	s_cmp_lg_u32 s20, s2
	s_cselect_b64 s[2:3], -1, 0
	s_and_b64 s[0:1], s[0:1], s[2:3]
	v_cndmask_b32_e64 v1, 0, 1, s[0:1]
	s_mov_b64 s[4:5], 0
	v_cmp_ne_u32_e64 s[0:1], 1, v1
	s_branch .LBB57_26
.LBB57_25:                              ;   in Loop: Header=BB57_26 Depth=1
	s_or_b64 exec, exec, s[2:3]
	v_add_u32_e32 v0, 0x100, v0
	v_cmp_le_i32_e32 vcc, s17, v0
	s_or_b64 s[4:5], vcc, s[4:5]
	s_andn2_b64 exec, exec, s[4:5]
	s_cbranch_execz .LBB57_32
.LBB57_26:                              ; =>This Loop Header: Depth=1
                                        ;     Child Loop BB57_28 Depth 2
	s_and_b64 vcc, exec, s[0:1]
	v_mov_b32_e32 v4, s20
	v_mov_b32_e32 v2, s19
	s_cbranch_vccnz .LBB57_30
; %bb.27:                               ;   in Loop: Header=BB57_26 Depth=1
	s_mov_b64 s[6:7], 0
	v_mov_b32_e32 v4, s20
	v_mov_b32_e32 v2, s19
.LBB57_28:                              ;   Parent Loop BB57_26 Depth=1
                                        ; =>  This Inner Loop Header: Depth=2
	v_add_u32_e32 v1, v2, v4
	v_lshrrev_b32_e32 v3, 31, v1
	v_add_u32_e32 v1, v1, v3
	v_ashrrev_i32_e32 v6, 1, v1
	v_ashrrev_i32_e32 v7, 31, v6
	v_lshl_add_u64 v[8:9], v[6:7], 2, s[8:9]
	global_load_dword v1, v[8:9], off
	s_waitcnt vmcnt(0)
	v_subrev_u32_e32 v1, s16, v1
	v_cmp_lt_i32_e32 vcc, v0, v1
	s_nop 1
	v_cndmask_b32_e32 v2, v2, v6, vcc
	v_cndmask_b32_e32 v4, v6, v4, vcc
	v_add_u32_e32 v1, -1, v2
	v_cmp_ge_i32_e32 vcc, v4, v2
	v_cmp_eq_u32_e64 s[2:3], v4, v1
	s_or_b64 s[2:3], vcc, s[2:3]
	s_and_b64 s[2:3], exec, s[2:3]
	s_or_b64 s[6:7], s[2:3], s[6:7]
	s_andn2_b64 exec, exec, s[6:7]
	s_cbranch_execnz .LBB57_28
; %bb.29:                               ;   in Loop: Header=BB57_26 Depth=1
	s_or_b64 exec, exec, s[6:7]
.LBB57_30:                              ;   in Loop: Header=BB57_26 Depth=1
	v_ashrrev_i32_e32 v3, 31, v2
	v_lshl_add_u64 v[6:7], v[2:3], 2, s[8:9]
	global_load_dword v3, v[6:7], off
	v_ashrrev_i32_e32 v1, 31, v0
	v_lshl_add_u64 v[6:7], v[0:1], 2, s[10:11]
	global_load_dword v5, v[6:7], off
	s_waitcnt vmcnt(1)
	v_subrev_u32_e32 v3, s16, v3
	v_cmp_lt_i32_e32 vcc, v0, v3
	s_nop 1
	v_cndmask_b32_e32 v4, v2, v4, vcc
	s_waitcnt vmcnt(0)
	v_subrev_u32_e32 v2, s16, v5
	v_cmp_ne_u32_e32 vcc, v2, v4
	s_and_saveexec_b64 s[2:3], vcc
	s_cbranch_execz .LBB57_25
; %bb.31:                               ;   in Loop: Header=BB57_26 Depth=1
	v_lshl_add_u64 v[6:7], s[12:13], 0, v[0:1]
	v_ashrrev_i32_e32 v5, 31, v4
	global_load_sbyte v1, v[6:7], off
	v_lshl_add_u64 v[4:5], s[14:15], 0, v[4:5]
	global_load_sbyte v3, v[4:5], off
	s_waitcnt vmcnt(1)
	v_cvt_f32_i32_e32 v1, v1
	s_waitcnt vmcnt(0)
	v_cvt_f32_i32_e32 v4, v3
	v_ashrrev_i32_e32 v3, 31, v2
	v_mul_f32_e32 v1, s18, v1
	v_lshl_add_u64 v[2:3], v[2:3], 2, s[22:23]
	v_mul_f32_e32 v1, v1, v4
	global_atomic_add_f32 v[2:3], v1, off
	s_branch .LBB57_25
.LBB57_32:
	s_endpgm
	.section	.rodata,"a",@progbits
	.p2align	6, 0x0
	.amdhsa_kernel _ZL33csrmvn_symm_large_adaptive_kernelIiiaaffEvbT_PKS0_N9rocsparse24const_host_device_scalarIT4_EES2_PKT0_PKT1_PKT2_S6_PT3_21rocsparse_index_base_b
		.amdhsa_group_segment_fixed_size 4096
		.amdhsa_private_segment_fixed_size 0
		.amdhsa_kernarg_size 80
		.amdhsa_user_sgpr_count 2
		.amdhsa_user_sgpr_dispatch_ptr 0
		.amdhsa_user_sgpr_queue_ptr 0
		.amdhsa_user_sgpr_kernarg_segment_ptr 1
		.amdhsa_user_sgpr_dispatch_id 0
		.amdhsa_user_sgpr_kernarg_preload_length 0
		.amdhsa_user_sgpr_kernarg_preload_offset 0
		.amdhsa_user_sgpr_private_segment_size 0
		.amdhsa_uses_dynamic_stack 0
		.amdhsa_enable_private_segment 0
		.amdhsa_system_sgpr_workgroup_id_x 1
		.amdhsa_system_sgpr_workgroup_id_y 0
		.amdhsa_system_sgpr_workgroup_id_z 0
		.amdhsa_system_sgpr_workgroup_info 0
		.amdhsa_system_vgpr_workitem_id 0
		.amdhsa_next_free_vgpr 13
		.amdhsa_next_free_sgpr 38
		.amdhsa_accum_offset 16
		.amdhsa_reserve_vcc 1
		.amdhsa_float_round_mode_32 0
		.amdhsa_float_round_mode_16_64 0
		.amdhsa_float_denorm_mode_32 3
		.amdhsa_float_denorm_mode_16_64 3
		.amdhsa_dx10_clamp 1
		.amdhsa_ieee_mode 1
		.amdhsa_fp16_overflow 0
		.amdhsa_tg_split 0
		.amdhsa_exception_fp_ieee_invalid_op 0
		.amdhsa_exception_fp_denorm_src 0
		.amdhsa_exception_fp_ieee_div_zero 0
		.amdhsa_exception_fp_ieee_overflow 0
		.amdhsa_exception_fp_ieee_underflow 0
		.amdhsa_exception_fp_ieee_inexact 0
		.amdhsa_exception_int_div_zero 0
	.end_amdhsa_kernel
	.section	.text._ZL33csrmvn_symm_large_adaptive_kernelIiiaaffEvbT_PKS0_N9rocsparse24const_host_device_scalarIT4_EES2_PKT0_PKT1_PKT2_S6_PT3_21rocsparse_index_base_b,"axG",@progbits,_ZL33csrmvn_symm_large_adaptive_kernelIiiaaffEvbT_PKS0_N9rocsparse24const_host_device_scalarIT4_EES2_PKT0_PKT1_PKT2_S6_PT3_21rocsparse_index_base_b,comdat
.Lfunc_end57:
	.size	_ZL33csrmvn_symm_large_adaptive_kernelIiiaaffEvbT_PKS0_N9rocsparse24const_host_device_scalarIT4_EES2_PKT0_PKT1_PKT2_S6_PT3_21rocsparse_index_base_b, .Lfunc_end57-_ZL33csrmvn_symm_large_adaptive_kernelIiiaaffEvbT_PKS0_N9rocsparse24const_host_device_scalarIT4_EES2_PKT0_PKT1_PKT2_S6_PT3_21rocsparse_index_base_b
                                        ; -- End function
	.set _ZL33csrmvn_symm_large_adaptive_kernelIiiaaffEvbT_PKS0_N9rocsparse24const_host_device_scalarIT4_EES2_PKT0_PKT1_PKT2_S6_PT3_21rocsparse_index_base_b.num_vgpr, 13
	.set _ZL33csrmvn_symm_large_adaptive_kernelIiiaaffEvbT_PKS0_N9rocsparse24const_host_device_scalarIT4_EES2_PKT0_PKT1_PKT2_S6_PT3_21rocsparse_index_base_b.num_agpr, 0
	.set _ZL33csrmvn_symm_large_adaptive_kernelIiiaaffEvbT_PKS0_N9rocsparse24const_host_device_scalarIT4_EES2_PKT0_PKT1_PKT2_S6_PT3_21rocsparse_index_base_b.numbered_sgpr, 38
	.set _ZL33csrmvn_symm_large_adaptive_kernelIiiaaffEvbT_PKS0_N9rocsparse24const_host_device_scalarIT4_EES2_PKT0_PKT1_PKT2_S6_PT3_21rocsparse_index_base_b.num_named_barrier, 0
	.set _ZL33csrmvn_symm_large_adaptive_kernelIiiaaffEvbT_PKS0_N9rocsparse24const_host_device_scalarIT4_EES2_PKT0_PKT1_PKT2_S6_PT3_21rocsparse_index_base_b.private_seg_size, 0
	.set _ZL33csrmvn_symm_large_adaptive_kernelIiiaaffEvbT_PKS0_N9rocsparse24const_host_device_scalarIT4_EES2_PKT0_PKT1_PKT2_S6_PT3_21rocsparse_index_base_b.uses_vcc, 1
	.set _ZL33csrmvn_symm_large_adaptive_kernelIiiaaffEvbT_PKS0_N9rocsparse24const_host_device_scalarIT4_EES2_PKT0_PKT1_PKT2_S6_PT3_21rocsparse_index_base_b.uses_flat_scratch, 0
	.set _ZL33csrmvn_symm_large_adaptive_kernelIiiaaffEvbT_PKS0_N9rocsparse24const_host_device_scalarIT4_EES2_PKT0_PKT1_PKT2_S6_PT3_21rocsparse_index_base_b.has_dyn_sized_stack, 0
	.set _ZL33csrmvn_symm_large_adaptive_kernelIiiaaffEvbT_PKS0_N9rocsparse24const_host_device_scalarIT4_EES2_PKT0_PKT1_PKT2_S6_PT3_21rocsparse_index_base_b.has_recursion, 0
	.set _ZL33csrmvn_symm_large_adaptive_kernelIiiaaffEvbT_PKS0_N9rocsparse24const_host_device_scalarIT4_EES2_PKT0_PKT1_PKT2_S6_PT3_21rocsparse_index_base_b.has_indirect_call, 0
	.section	.AMDGPU.csdata,"",@progbits
; Kernel info:
; codeLenInByte = 1344
; TotalNumSgprs: 44
; NumVgprs: 13
; NumAgprs: 0
; TotalNumVgprs: 13
; ScratchSize: 0
; MemoryBound: 0
; FloatMode: 240
; IeeeMode: 1
; LDSByteSize: 4096 bytes/workgroup (compile time only)
; SGPRBlocks: 5
; VGPRBlocks: 1
; NumSGPRsForWavesPerEU: 44
; NumVGPRsForWavesPerEU: 13
; AccumOffset: 16
; Occupancy: 8
; WaveLimiterHint : 1
; COMPUTE_PGM_RSRC2:SCRATCH_EN: 0
; COMPUTE_PGM_RSRC2:USER_SGPR: 2
; COMPUTE_PGM_RSRC2:TRAP_HANDLER: 0
; COMPUTE_PGM_RSRC2:TGID_X_EN: 1
; COMPUTE_PGM_RSRC2:TGID_Y_EN: 0
; COMPUTE_PGM_RSRC2:TGID_Z_EN: 0
; COMPUTE_PGM_RSRC2:TIDIG_COMP_CNT: 0
; COMPUTE_PGM_RSRC3_GFX90A:ACCUM_OFFSET: 3
; COMPUTE_PGM_RSRC3_GFX90A:TG_SPLIT: 0
	.section	.text._ZN9rocsparseL22csrmvn_adaptive_kernelIliaaffEEvbT_PKS1_PjPKT0_NS_24const_host_device_scalarIT4_EES3_S7_PKT1_PKT2_SA_PT3_21rocsparse_index_base_b,"axG",@progbits,_ZN9rocsparseL22csrmvn_adaptive_kernelIliaaffEEvbT_PKS1_PjPKT0_NS_24const_host_device_scalarIT4_EES3_S7_PKT1_PKT2_SA_PT3_21rocsparse_index_base_b,comdat
	.globl	_ZN9rocsparseL22csrmvn_adaptive_kernelIliaaffEEvbT_PKS1_PjPKT0_NS_24const_host_device_scalarIT4_EES3_S7_PKT1_PKT2_SA_PT3_21rocsparse_index_base_b ; -- Begin function _ZN9rocsparseL22csrmvn_adaptive_kernelIliaaffEEvbT_PKS1_PjPKT0_NS_24const_host_device_scalarIT4_EES3_S7_PKT1_PKT2_SA_PT3_21rocsparse_index_base_b
	.p2align	8
	.type	_ZN9rocsparseL22csrmvn_adaptive_kernelIliaaffEEvbT_PKS1_PjPKT0_NS_24const_host_device_scalarIT4_EES3_S7_PKT1_PKT2_SA_PT3_21rocsparse_index_base_b,@function
_ZN9rocsparseL22csrmvn_adaptive_kernelIliaaffEEvbT_PKS1_PjPKT0_NS_24const_host_device_scalarIT4_EES3_S7_PKT1_PKT2_SA_PT3_21rocsparse_index_base_b: ; @_ZN9rocsparseL22csrmvn_adaptive_kernelIliaaffEEvbT_PKS1_PjPKT0_NS_24const_host_device_scalarIT4_EES3_S7_PKT1_PKT2_SA_PT3_21rocsparse_index_base_b
; %bb.0:
	s_load_dwordx2 s[46:47], s[0:1], 0x60
	s_load_dwordx2 s[44:45], s[0:1], 0x28
	;; [unrolled: 1-line block ×3, first 2 shown]
	s_waitcnt lgkmcnt(0)
	s_bitcmp1_b32 s47, 0
	s_cselect_b64 s[6:7], -1, 0
	s_xor_b64 s[4:5], s[6:7], -1
	s_and_b64 vcc, exec, s[6:7]
	s_cbranch_vccnz .LBB58_2
; %bb.1:
	s_load_dword s44, s[44:45], 0x0
.LBB58_2:
	s_andn2_b64 vcc, exec, s[4:5]
	s_cbranch_vccnz .LBB58_4
; %bb.3:
	s_load_dword s22, s[22:23], 0x0
.LBB58_4:
	s_waitcnt lgkmcnt(0)
	v_cmp_neq_f32_e64 s[4:5], s44, 0
	v_cmp_neq_f32_e64 s[6:7], s22, 1.0
	s_or_b64 s[4:5], s[4:5], s[6:7]
	s_andn2_b64 vcc, exec, s[4:5]
	s_cbranch_vccnz .LBB58_120
; %bb.5:
	s_load_dwordx2 s[4:5], s[0:1], 0x10
	s_load_dwordx2 s[6:7], s[0:1], 0x20
	s_ashr_i32 s3, s2, 31
	s_lshl_b64 s[8:9], s[2:3], 3
	s_waitcnt lgkmcnt(0)
	s_add_u32 s4, s4, s8
	s_addc_u32 s5, s5, s9
	s_load_dwordx4 s[36:39], s[4:5], 0x0
	s_load_dwordx2 s[34:35], s[0:1], 0x58
	s_load_dwordx8 s[24:31], s[0:1], 0x30
	s_lshl_b64 s[48:49], s[2:3], 2
	s_waitcnt lgkmcnt(0)
	s_sub_i32 s3, s38, s36
	s_add_u32 s4, s6, s48
	s_addc_u32 s5, s7, s49
	s_lshl_b64 s[6:7], s[36:37], 3
	s_add_u32 s40, s24, s6
	s_addc_u32 s41, s25, s7
	s_load_dword s23, s[4:5], 0x0
	s_load_dwordx2 s[42:43], s[40:41], 0x0
	s_cmp_lt_i32 s3, 2
	s_mov_b64 s[4:5], -1
	s_cbranch_scc0 .LBB58_71
; %bb.6:
	s_cmp_lg_u32 s3, 1
	s_cselect_b64 s[4:5], -1, 0
	s_waitcnt lgkmcnt(0)
	s_cmp_lg_u32 s23, 0
	s_cselect_b64 s[6:7], -1, 0
	s_or_b64 s[6:7], s[4:5], s[6:7]
	s_mov_b64 s[4:5], -1
	s_and_b64 vcc, exec, s[6:7]
	s_cbranch_vccnz .LBB58_35
; %bb.7:
	v_mov_b64_e32 v[2:3], s[36:37]
	v_cmp_le_i64_e32 vcc, s[38:39], v[2:3]
	s_cbranch_vccnz .LBB58_34
; %bb.8:
	v_subrev_co_u32_e32 v2, vcc, s46, v0
	v_cmp_neq_f32_e64 s[20:21], s22, 0
	s_nop 0
	v_subb_co_u32_e64 v3, s[4:5], 0, 0, vcc
	s_movk_i32 s3, 0x80
	v_cndmask_b32_e64 v4, 0, 1, s[20:21]
	v_mov_b32_e32 v1, 0
	v_lshlrev_b32_e32 v10, 2, v0
	v_cmp_gt_u32_e64 s[4:5], s3, v0
	v_cmp_gt_u32_e64 s[6:7], 64, v0
	;; [unrolled: 1-line block ×7, first 2 shown]
	v_cmp_eq_u32_e64 s[18:19], 0, v0
	s_mov_b64 s[50:51], 0x100
	s_mov_b64 s[52:53], 0x400
	v_cmp_ne_u32_e64 s[20:21], 1, v4
	v_mov_b64_e32 v[4:5], s[38:39]
	s_mov_b64 s[54:55], s[36:37]
	s_branch .LBB58_11
.LBB58_9:                               ;   in Loop: Header=BB58_11 Depth=1
	s_lshl_b64 s[58:59], s[54:55], 2
	s_add_u32 s58, s34, s58
	s_addc_u32 s59, s35, s59
	s_waitcnt lgkmcnt(0)
	global_store_dword v1, v6, s[58:59]
.LBB58_10:                              ;   in Loop: Header=BB58_11 Depth=1
	s_or_b64 exec, exec, s[56:57]
	s_add_u32 s54, s54, 1
	s_addc_u32 s55, s55, 0
	v_cmp_ge_i64_e32 vcc, s[54:55], v[4:5]
	s_cbranch_vccnz .LBB58_34
.LBB58_11:                              ; =>This Loop Header: Depth=1
                                        ;     Child Loop BB58_13 Depth 2
	s_lshl_b64 s[56:57], s[54:55], 3
	s_add_u32 s56, s24, s56
	s_addc_u32 s57, s25, s57
	s_load_dwordx4 s[60:63], s[56:57], 0x0
	v_mov_b32_e32 v11, 0
	s_waitcnt lgkmcnt(0)
	s_sub_u32 s56, s62, s46
	v_lshl_add_u64 v[6:7], s[60:61], 0, v[2:3]
	s_subb_u32 s57, s63, 0
	v_cmp_gt_i64_e32 vcc, s[56:57], v[6:7]
	s_and_saveexec_b64 s[58:59], vcc
	s_cbranch_execz .LBB58_15
; %bb.12:                               ;   in Loop: Header=BB58_11 Depth=1
	v_lshl_add_u64 v[8:9], v[6:7], 2, s[26:27]
	v_mov_b32_e32 v11, 0
	s_mov_b64 s[60:61], 0
.LBB58_13:                              ;   Parent Loop BB58_11 Depth=1
                                        ; =>  This Inner Loop Header: Depth=2
	global_load_dword v14, v[8:9], off
	v_lshl_add_u64 v[12:13], s[28:29], 0, v[6:7]
	global_load_sbyte v15, v[12:13], off
	v_lshl_add_u64 v[6:7], v[6:7], 0, s[50:51]
	v_cmp_le_i64_e32 vcc, s[56:57], v[6:7]
	v_lshl_add_u64 v[8:9], v[8:9], 0, s[52:53]
	s_or_b64 s[60:61], vcc, s[60:61]
	s_waitcnt vmcnt(1)
	v_subrev_u32_e32 v12, s46, v14
	v_ashrrev_i32_e32 v13, 31, v12
	v_lshl_add_u64 v[12:13], s[30:31], 0, v[12:13]
	global_load_sbyte v12, v[12:13], off
	s_waitcnt vmcnt(1)
	v_cvt_f32_i32_e32 v13, v15
	v_mul_f32_e32 v13, s44, v13
	s_waitcnt vmcnt(0)
	v_cvt_f32_i32_e32 v12, v12
	v_fmac_f32_e32 v11, v13, v12
	s_andn2_b64 exec, exec, s[60:61]
	s_cbranch_execnz .LBB58_13
; %bb.14:                               ;   in Loop: Header=BB58_11 Depth=1
	s_or_b64 exec, exec, s[60:61]
.LBB58_15:                              ;   in Loop: Header=BB58_11 Depth=1
	s_or_b64 exec, exec, s[58:59]
	ds_write_b32 v10, v11
	s_waitcnt lgkmcnt(0)
	s_barrier
	s_and_saveexec_b64 s[56:57], s[4:5]
	s_cbranch_execz .LBB58_17
; %bb.16:                               ;   in Loop: Header=BB58_11 Depth=1
	ds_read2st64_b32 v[6:7], v10 offset1:2
	s_waitcnt lgkmcnt(0)
	v_add_f32_e32 v6, v6, v7
	ds_write_b32 v10, v6
.LBB58_17:                              ;   in Loop: Header=BB58_11 Depth=1
	s_or_b64 exec, exec, s[56:57]
	s_waitcnt lgkmcnt(0)
	s_barrier
	s_and_saveexec_b64 s[56:57], s[6:7]
	s_cbranch_execz .LBB58_19
; %bb.18:                               ;   in Loop: Header=BB58_11 Depth=1
	ds_read2st64_b32 v[6:7], v10 offset1:1
	s_waitcnt lgkmcnt(0)
	v_add_f32_e32 v6, v6, v7
	ds_write_b32 v10, v6
.LBB58_19:                              ;   in Loop: Header=BB58_11 Depth=1
	s_or_b64 exec, exec, s[56:57]
	s_waitcnt lgkmcnt(0)
	s_barrier
	s_and_saveexec_b64 s[56:57], s[8:9]
	s_cbranch_execz .LBB58_21
; %bb.20:                               ;   in Loop: Header=BB58_11 Depth=1
	ds_read2_b32 v[6:7], v10 offset1:32
	s_waitcnt lgkmcnt(0)
	v_add_f32_e32 v6, v6, v7
	ds_write_b32 v10, v6
.LBB58_21:                              ;   in Loop: Header=BB58_11 Depth=1
	s_or_b64 exec, exec, s[56:57]
	s_waitcnt lgkmcnt(0)
	s_barrier
	s_and_saveexec_b64 s[56:57], s[10:11]
	s_cbranch_execz .LBB58_23
; %bb.22:                               ;   in Loop: Header=BB58_11 Depth=1
	ds_read2_b32 v[6:7], v10 offset1:16
	s_waitcnt lgkmcnt(0)
	v_add_f32_e32 v6, v6, v7
	ds_write_b32 v10, v6
.LBB58_23:                              ;   in Loop: Header=BB58_11 Depth=1
	;; [unrolled: 11-line block ×5, first 2 shown]
	s_or_b64 exec, exec, s[56:57]
	s_waitcnt lgkmcnt(0)
	s_barrier
	s_and_saveexec_b64 s[56:57], s[18:19]
	s_cbranch_execz .LBB58_31
; %bb.30:                               ;   in Loop: Header=BB58_11 Depth=1
	ds_read_b64 v[6:7], v1
	s_waitcnt lgkmcnt(0)
	v_add_f32_e32 v6, v6, v7
	ds_write_b32 v1, v6
.LBB58_31:                              ;   in Loop: Header=BB58_11 Depth=1
	s_or_b64 exec, exec, s[56:57]
	s_waitcnt lgkmcnt(0)
	s_barrier
	s_and_saveexec_b64 s[56:57], s[18:19]
	s_cbranch_execz .LBB58_10
; %bb.32:                               ;   in Loop: Header=BB58_11 Depth=1
	ds_read_b32 v6, v1
	s_and_b64 vcc, exec, s[20:21]
	s_cbranch_vccnz .LBB58_9
; %bb.33:                               ;   in Loop: Header=BB58_11 Depth=1
	s_lshl_b64 s[58:59], s[54:55], 2
	s_add_u32 s58, s34, s58
	s_addc_u32 s59, s35, s59
	global_load_dword v7, v1, s[58:59]
	s_waitcnt vmcnt(0) lgkmcnt(0)
	v_fmac_f32_e32 v6, s22, v7
	s_branch .LBB58_9
.LBB58_34:
	s_mov_b64 s[4:5], 0
.LBB58_35:
	s_andn2_b64 vcc, exec, s[4:5]
	s_cbranch_vccnz .LBB58_70
; %bb.36:
	s_load_dwordx2 s[4:5], s[0:1], 0x18
	s_sub_i32 s6, s2, s23
	v_mov_b32_e32 v1, 0
	v_or_b32_e32 v2, s23, v0
	v_cmp_eq_u32_e32 vcc, 0, v2
	s_waitcnt lgkmcnt(0)
	s_add_u32 s2, s4, s48
	s_addc_u32 s3, s5, s49
	global_load_dword v6, v1, s[2:3]
	v_mov_b32_e32 v7, 0
	s_and_saveexec_b64 s[8:9], vcc
	s_cbranch_execz .LBB58_40
; %bb.37:
	s_lshl_b64 s[12:13], s[36:37], 2
	s_add_u32 s12, s34, s12
	s_addc_u32 s13, s35, s13
	v_mov_b32_e32 v4, 0
	global_load_dword v2, v4, s[12:13]
	s_mov_b64 s[10:11], exec
	v_mbcnt_lo_u32_b32 v5, s10, 0
	v_mbcnt_hi_u32_b32 v5, s11, v5
	v_add_f32_e64 v3, s22, -1.0
	v_cmp_eq_u32_e32 vcc, 0, v5
	s_waitcnt vmcnt(0) expcnt(0) lgkmcnt(0)
	s_and_saveexec_b64 s[12:13], vcc
	s_cbranch_execz .LBB58_39
; %bb.38:
	s_ashr_i32 s7, s6, 31
	s_lshl_b64 s[14:15], s[6:7], 2
	s_add_u32 s14, s4, s14
	s_addc_u32 s15, s5, s15
	s_bcnt1_i32_b64 s7, s[10:11]
	s_and_b32 s7, s7, 1
	v_mov_b32_e32 v5, s7
	global_atomic_xor v4, v5, s[14:15]
.LBB58_39:
	s_or_b64 exec, exec, s[12:13]
	v_mul_f32_e32 v7, v3, v2
.LBB58_40:
	s_or_b64 exec, exec, s[8:9]
	s_load_dwordx2 s[8:9], s[40:41], 0x8
	s_sub_u32 s11, s42, s46
	s_mul_i32 s10, s23, 0xc00
	s_subb_u32 s13, s43, 0
	s_mul_hi_i32 s7, s23, 0xc00
	s_add_u32 s12, s11, s10
	s_addc_u32 s13, s13, s7
	s_waitcnt lgkmcnt(0)
	s_sub_u32 s10, s8, s46
	s_subb_u32 s11, s9, 0
	v_lshl_add_u64 v[2:3], s[12:13], 0, v[0:1]
	v_cmp_gt_i64_e32 vcc, s[10:11], v[2:3]
	s_and_saveexec_b64 s[8:9], vcc
	s_cbranch_execz .LBB58_44
; %bb.41:
	s_add_u32 s12, s12, 0xc00
	s_addc_u32 s13, s13, 0
	v_mov_b64_e32 v[4:5], s[10:11]
	v_cmp_lt_i64_e32 vcc, s[12:13], v[4:5]
	s_and_b64 s[14:15], vcc, exec
	s_cselect_b32 s11, s13, s11
	s_cselect_b32 s10, s12, s10
	v_lshl_add_u64 v[4:5], v[2:3], 2, s[26:27]
	s_mov_b64 s[12:13], 0
	s_mov_b64 s[14:15], 0x100
	;; [unrolled: 1-line block ×3, first 2 shown]
.LBB58_42:                              ; =>This Inner Loop Header: Depth=1
	global_load_dword v1, v[4:5], off
	v_lshl_add_u64 v[8:9], s[28:29], 0, v[2:3]
	global_load_sbyte v10, v[8:9], off
	v_lshl_add_u64 v[2:3], v[2:3], 0, s[14:15]
	v_cmp_le_i64_e32 vcc, s[10:11], v[2:3]
	v_lshl_add_u64 v[4:5], v[4:5], 0, s[16:17]
	s_or_b64 s[12:13], vcc, s[12:13]
	s_waitcnt vmcnt(1)
	v_subrev_u32_e32 v8, s46, v1
	v_ashrrev_i32_e32 v9, 31, v8
	v_lshl_add_u64 v[8:9], s[30:31], 0, v[8:9]
	global_load_sbyte v1, v[8:9], off
	s_waitcnt vmcnt(1)
	v_cvt_f32_i32_e32 v8, v10
	v_mul_f32_e32 v8, s44, v8
	s_waitcnt vmcnt(0)
	v_cvt_f32_i32_e32 v1, v1
	v_fmac_f32_e32 v7, v8, v1
	s_andn2_b64 exec, exec, s[12:13]
	s_cbranch_execnz .LBB58_42
; %bb.43:
	s_or_b64 exec, exec, s[12:13]
.LBB58_44:
	s_or_b64 exec, exec, s[8:9]
	s_movk_i32 s7, 0x80
	v_lshlrev_b32_e32 v1, 2, v0
	v_cmp_gt_u32_e32 vcc, s7, v0
	ds_write_b32 v1, v7
	s_waitcnt lgkmcnt(0)
	s_barrier
	s_and_saveexec_b64 s[8:9], vcc
	s_cbranch_execz .LBB58_46
; %bb.45:
	ds_read2st64_b32 v[2:3], v1 offset1:2
	s_waitcnt lgkmcnt(0)
	v_add_f32_e32 v2, v2, v3
	ds_write_b32 v1, v2
.LBB58_46:
	s_or_b64 exec, exec, s[8:9]
	v_cmp_gt_u32_e32 vcc, 64, v0
	s_waitcnt lgkmcnt(0)
	s_barrier
	s_and_saveexec_b64 s[8:9], vcc
	s_cbranch_execz .LBB58_48
; %bb.47:
	ds_read2st64_b32 v[2:3], v1 offset1:1
	s_waitcnt lgkmcnt(0)
	v_add_f32_e32 v2, v2, v3
	ds_write_b32 v1, v2
.LBB58_48:
	s_or_b64 exec, exec, s[8:9]
	v_cmp_gt_u32_e32 vcc, 32, v0
	s_waitcnt lgkmcnt(0)
	s_barrier
	s_and_saveexec_b64 s[8:9], vcc
	s_cbranch_execz .LBB58_50
; %bb.49:
	ds_read2_b32 v[2:3], v1 offset1:32
	s_waitcnt lgkmcnt(0)
	v_add_f32_e32 v2, v2, v3
	ds_write_b32 v1, v2
.LBB58_50:
	s_or_b64 exec, exec, s[8:9]
	v_cmp_gt_u32_e32 vcc, 16, v0
	s_waitcnt lgkmcnt(0)
	s_barrier
	s_and_saveexec_b64 s[8:9], vcc
	s_cbranch_execz .LBB58_52
; %bb.51:
	ds_read2_b32 v[2:3], v1 offset1:16
	s_waitcnt lgkmcnt(0)
	v_add_f32_e32 v2, v2, v3
	ds_write_b32 v1, v2
.LBB58_52:
	;; [unrolled: 12-line block ×5, first 2 shown]
	s_or_b64 exec, exec, s[8:9]
	v_cmp_eq_u32_e32 vcc, 0, v0
	s_waitcnt lgkmcnt(0)
	s_barrier
	s_and_saveexec_b64 s[8:9], vcc
	s_cbranch_execz .LBB58_60
; %bb.59:
	v_mov_b32_e32 v1, 0
	ds_read_b64 v[2:3], v1
	s_waitcnt lgkmcnt(0)
	v_add_f32_e32 v2, v2, v3
	ds_write_b32 v1, v2
.LBB58_60:
	s_or_b64 exec, exec, s[8:9]
	s_waitcnt lgkmcnt(0)
	s_barrier
	s_and_saveexec_b64 s[8:9], vcc
	s_cbranch_execz .LBB58_69
; %bb.61:
	s_cmp_eq_u32 s23, 0
	s_cbranch_scc1 .LBB58_67
; %bb.62:
	s_ashr_i32 s7, s6, 31
	s_lshl_b64 s[6:7], s[6:7], 2
	s_add_u32 s4, s4, s6
	s_addc_u32 s5, s5, s7
	v_mov_b32_e32 v1, 0
	s_branch .LBB58_64
.LBB58_63:                              ;   in Loop: Header=BB58_64 Depth=1
	s_or_b64 exec, exec, s[6:7]
	s_waitcnt vmcnt(0)
	v_readfirstlane_b32 s6, v2
	s_nop 1
	v_cmp_eq_u32_e32 vcc, s6, v6
	s_cbranch_vccz .LBB58_66
.LBB58_64:                              ; =>This Inner Loop Header: Depth=1
	v_mbcnt_lo_u32_b32 v2, exec_lo, 0
	v_mbcnt_hi_u32_b32 v2, exec_hi, v2
	v_cmp_eq_u32_e32 vcc, 0, v2
                                        ; implicit-def: $vgpr2
	s_and_saveexec_b64 s[6:7], vcc
	s_cbranch_execz .LBB58_63
; %bb.65:                               ;   in Loop: Header=BB58_64 Depth=1
	global_load_dword v2, v1, s[4:5] sc1
	s_branch .LBB58_63
.LBB58_66:
	v_mov_b32_e32 v1, 0
	global_load_ushort v2, v1, s[2:3]
	s_waitcnt vmcnt(0)
	v_xor_b32_e32 v2, 1, v2
	global_store_short v1, v2, s[2:3]
.LBB58_67:
	s_mov_b64 s[2:3], exec
	v_mbcnt_lo_u32_b32 v1, s2, 0
	v_mbcnt_hi_u32_b32 v1, s3, v1
	v_cmp_eq_u32_e32 vcc, 0, v1
	s_and_b64 s[4:5], exec, vcc
	s_mov_b64 exec, s[4:5]
	s_cbranch_execz .LBB58_69
; %bb.68:
	v_mov_b32_e32 v1, 0
	ds_read_b32 v2, v1
	s_lshl_b64 s[4:5], s[36:37], 2
	s_add_u32 s4, s34, s4
	s_addc_u32 s5, s35, s5
	s_bcnt1_i32_b64 s2, s[2:3]
	v_cvt_f32_ubyte0_e32 v3, s2
	s_waitcnt lgkmcnt(0)
	v_mul_f32_e32 v2, v2, v3
	global_atomic_add_f32 v1, v2, s[4:5]
.LBB58_69:
	s_or_b64 exec, exec, s[8:9]
.LBB58_70:
	s_mov_b64 s[4:5], 0
.LBB58_71:
	s_andn2_b64 vcc, exec, s[4:5]
	s_cbranch_vccnz .LBB58_120
; %bb.72:
	s_load_dwordx2 s[0:1], s[0:1], 0x8
	v_subrev_co_u32_e32 v2, vcc, s46, v0
	v_mov_b32_e32 v1, 0
	s_nop 0
	v_subb_co_u32_e64 v3, s[2:3], 0, 0, vcc
	s_waitcnt lgkmcnt(0)
	v_lshl_add_u64 v[2:3], s[42:43], 0, v[2:3]
	s_mov_b64 s[2:3], 0x300
	v_lshl_add_u64 v[4:5], v[2:3], 0, s[2:3]
	v_cmp_le_i64_e32 vcc, s[0:1], v[4:5]
	s_and_saveexec_b64 s[0:1], vcc
	s_xor_b64 s[0:1], exec, s[0:1]
	s_cbranch_execz .LBB58_82
; %bb.73:
	s_lshl_b64 s[2:3], s[38:39], 3
	s_add_u32 s2, s24, s2
	s_addc_u32 s3, s25, s3
	s_load_dwordx2 s[2:3], s[2:3], 0x0
	s_waitcnt lgkmcnt(0)
	s_sub_u32 s2, s2, s46
	s_subb_u32 s3, s3, 0
	v_cmp_gt_i64_e32 vcc, s[2:3], v[2:3]
	s_and_saveexec_b64 s[4:5], vcc
	s_cbranch_execz .LBB58_81
; %bb.74:
	v_lshl_add_u64 v[4:5], s[42:43], 0, v[0:1]
	v_subrev_co_u32_e32 v4, vcc, s46, v4
	s_mov_b64 s[6:7], 0x100
	s_nop 0
	v_subbrev_co_u32_e32 v5, vcc, 0, v5, vcc
	v_lshl_add_u64 v[4:5], v[4:5], 0, s[6:7]
	s_waitcnt vmcnt(0)
	v_mov_b32_e32 v6, s3
	v_cmp_lt_i64_e32 vcc, s[2:3], v[4:5]
	s_not_b64 s[8:9], s[42:43]
	s_add_u32 s8, s8, s46
	v_cndmask_b32_e32 v5, v6, v5, vcc
	v_mov_b32_e32 v6, s2
	v_cndmask_b32_e32 v4, v6, v4, vcc
	s_addc_u32 s9, s9, 0
	v_lshl_add_u64 v[4:5], s[8:9], 0, v[4:5]
	v_sub_co_u32_e32 v4, vcc, v4, v0
	s_mov_b64 s[8:9], 0xff
	s_nop 0
	v_subbrev_co_u32_e32 v5, vcc, 0, v5, vcc
	v_cmp_lt_u64_e32 vcc, s[8:9], v[4:5]
	s_mov_b64 s[10:11], -1
	v_mov_b64_e32 v[8:9], 0
	s_and_saveexec_b64 s[8:9], vcc
	s_cbranch_execz .LBB58_78
; %bb.75:
	v_lshrrev_b64 v[4:5], 8, v[4:5]
	v_lshl_add_u64 v[4:5], v[4:5], 0, 1
	v_and_b32_e32 v6, -2, v4
	v_mov_b32_e32 v7, v5
	v_lshlrev_b32_e32 v12, 2, v0
	v_mov_b32_e32 v8, v2
	v_mov_b32_e32 v9, v3
	s_mov_b32 s45, s44
	s_mov_b32 s14, s46
	s_mov_b64 s[10:11], 0
	v_mov_b64_e32 v[10:11], v[6:7]
	s_mov_b64 s[12:13], 0
.LBB58_76:                              ; =>This Inner Loop Header: Depth=1
	v_lshl_add_u64 v[16:17], s[12:13], 0, v[2:3]
	v_lshl_add_u64 v[14:15], s[6:7], 0, v[8:9]
	;; [unrolled: 1-line block ×4, first 2 shown]
	global_load_dword v13, v[18:19], off
	global_load_dword v22, v[20:21], off
	v_lshl_add_u64 v[16:17], s[28:29], 0, v[16:17]
	v_lshl_add_u64 v[14:15], s[28:29], 0, v[14:15]
	global_load_sbyte v18, v[16:17], off
	global_load_sbyte v19, v[14:15], off
	v_lshl_add_u32 v21, s12, 2, v12
	s_add_u32 s12, s12, 0x200
	s_addc_u32 s13, s13, 0
	v_lshl_add_u64 v[10:11], v[10:11], 0, -2
	v_cmp_eq_u64_e32 vcc, 0, v[10:11]
	s_waitcnt vmcnt(3)
	v_subrev_u32_e32 v14, s46, v13
	s_waitcnt vmcnt(2)
	v_subrev_u32_e32 v16, s14, v22
	v_ashrrev_i32_e32 v17, 31, v16
	v_ashrrev_i32_e32 v15, 31, v14
	v_lshl_add_u64 v[16:17], s[30:31], 0, v[16:17]
	v_lshl_add_u64 v[14:15], s[30:31], 0, v[14:15]
	global_load_sbyte v13, v[16:17], off
	global_load_sbyte v20, v[14:15], off
	s_waitcnt vmcnt(2)
	v_cvt_f32_i32_e32 v15, v19
	v_cvt_f32_i32_e32 v14, v18
	v_lshl_add_u32 v22, s6, 2, v12
	s_add_u32 s6, s6, 0x200
	s_addc_u32 s7, s7, 0
	v_pk_mul_f32 v[14:15], s[44:45], v[14:15]
	s_or_b64 s[10:11], vcc, s[10:11]
	s_waitcnt vmcnt(1)
	v_cvt_f32_i32_e32 v17, v13
	s_waitcnt vmcnt(0)
	v_cvt_f32_i32_e32 v16, v20
	v_pk_mul_f32 v[14:15], v[14:15], v[16:17]
	ds_write_b32 v21, v14
	ds_write_b32 v22, v15
	s_andn2_b64 exec, exec, s[10:11]
	s_cbranch_execnz .LBB58_76
; %bb.77:
	s_or_b64 exec, exec, s[10:11]
	v_cmp_ne_u64_e32 vcc, v[4:5], v[6:7]
	v_lshlrev_b64 v[8:9], 8, v[6:7]
	s_orn2_b64 s[10:11], vcc, exec
.LBB58_78:
	s_or_b64 exec, exec, s[8:9]
	s_and_b64 exec, exec, s[10:11]
	s_cbranch_execz .LBB58_81
; %bb.79:
	v_lshl_add_u64 v[2:3], v[8:9], 0, s[42:43]
	v_lshl_add_u64 v[2:3], v[2:3], 0, v[0:1]
	v_subrev_co_u32_e32 v2, vcc, s46, v2
	v_lshlrev_b32_e32 v4, 2, v8
	s_nop 0
	v_subbrev_co_u32_e32 v3, vcc, 0, v3, vcc
	v_lshl_add_u32 v6, v0, 2, v4
	v_lshl_add_u64 v[4:5], v[2:3], 2, s[26:27]
	s_mov_b64 s[6:7], 0
	s_mov_b64 s[8:9], 0x100
	;; [unrolled: 1-line block ×3, first 2 shown]
.LBB58_80:                              ; =>This Inner Loop Header: Depth=1
	global_load_dword v7, v[4:5], off
	v_lshl_add_u64 v[8:9], s[28:29], 0, v[2:3]
	global_load_sbyte v10, v[8:9], off
	v_lshl_add_u64 v[2:3], v[2:3], 0, s[8:9]
	v_cmp_le_i64_e32 vcc, s[2:3], v[2:3]
	v_lshl_add_u64 v[4:5], v[4:5], 0, s[10:11]
	s_or_b64 s[6:7], vcc, s[6:7]
	s_waitcnt vmcnt(1)
	v_subrev_u32_e32 v8, s46, v7
	v_ashrrev_i32_e32 v9, 31, v8
	v_lshl_add_u64 v[8:9], s[30:31], 0, v[8:9]
	global_load_sbyte v7, v[8:9], off
	s_waitcnt vmcnt(1)
	v_cvt_f32_i32_e32 v8, v10
	v_mul_f32_e32 v8, s44, v8
	s_waitcnt vmcnt(0)
	v_cvt_f32_i32_e32 v7, v7
	v_mul_f32_e32 v7, v8, v7
	ds_write_b32 v6, v7
	v_add_u32_e32 v6, 0x400, v6
	s_andn2_b64 exec, exec, s[6:7]
	s_cbranch_execnz .LBB58_80
.LBB58_81:
	s_or_b64 exec, exec, s[4:5]
                                        ; implicit-def: $vgpr2_vgpr3
.LBB58_82:
	s_or_saveexec_b64 s[0:1], s[0:1]
	v_lshlrev_b32_e32 v8, 2, v0
	s_xor_b64 exec, exec, s[0:1]
	s_cbranch_execz .LBB58_84
; %bb.83:
	v_lshl_add_u64 v[4:5], v[2:3], 2, s[26:27]
	global_load_dword v6, v[4:5], off
	global_load_dword v7, v[4:5], off offset:1024
	global_load_dword v9, v[4:5], off offset:2048
	;; [unrolled: 1-line block ×3, first 2 shown]
	v_lshl_add_u64 v[2:3], s[28:29], 0, v[2:3]
	global_load_sbyte v12, v[2:3], off
	global_load_sbyte v13, v[2:3], off offset:256
	global_load_sbyte v14, v[2:3], off offset:512
	;; [unrolled: 1-line block ×3, first 2 shown]
	s_waitcnt vmcnt(7)
	v_subrev_u32_e32 v2, s46, v6
	s_waitcnt vmcnt(6)
	v_subrev_u32_e32 v4, s46, v7
	;; [unrolled: 2-line block ×4, first 2 shown]
	v_ashrrev_i32_e32 v3, 31, v2
	v_ashrrev_i32_e32 v5, 31, v4
	v_ashrrev_i32_e32 v7, 31, v6
	v_ashrrev_i32_e32 v11, 31, v10
	v_lshl_add_u64 v[2:3], s[30:31], 0, v[2:3]
	v_lshl_add_u64 v[4:5], s[30:31], 0, v[4:5]
	;; [unrolled: 1-line block ×4, first 2 shown]
	global_load_sbyte v9, v[2:3], off
	global_load_sbyte v16, v[4:5], off
	;; [unrolled: 1-line block ×4, first 2 shown]
	s_waitcnt vmcnt(7)
	v_cvt_f32_i32_e32 v2, v12
	s_waitcnt vmcnt(6)
	v_cvt_f32_i32_e32 v3, v13
	;; [unrolled: 2-line block ×4, first 2 shown]
	v_mul_f32_e32 v2, s44, v2
	v_mul_f32_e32 v3, s44, v3
	v_mul_f32_e32 v4, s44, v4
	v_mul_f32_e32 v5, s44, v5
	s_waitcnt vmcnt(3)
	v_cvt_f32_i32_e32 v6, v9
	s_waitcnt vmcnt(2)
	v_cvt_f32_i32_e32 v7, v16
	;; [unrolled: 2-line block ×4, first 2 shown]
	v_mul_f32_e32 v2, v2, v6
	v_mul_f32_e32 v3, v3, v7
	;; [unrolled: 1-line block ×4, first 2 shown]
	ds_write2st64_b32 v8, v2, v3 offset1:4
	ds_write2st64_b32 v8, v4, v5 offset0:8 offset1:12
.LBB58_84:
	s_or_b64 exec, exec, s[0:1]
	s_cmp_lt_i32 s23, 2
	s_mov_b64 s[0:1], -1
	s_waitcnt lgkmcnt(0)
	s_barrier
	s_cbranch_scc0 .LBB58_95
; %bb.85:
	s_waitcnt vmcnt(0)
	v_lshl_add_u64 v[6:7], s[36:37], 0, v[0:1]
	v_cmp_gt_i64_e32 vcc, s[38:39], v[6:7]
	s_and_saveexec_b64 s[0:1], vcc
	s_cbranch_execz .LBB58_94
; %bb.86:
	s_lshl_b32 s4, s42, 2
	v_cmp_neq_f32_e64 s[2:3], s22, 0
	s_sub_i32 s12, 0, s4
	s_mov_b64 s[4:5], 0
	s_mov_b64 s[6:7], 0x100
	s_branch .LBB58_88
.LBB58_87:                              ;   in Loop: Header=BB58_88 Depth=1
	v_lshl_add_u64 v[6:7], v[6:7], 0, s[6:7]
	v_cmp_le_i64_e32 vcc, s[38:39], v[6:7]
	s_or_b64 s[4:5], vcc, s[4:5]
	global_store_dword v[2:3], v1, off
	s_andn2_b64 exec, exec, s[4:5]
	s_cbranch_execz .LBB58_94
.LBB58_88:                              ; =>This Loop Header: Depth=1
                                        ;     Child Loop BB58_90 Depth 2
	v_lshl_add_u64 v[2:3], v[6:7], 3, s[24:25]
	global_load_dwordx4 v[2:5], v[2:3], off
	v_mov_b32_e32 v1, 0
	s_waitcnt vmcnt(0)
	v_subrev_u32_e32 v3, s42, v2
	v_subrev_u32_e32 v4, s42, v4
	v_cmp_lt_i32_e32 vcc, v3, v4
	s_and_saveexec_b64 s[8:9], vcc
	s_cbranch_execz .LBB58_92
; %bb.89:                               ;   in Loop: Header=BB58_88 Depth=1
	v_lshl_add_u32 v2, v2, 2, s12
	v_mov_b32_e32 v1, 0
	s_mov_b64 s[10:11], 0
.LBB58_90:                              ;   Parent Loop BB58_88 Depth=1
                                        ; =>  This Inner Loop Header: Depth=2
	ds_read_b32 v5, v2
	v_add_u32_e32 v3, 1, v3
	v_cmp_ge_i32_e32 vcc, v3, v4
	v_add_u32_e32 v2, 4, v2
	s_or_b64 s[10:11], vcc, s[10:11]
	s_waitcnt lgkmcnt(0)
	v_add_f32_e32 v1, v1, v5
	s_andn2_b64 exec, exec, s[10:11]
	s_cbranch_execnz .LBB58_90
; %bb.91:                               ;   in Loop: Header=BB58_88 Depth=1
	s_or_b64 exec, exec, s[10:11]
.LBB58_92:                              ;   in Loop: Header=BB58_88 Depth=1
	s_or_b64 exec, exec, s[8:9]
	s_and_b64 vcc, exec, s[2:3]
	v_lshl_add_u64 v[2:3], v[6:7], 2, s[34:35]
	s_cbranch_vccz .LBB58_87
; %bb.93:                               ;   in Loop: Header=BB58_88 Depth=1
	global_load_dword v4, v[2:3], off
	s_waitcnt vmcnt(0)
	v_fmac_f32_e32 v1, s22, v4
	s_branch .LBB58_87
.LBB58_94:
	s_or_b64 exec, exec, s[0:1]
	s_mov_b64 s[0:1], 0
.LBB58_95:
	s_andn2_b64 vcc, exec, s[0:1]
	s_cbranch_vccnz .LBB58_120
; %bb.96:
	s_flbit_i32_b32 s0, s23
	s_xor_b32 s0, s0, 31
	v_lshrrev_b32_e32 v4, s0, v0
	v_mov_b32_e32 v5, 0
	v_lshl_add_u64 v[2:3], s[36:37], 0, v[4:5]
	s_add_i32 s0, s23, -1
	v_and_b32_e32 v0, s0, v0
	v_cmp_le_i64_e32 vcc, s[38:39], v[2:3]
	v_cmp_gt_i64_e64 s[0:1], s[38:39], v[2:3]
	s_and_saveexec_b64 s[2:3], s[0:1]
	s_cbranch_execz .LBB58_102
; %bb.97:
	v_lshlrev_b32_e32 v1, 3, v4
	global_load_dword v4, v1, s[40:41] offset:8
	global_load_dword v5, v1, s[40:41]
	s_waitcnt vmcnt(1)
	v_subrev_u32_e32 v1, s42, v4
	s_waitcnt vmcnt(0)
	v_subrev_u32_e32 v4, s42, v5
	v_add_u32_e32 v4, v0, v4
	v_cmp_lt_i32_e64 s[0:1], v4, v1
	v_mov_b32_e32 v5, 0
	s_and_saveexec_b64 s[4:5], s[0:1]
	s_cbranch_execz .LBB58_101
; %bb.98:
	v_lshlrev_b32_e32 v6, 2, v4
	s_lshl_b32 s8, s23, 2
	v_mov_b32_e32 v5, 0
	s_mov_b64 s[6:7], 0
.LBB58_99:                              ; =>This Inner Loop Header: Depth=1
	ds_read_b32 v7, v6
	v_add_u32_e32 v4, s23, v4
	v_cmp_ge_i32_e64 s[0:1], v4, v1
	v_add_u32_e32 v6, s8, v6
	s_or_b64 s[6:7], s[0:1], s[6:7]
	s_waitcnt lgkmcnt(0)
	v_add_f32_e32 v5, v5, v7
	s_andn2_b64 exec, exec, s[6:7]
	s_cbranch_execnz .LBB58_99
; %bb.100:
	s_or_b64 exec, exec, s[6:7]
.LBB58_101:
	s_or_b64 exec, exec, s[4:5]
.LBB58_102:
	s_or_b64 exec, exec, s[2:3]
	s_cmpk_lt_u32 s23, 0x81
	s_barrier
	ds_write_b32 v8, v5
	s_waitcnt lgkmcnt(0)
	s_barrier
	s_cbranch_scc1 .LBB58_104
; %bb.103:
	ds_read_b32 v1, v8 offset:512
	s_waitcnt lgkmcnt(0)
	s_barrier
	v_add_f32_e32 v5, v5, v1
	ds_write_b32 v8, v5
.LBB58_104:
	s_cmpk_lt_u32 s23, 0x41
	s_waitcnt lgkmcnt(0)
	s_barrier
	s_cbranch_scc1 .LBB58_106
; %bb.105:
	ds_read_b32 v1, v8 offset:256
	s_waitcnt lgkmcnt(0)
	s_barrier
	v_add_f32_e32 v5, v5, v1
	ds_write_b32 v8, v5
.LBB58_106:
	s_cmp_lt_u32 s23, 33
	s_waitcnt lgkmcnt(0)
	s_barrier
	s_cbranch_scc1 .LBB58_108
; %bb.107:
	ds_read_b32 v1, v8 offset:128
	s_waitcnt lgkmcnt(0)
	s_barrier
	v_add_f32_e32 v5, v5, v1
	ds_write_b32 v8, v5
.LBB58_108:
	s_cmp_lt_u32 s23, 17
	;; [unrolled: 11-line block ×4, first 2 shown]
	s_waitcnt lgkmcnt(0)
	s_barrier
	s_cbranch_scc1 .LBB58_114
; %bb.113:
	ds_read_b32 v1, v8 offset:16
	s_waitcnt lgkmcnt(0)
	s_barrier
	v_add_f32_e32 v5, v5, v1
	ds_write_b32 v8, v5
.LBB58_114:
	s_cmp_eq_u32 s23, 2
	s_waitcnt lgkmcnt(0)
	s_barrier
	s_cbranch_scc1 .LBB58_116
; %bb.115:
	ds_read_b32 v1, v8 offset:8
	s_waitcnt lgkmcnt(0)
	s_barrier
	v_add_f32_e32 v5, v5, v1
	ds_write_b32 v8, v5
.LBB58_116:
	s_waitcnt lgkmcnt(0)
	s_barrier
	ds_read_b32 v1, v8 offset:4
	v_cmp_eq_u32_e64 s[0:1], 0, v0
	s_xor_b64 s[2:3], vcc, -1
	s_and_b64 s[0:1], s[0:1], s[2:3]
	s_waitcnt lgkmcnt(0)
	v_add_f32_e32 v4, v5, v1
	s_barrier
	ds_write_b32 v8, v4
	s_and_saveexec_b64 s[2:3], s[0:1]
	s_cbranch_execz .LBB58_120
; %bb.117:
	v_cmp_eq_f32_e64 s[0:1], s22, 0
	s_and_b64 vcc, exec, s[0:1]
	v_lshl_add_u64 v[0:1], v[2:3], 2, s[34:35]
	s_cbranch_vccnz .LBB58_119
; %bb.118:
	global_load_dword v2, v[0:1], off
	s_waitcnt vmcnt(0)
	v_fmac_f32_e32 v4, s22, v2
.LBB58_119:
	global_store_dword v[0:1], v4, off
.LBB58_120:
	s_endpgm
	.section	.rodata,"a",@progbits
	.p2align	6, 0x0
	.amdhsa_kernel _ZN9rocsparseL22csrmvn_adaptive_kernelIliaaffEEvbT_PKS1_PjPKT0_NS_24const_host_device_scalarIT4_EES3_S7_PKT1_PKT2_SA_PT3_21rocsparse_index_base_b
		.amdhsa_group_segment_fixed_size 4096
		.amdhsa_private_segment_fixed_size 0
		.amdhsa_kernarg_size 104
		.amdhsa_user_sgpr_count 2
		.amdhsa_user_sgpr_dispatch_ptr 0
		.amdhsa_user_sgpr_queue_ptr 0
		.amdhsa_user_sgpr_kernarg_segment_ptr 1
		.amdhsa_user_sgpr_dispatch_id 0
		.amdhsa_user_sgpr_kernarg_preload_length 0
		.amdhsa_user_sgpr_kernarg_preload_offset 0
		.amdhsa_user_sgpr_private_segment_size 0
		.amdhsa_uses_dynamic_stack 0
		.amdhsa_enable_private_segment 0
		.amdhsa_system_sgpr_workgroup_id_x 1
		.amdhsa_system_sgpr_workgroup_id_y 0
		.amdhsa_system_sgpr_workgroup_id_z 0
		.amdhsa_system_sgpr_workgroup_info 0
		.amdhsa_system_vgpr_workitem_id 0
		.amdhsa_next_free_vgpr 23
		.amdhsa_next_free_sgpr 64
		.amdhsa_accum_offset 24
		.amdhsa_reserve_vcc 1
		.amdhsa_float_round_mode_32 0
		.amdhsa_float_round_mode_16_64 0
		.amdhsa_float_denorm_mode_32 3
		.amdhsa_float_denorm_mode_16_64 3
		.amdhsa_dx10_clamp 1
		.amdhsa_ieee_mode 1
		.amdhsa_fp16_overflow 0
		.amdhsa_tg_split 0
		.amdhsa_exception_fp_ieee_invalid_op 0
		.amdhsa_exception_fp_denorm_src 0
		.amdhsa_exception_fp_ieee_div_zero 0
		.amdhsa_exception_fp_ieee_overflow 0
		.amdhsa_exception_fp_ieee_underflow 0
		.amdhsa_exception_fp_ieee_inexact 0
		.amdhsa_exception_int_div_zero 0
	.end_amdhsa_kernel
	.section	.text._ZN9rocsparseL22csrmvn_adaptive_kernelIliaaffEEvbT_PKS1_PjPKT0_NS_24const_host_device_scalarIT4_EES3_S7_PKT1_PKT2_SA_PT3_21rocsparse_index_base_b,"axG",@progbits,_ZN9rocsparseL22csrmvn_adaptive_kernelIliaaffEEvbT_PKS1_PjPKT0_NS_24const_host_device_scalarIT4_EES3_S7_PKT1_PKT2_SA_PT3_21rocsparse_index_base_b,comdat
.Lfunc_end58:
	.size	_ZN9rocsparseL22csrmvn_adaptive_kernelIliaaffEEvbT_PKS1_PjPKT0_NS_24const_host_device_scalarIT4_EES3_S7_PKT1_PKT2_SA_PT3_21rocsparse_index_base_b, .Lfunc_end58-_ZN9rocsparseL22csrmvn_adaptive_kernelIliaaffEEvbT_PKS1_PjPKT0_NS_24const_host_device_scalarIT4_EES3_S7_PKT1_PKT2_SA_PT3_21rocsparse_index_base_b
                                        ; -- End function
	.set _ZN9rocsparseL22csrmvn_adaptive_kernelIliaaffEEvbT_PKS1_PjPKT0_NS_24const_host_device_scalarIT4_EES3_S7_PKT1_PKT2_SA_PT3_21rocsparse_index_base_b.num_vgpr, 23
	.set _ZN9rocsparseL22csrmvn_adaptive_kernelIliaaffEEvbT_PKS1_PjPKT0_NS_24const_host_device_scalarIT4_EES3_S7_PKT1_PKT2_SA_PT3_21rocsparse_index_base_b.num_agpr, 0
	.set _ZN9rocsparseL22csrmvn_adaptive_kernelIliaaffEEvbT_PKS1_PjPKT0_NS_24const_host_device_scalarIT4_EES3_S7_PKT1_PKT2_SA_PT3_21rocsparse_index_base_b.numbered_sgpr, 64
	.set _ZN9rocsparseL22csrmvn_adaptive_kernelIliaaffEEvbT_PKS1_PjPKT0_NS_24const_host_device_scalarIT4_EES3_S7_PKT1_PKT2_SA_PT3_21rocsparse_index_base_b.num_named_barrier, 0
	.set _ZN9rocsparseL22csrmvn_adaptive_kernelIliaaffEEvbT_PKS1_PjPKT0_NS_24const_host_device_scalarIT4_EES3_S7_PKT1_PKT2_SA_PT3_21rocsparse_index_base_b.private_seg_size, 0
	.set _ZN9rocsparseL22csrmvn_adaptive_kernelIliaaffEEvbT_PKS1_PjPKT0_NS_24const_host_device_scalarIT4_EES3_S7_PKT1_PKT2_SA_PT3_21rocsparse_index_base_b.uses_vcc, 1
	.set _ZN9rocsparseL22csrmvn_adaptive_kernelIliaaffEEvbT_PKS1_PjPKT0_NS_24const_host_device_scalarIT4_EES3_S7_PKT1_PKT2_SA_PT3_21rocsparse_index_base_b.uses_flat_scratch, 0
	.set _ZN9rocsparseL22csrmvn_adaptive_kernelIliaaffEEvbT_PKS1_PjPKT0_NS_24const_host_device_scalarIT4_EES3_S7_PKT1_PKT2_SA_PT3_21rocsparse_index_base_b.has_dyn_sized_stack, 0
	.set _ZN9rocsparseL22csrmvn_adaptive_kernelIliaaffEEvbT_PKS1_PjPKT0_NS_24const_host_device_scalarIT4_EES3_S7_PKT1_PKT2_SA_PT3_21rocsparse_index_base_b.has_recursion, 0
	.set _ZN9rocsparseL22csrmvn_adaptive_kernelIliaaffEEvbT_PKS1_PjPKT0_NS_24const_host_device_scalarIT4_EES3_S7_PKT1_PKT2_SA_PT3_21rocsparse_index_base_b.has_indirect_call, 0
	.section	.AMDGPU.csdata,"",@progbits
; Kernel info:
; codeLenInByte = 4136
; TotalNumSgprs: 70
; NumVgprs: 23
; NumAgprs: 0
; TotalNumVgprs: 23
; ScratchSize: 0
; MemoryBound: 0
; FloatMode: 240
; IeeeMode: 1
; LDSByteSize: 4096 bytes/workgroup (compile time only)
; SGPRBlocks: 8
; VGPRBlocks: 2
; NumSGPRsForWavesPerEU: 70
; NumVGPRsForWavesPerEU: 23
; AccumOffset: 24
; Occupancy: 8
; WaveLimiterHint : 1
; COMPUTE_PGM_RSRC2:SCRATCH_EN: 0
; COMPUTE_PGM_RSRC2:USER_SGPR: 2
; COMPUTE_PGM_RSRC2:TRAP_HANDLER: 0
; COMPUTE_PGM_RSRC2:TGID_X_EN: 1
; COMPUTE_PGM_RSRC2:TGID_Y_EN: 0
; COMPUTE_PGM_RSRC2:TGID_Z_EN: 0
; COMPUTE_PGM_RSRC2:TIDIG_COMP_CNT: 0
; COMPUTE_PGM_RSRC3_GFX90A:ACCUM_OFFSET: 5
; COMPUTE_PGM_RSRC3_GFX90A:TG_SPLIT: 0
	.section	.text._ZN9rocsparseL27csrmvn_symm_adaptive_kernelIliaaffEEvbT_S1_PKS1_NS_24const_host_device_scalarIT4_EES3_PKT0_PKT1_PKT2_S6_PT3_21rocsparse_index_base_b,"axG",@progbits,_ZN9rocsparseL27csrmvn_symm_adaptive_kernelIliaaffEEvbT_S1_PKS1_NS_24const_host_device_scalarIT4_EES3_PKT0_PKT1_PKT2_S6_PT3_21rocsparse_index_base_b,comdat
	.globl	_ZN9rocsparseL27csrmvn_symm_adaptive_kernelIliaaffEEvbT_S1_PKS1_NS_24const_host_device_scalarIT4_EES3_PKT0_PKT1_PKT2_S6_PT3_21rocsparse_index_base_b ; -- Begin function _ZN9rocsparseL27csrmvn_symm_adaptive_kernelIliaaffEEvbT_S1_PKS1_NS_24const_host_device_scalarIT4_EES3_PKT0_PKT1_PKT2_S6_PT3_21rocsparse_index_base_b
	.p2align	8
	.type	_ZN9rocsparseL27csrmvn_symm_adaptive_kernelIliaaffEEvbT_S1_PKS1_NS_24const_host_device_scalarIT4_EES3_PKT0_PKT1_PKT2_S6_PT3_21rocsparse_index_base_b,@function
_ZN9rocsparseL27csrmvn_symm_adaptive_kernelIliaaffEEvbT_S1_PKS1_NS_24const_host_device_scalarIT4_EES3_PKT0_PKT1_PKT2_S6_PT3_21rocsparse_index_base_b: ; @_ZN9rocsparseL27csrmvn_symm_adaptive_kernelIliaaffEEvbT_S1_PKS1_NS_24const_host_device_scalarIT4_EES3_PKT0_PKT1_PKT2_S6_PT3_21rocsparse_index_base_b
; %bb.0:
	s_load_dwordx2 s[28:29], s[0:1], 0x58
	s_load_dwordx2 s[36:37], s[0:1], 0x20
	;; [unrolled: 1-line block ×3, first 2 shown]
	s_waitcnt lgkmcnt(0)
	s_bitcmp1_b32 s29, 0
	s_cselect_b64 s[8:9], -1, 0
	s_xor_b64 s[6:7], s[8:9], -1
	s_and_b64 vcc, exec, s[8:9]
	s_cbranch_vccnz .LBB59_2
; %bb.1:
	s_load_dword s36, s[36:37], 0x0
.LBB59_2:
	s_andn2_b64 vcc, exec, s[6:7]
	s_cbranch_vccnz .LBB59_4
; %bb.3:
	s_load_dword s4, s[4:5], 0x0
.LBB59_4:
	s_waitcnt lgkmcnt(0)
	v_cmp_neq_f32_e64 s[6:7], s36, 0
	v_cmp_neq_f32_e64 s[4:5], s4, 1.0
	s_or_b64 s[4:5], s[6:7], s[4:5]
	s_andn2_b64 vcc, exec, s[4:5]
	s_cbranch_vccnz .LBB59_147
; %bb.5:
	s_load_dwordx2 s[4:5], s[0:1], 0x18
	s_ashr_i32 s3, s2, 31
	s_lshl_b64 s[2:3], s[2:3], 3
	v_lshlrev_b32_e32 v18, 2, v0
	v_mov_b32_e32 v1, 0
	s_waitcnt lgkmcnt(0)
	s_add_u32 s2, s4, s2
	s_addc_u32 s3, s5, s3
	ds_write2st64_b32 v18, v1, v1 offset1:4
	ds_write2st64_b32 v18, v1, v1 offset0:8 offset1:12
	s_waitcnt lgkmcnt(0)
	s_barrier
	s_load_dwordx4 s[20:23], s[2:3], 0x0
	s_load_dwordx8 s[12:19], s[0:1], 0x28
	s_load_dwordx2 s[24:25], s[0:1], 0x50
	s_mov_b64 s[2:3], -1
	s_waitcnt lgkmcnt(0)
	s_sub_u32 s26, s22, s20
	s_subb_u32 s27, s23, s21
	v_cmp_gt_i64_e64 s[4:5], s[26:27], 2
	s_and_b64 vcc, exec, s[4:5]
	s_cbranch_vccnz .LBB59_36
; %bb.6:
	v_mov_b64_e32 v[2:3], s[20:21]
	v_cmp_le_i64_e32 vcc, s[22:23], v[2:3]
	v_subrev_co_u32_e64 v2, s[2:3], s28, v0
	s_nop 1
	v_subb_co_u32_e64 v3, s[2:3], 0, 0, s[2:3]
	s_cbranch_vccnz .LBB59_26
; %bb.7:
	s_movk_i32 s2, 0x100
	v_cmp_gt_u32_e64 s[2:3], s2, v0
	v_cmp_gt_u32_e64 s[4:5], 64, v0
	;; [unrolled: 1-line block ×4, first 2 shown]
	v_cmp_eq_u32_e64 s[10:11], 0, v0
	s_mov_b64 s[30:31], 0x100
	s_mov_b64 s[34:35], 0x400
	v_mov_b32_e32 v1, 0
	v_mov_b64_e32 v[4:5], s[22:23]
	s_mov_b64 s[38:39], s[20:21]
	s_branch .LBB59_9
.LBB59_8:                               ;   in Loop: Header=BB59_9 Depth=1
	s_or_b64 exec, exec, s[40:41]
	s_add_u32 s38, s38, 1
	s_addc_u32 s39, s39, 0
	v_cmp_ge_i64_e32 vcc, s[38:39], v[4:5]
	s_cbranch_vccnz .LBB59_26
.LBB59_9:                               ; =>This Loop Header: Depth=1
                                        ;     Child Loop BB59_11 Depth 2
	s_lshl_b64 s[40:41], s[38:39], 3
	s_add_u32 s40, s12, s40
	s_addc_u32 s41, s13, s41
	s_load_dwordx4 s[44:47], s[40:41], 0x0
	v_mov_b32_e32 v10, 0
	s_waitcnt lgkmcnt(0)
	s_sub_u32 s40, s46, s28
	v_lshl_add_u64 v[6:7], s[44:45], 0, v[2:3]
	s_subb_u32 s41, s47, 0
	v_cmp_gt_i64_e32 vcc, s[40:41], v[6:7]
	s_and_saveexec_b64 s[42:43], vcc
	s_cbranch_execz .LBB59_13
; %bb.10:                               ;   in Loop: Header=BB59_9 Depth=1
	v_lshl_add_u64 v[8:9], v[6:7], 2, s[14:15]
	v_mov_b32_e32 v10, 0
	s_mov_b64 s[44:45], 0
.LBB59_11:                              ;   Parent Loop BB59_9 Depth=1
                                        ; =>  This Inner Loop Header: Depth=2
	global_load_dword v11, v[8:9], off
	v_lshl_add_u64 v[12:13], s[16:17], 0, v[6:7]
	global_load_sbyte v14, v[12:13], off
	v_lshl_add_u64 v[6:7], v[6:7], 0, s[30:31]
	v_cmp_le_i64_e32 vcc, s[40:41], v[6:7]
	v_lshl_add_u64 v[8:9], v[8:9], 0, s[34:35]
	s_or_b64 s[44:45], vcc, s[44:45]
	s_waitcnt vmcnt(1)
	v_subrev_u32_e32 v12, s28, v11
	v_ashrrev_i32_e32 v13, 31, v12
	v_lshl_add_u64 v[12:13], s[18:19], 0, v[12:13]
	global_load_sbyte v11, v[12:13], off
	s_waitcnt vmcnt(1)
	v_cvt_f32_i32_e32 v12, v14
	s_waitcnt vmcnt(0)
	v_cvt_f32_i32_e32 v11, v11
	v_fmac_f32_e32 v10, v12, v11
	s_andn2_b64 exec, exec, s[44:45]
	s_cbranch_execnz .LBB59_11
; %bb.12:                               ;   in Loop: Header=BB59_9 Depth=1
	s_or_b64 exec, exec, s[44:45]
.LBB59_13:                              ;   in Loop: Header=BB59_9 Depth=1
	s_or_b64 exec, exec, s[42:43]
	ds_write_b32 v18, v10
	s_waitcnt lgkmcnt(0)
	s_barrier
	s_and_saveexec_b64 s[40:41], s[2:3]
	s_cbranch_execz .LBB59_15
; %bb.14:                               ;   in Loop: Header=BB59_9 Depth=1
	ds_read2st64_b32 v[6:7], v18 offset1:4
	ds_read2st64_b32 v[8:9], v18 offset0:8 offset1:12
	s_waitcnt lgkmcnt(0)
	v_add_f32_e32 v7, v7, v8
	v_add_f32_e32 v7, v7, v9
	;; [unrolled: 1-line block ×3, first 2 shown]
	ds_write_b32 v18, v6
.LBB59_15:                              ;   in Loop: Header=BB59_9 Depth=1
	s_or_b64 exec, exec, s[40:41]
	s_waitcnt lgkmcnt(0)
	s_barrier
	s_and_saveexec_b64 s[40:41], s[4:5]
	s_cbranch_execz .LBB59_17
; %bb.16:                               ;   in Loop: Header=BB59_9 Depth=1
	ds_read2st64_b32 v[6:7], v18 offset1:1
	ds_read2st64_b32 v[8:9], v18 offset0:2 offset1:3
	s_waitcnt lgkmcnt(0)
	v_add_f32_e32 v7, v7, v8
	v_add_f32_e32 v7, v7, v9
	;; [unrolled: 1-line block ×3, first 2 shown]
	ds_write_b32 v18, v6
.LBB59_17:                              ;   in Loop: Header=BB59_9 Depth=1
	s_or_b64 exec, exec, s[40:41]
	s_waitcnt lgkmcnt(0)
	s_barrier
	s_and_saveexec_b64 s[40:41], s[6:7]
	s_cbranch_execz .LBB59_19
; %bb.18:                               ;   in Loop: Header=BB59_9 Depth=1
	ds_read2_b32 v[6:7], v18 offset1:16
	ds_read2_b32 v[8:9], v18 offset0:32 offset1:48
	s_waitcnt lgkmcnt(0)
	v_add_f32_e32 v7, v7, v8
	v_add_f32_e32 v7, v7, v9
	;; [unrolled: 1-line block ×3, first 2 shown]
	ds_write_b32 v18, v6
.LBB59_19:                              ;   in Loop: Header=BB59_9 Depth=1
	s_or_b64 exec, exec, s[40:41]
	s_waitcnt lgkmcnt(0)
	s_barrier
	s_and_saveexec_b64 s[40:41], s[8:9]
	s_cbranch_execz .LBB59_21
; %bb.20:                               ;   in Loop: Header=BB59_9 Depth=1
	ds_read2_b32 v[6:7], v18 offset1:4
	ds_read2_b32 v[8:9], v18 offset0:8 offset1:12
	s_waitcnt lgkmcnt(0)
	v_add_f32_e32 v7, v7, v8
	v_add_f32_e32 v7, v7, v9
	;; [unrolled: 1-line block ×3, first 2 shown]
	ds_write_b32 v18, v6
.LBB59_21:                              ;   in Loop: Header=BB59_9 Depth=1
	s_or_b64 exec, exec, s[40:41]
	s_waitcnt lgkmcnt(0)
	s_barrier
	s_and_saveexec_b64 s[40:41], s[10:11]
	s_cbranch_execz .LBB59_23
; %bb.22:                               ;   in Loop: Header=BB59_9 Depth=1
	ds_read2_b32 v[6:7], v1 offset0:1 offset1:2
	ds_read_b32 v8, v1 offset:12
	ds_read_b32 v9, v18
	s_waitcnt lgkmcnt(2)
	v_add_f32_e32 v6, v6, v7
	s_waitcnt lgkmcnt(1)
	v_add_f32_e32 v6, v6, v8
	s_waitcnt lgkmcnt(0)
	v_add_f32_e32 v6, v9, v6
	ds_write_b32 v18, v6
.LBB59_23:                              ;   in Loop: Header=BB59_9 Depth=1
	s_or_b64 exec, exec, s[40:41]
	s_waitcnt lgkmcnt(0)
	s_barrier
	s_and_saveexec_b64 s[40:41], s[10:11]
	s_cbranch_execz .LBB59_8
; %bb.24:                               ;   in Loop: Header=BB59_9 Depth=1
	s_mov_b64 s[42:43], exec
	v_mbcnt_lo_u32_b32 v6, s42, 0
	v_mbcnt_hi_u32_b32 v6, s43, v6
	v_cmp_eq_u32_e32 vcc, 0, v6
	s_and_b64 s[44:45], exec, vcc
	s_mov_b64 exec, s[44:45]
	s_cbranch_execz .LBB59_8
; %bb.25:                               ;   in Loop: Header=BB59_9 Depth=1
	ds_read_b32 v6, v1
	s_lshl_b64 s[44:45], s[38:39], 2
	s_add_u32 s44, s24, s44
	s_addc_u32 s45, s25, s45
	s_bcnt1_i32_b64 s29, s[42:43]
	s_waitcnt lgkmcnt(0)
	v_mul_f32_e32 v6, s36, v6
	v_cvt_f32_ubyte0_e32 v7, s29
	v_mul_f32_e32 v6, v6, v7
	global_atomic_add_f32 v1, v6, s[44:45]
	s_branch .LBB59_8
.LBB59_26:
	s_lshl_b64 s[2:3], s[20:21], 3
	s_add_u32 s2, s12, s2
	s_addc_u32 s3, s13, s3
	s_lshl_b64 s[4:5], s[22:23], 3
	s_add_u32 s4, s12, s4
	s_addc_u32 s5, s13, s5
	s_load_dwordx2 s[6:7], s[4:5], 0x0
	s_load_dwordx2 s[8:9], s[2:3], 0x0
	s_waitcnt lgkmcnt(0)
	s_sub_u32 s6, s6, s28
	s_subb_u32 s7, s7, 0
	v_lshl_add_u64 v[2:3], s[8:9], 0, v[2:3]
	v_cmp_gt_i64_e32 vcc, s[6:7], v[2:3]
	s_and_saveexec_b64 s[8:9], vcc
	s_cbranch_execz .LBB59_35
; %bb.27:
	s_add_u32 s10, s22, -1
	s_addc_u32 s11, s23, -1
	s_add_u32 s2, s22, -2
	s_addc_u32 s3, s23, -1
	v_mov_b64_e32 v[4:5], s[10:11]
	s_cmp_lg_u64 s[20:21], s[2:3]
	v_cmp_lt_i64_e32 vcc, s[20:21], v[4:5]
	s_cselect_b64 s[2:3], -1, 0
	s_and_b64 s[2:3], vcc, s[2:3]
	v_cndmask_b32_e64 v1, 0, 1, s[2:3]
	s_mov_b64 s[30:31], 0
	v_cmp_ne_u32_e64 s[2:3], 1, v1
	v_mov_b32_e32 v5, 0
	s_mov_b64 s[34:35], 0x100
	s_branch .LBB59_29
.LBB59_28:                              ;   in Loop: Header=BB59_29 Depth=1
	s_or_b64 exec, exec, s[4:5]
	v_lshl_add_u64 v[2:3], v[2:3], 0, s[34:35]
	v_cmp_le_i64_e32 vcc, s[6:7], v[2:3]
	s_or_b64 s[30:31], vcc, s[30:31]
	s_andn2_b64 exec, exec, s[30:31]
	s_cbranch_execz .LBB59_35
.LBB59_29:                              ; =>This Loop Header: Depth=1
                                        ;     Child Loop BB59_31 Depth 2
	s_and_b64 vcc, exec, s[2:3]
	v_mov_b64_e32 v[6:7], s[20:21]
	v_mov_b64_e32 v[8:9], s[10:11]
	s_cbranch_vccnz .LBB59_33
; %bb.30:                               ;   in Loop: Header=BB59_29 Depth=1
	s_mov_b64 s[38:39], 0
	v_mov_b64_e32 v[6:7], s[20:21]
	v_mov_b64_e32 v[8:9], s[10:11]
.LBB59_31:                              ;   Parent Loop BB59_29 Depth=1
                                        ; =>  This Inner Loop Header: Depth=2
	v_lshl_add_u64 v[10:11], v[8:9], 0, v[6:7]
	v_lshrrev_b32_e32 v4, 31, v11
	v_lshl_add_u64 v[10:11], v[10:11], 0, v[4:5]
	v_ashrrev_i64 v[10:11], 1, v[10:11]
	v_lshl_add_u64 v[12:13], v[10:11], 3, s[12:13]
	global_load_dwordx2 v[12:13], v[12:13], off
	s_waitcnt vmcnt(0)
	v_subrev_co_u32_e32 v12, vcc, s28, v12
	s_nop 1
	v_subbrev_co_u32_e32 v13, vcc, 0, v13, vcc
	v_cmp_lt_i64_e32 vcc, v[2:3], v[12:13]
	s_nop 1
	v_cndmask_b32_e32 v9, v9, v11, vcc
	v_cndmask_b32_e32 v8, v8, v10, vcc
	;; [unrolled: 1-line block ×4, first 2 shown]
	v_lshl_add_u64 v[10:11], v[8:9], 0, -1
	v_cmp_ge_i64_e32 vcc, v[6:7], v[8:9]
	v_cmp_eq_u64_e64 s[4:5], v[6:7], v[10:11]
	s_or_b64 s[4:5], vcc, s[4:5]
	s_and_b64 s[4:5], exec, s[4:5]
	s_or_b64 s[38:39], s[4:5], s[38:39]
	s_andn2_b64 exec, exec, s[38:39]
	s_cbranch_execnz .LBB59_31
; %bb.32:                               ;   in Loop: Header=BB59_29 Depth=1
	s_or_b64 exec, exec, s[38:39]
.LBB59_33:                              ;   in Loop: Header=BB59_29 Depth=1
	v_lshl_add_u64 v[10:11], v[8:9], 3, s[12:13]
	global_load_dwordx2 v[10:11], v[10:11], off
	v_lshl_add_u64 v[12:13], v[2:3], 2, s[14:15]
	global_load_dword v1, v[12:13], off
	s_waitcnt vmcnt(1)
	v_subrev_co_u32_e32 v12, vcc, s28, v10
	s_nop 1
	v_subbrev_co_u32_e32 v13, vcc, 0, v11, vcc
	s_waitcnt vmcnt(0)
	v_subrev_u32_e32 v10, s28, v1
	v_cmp_lt_i64_e32 vcc, v[2:3], v[12:13]
	v_ashrrev_i32_e32 v11, 31, v10
	s_nop 0
	v_cndmask_b32_e32 v7, v9, v7, vcc
	v_cndmask_b32_e32 v6, v8, v6, vcc
	v_cmp_ne_u64_e32 vcc, v[6:7], v[10:11]
	s_and_saveexec_b64 s[4:5], vcc
	s_cbranch_execz .LBB59_28
; %bb.34:                               ;   in Loop: Header=BB59_29 Depth=1
	v_lshl_add_u64 v[8:9], s[16:17], 0, v[2:3]
	global_load_sbyte v1, v[8:9], off
	v_lshl_add_u64 v[6:7], s[18:19], 0, v[6:7]
	global_load_sbyte v4, v[6:7], off
	v_lshl_add_u64 v[6:7], v[10:11], 2, s[24:25]
	s_waitcnt vmcnt(1)
	v_cvt_f32_i32_e32 v1, v1
	s_waitcnt vmcnt(0)
	v_cvt_f32_i32_e32 v4, v4
	v_mul_f32_e32 v1, s36, v1
	v_mul_f32_e32 v1, v1, v4
	global_atomic_add_f32 v[6:7], v1, off
	s_branch .LBB59_28
.LBB59_35:
	s_or_b64 exec, exec, s[8:9]
	s_mov_b64 s[2:3], 0
.LBB59_36:
	s_and_b64 vcc, exec, s[2:3]
	s_cbranch_vccz .LBB59_147
; %bb.37:
	s_load_dword s2, s[0:1], 0x6c
	s_mov_b32 s31, 0
	v_mov_b64_e32 v[2:3], s[26:27]
	s_mov_b64 s[34:35], 0
	s_waitcnt lgkmcnt(0)
	s_and_b32 s30, s2, 0xffff
	v_cmp_lt_u64_e32 vcc, s[30:31], v[2:3]
	s_cbranch_vccnz .LBB59_39
; %bb.38:
	v_cvt_f32_u32_e32 v1, s26
	s_sub_i32 s2, 0, s26
	v_rcp_iflag_f32_e32 v1, v1
	s_nop 0
	v_mul_f32_e32 v1, 0x4f7ffffe, v1
	v_cvt_u32_f32_e32 v1, v1
	s_nop 0
	v_readfirstlane_b32 s3, v1
	s_mul_i32 s2, s2, s3
	s_mul_hi_u32 s2, s3, s2
	s_add_i32 s3, s3, s2
	s_mul_hi_u32 s2, s30, s3
	s_mul_i32 s4, s2, s26
	s_sub_i32 s4, s30, s4
	s_add_i32 s3, s2, 1
	s_sub_i32 s5, s4, s26
	s_cmp_ge_u32 s4, s26
	s_cselect_b32 s2, s3, s2
	s_cselect_b32 s4, s5, s4
	s_add_i32 s3, s2, 1
	s_cmp_ge_u32 s4, s26
	s_cselect_b32 s34, s3, s2
.LBB59_39:
	s_load_dwordx4 s[4:7], s[0:1], 0x8
	s_lshl_b64 s[0:1], s[20:21], 3
	s_add_u32 s10, s12, s0
	s_addc_u32 s11, s13, s1
	s_load_dwordx2 s[8:9], s[10:11], 0x0
	v_subrev_co_u32_e32 v2, vcc, s28, v0
	v_mov_b32_e32 v1, 0
	s_nop 0
	v_subb_co_u32_e64 v3, s[0:1], 0, 0, vcc
	s_waitcnt lgkmcnt(0)
	v_lshl_add_u64 v[10:11], s[8:9], 0, v[2:3]
	s_mov_b64 s[0:1], 0x300
	v_lshl_add_u64 v[8:9], v[10:11], 0, s[0:1]
	v_cmp_le_i64_e32 vcc, s[4:5], v[8:9]
	s_and_saveexec_b64 s[0:1], vcc
	s_xor_b64 s[2:3], exec, s[0:1]
	s_cbranch_execnz .LBB59_42
; %bb.40:
	s_andn2_saveexec_b64 s[0:1], s[2:3]
	s_cbranch_execnz .LBB59_51
.LBB59_41:
	s_or_b64 exec, exec, s[0:1]
	v_cmp_gt_i64_e64 s[0:1], s[6:7], v[0:1]
	s_and_saveexec_b64 s[2:3], s[0:1]
	s_cbranch_execnz .LBB59_52
	s_branch .LBB59_59
.LBB59_42:
	s_lshl_b64 s[0:1], s[22:23], 3
	s_add_u32 s0, s12, s0
	s_addc_u32 s1, s13, s1
	s_load_dwordx2 s[40:41], s[0:1], 0x0
	s_waitcnt lgkmcnt(0)
	s_sub_u32 s4, s40, s8
	s_subb_u32 s5, s41, s9
	v_cmp_gt_i64_e64 s[0:1], s[4:5], v[0:1]
	s_and_saveexec_b64 s[38:39], s[0:1]
	s_cbranch_execz .LBB59_50
; %bb.43:
	s_not_b64 s[0:1], s[8:9]
	s_add_u32 s0, s40, s0
	s_addc_u32 s1, s41, s1
	v_mov_b32_e32 v3, s1
	v_sub_co_u32_e64 v2, s[0:1], s0, v0
	s_mov_b64 s[42:43], -1
	s_nop 0
	v_subbrev_co_u32_e64 v3, s[0:1], 0, v3, s[0:1]
	s_mov_b64 s[0:1], 0xff
	s_nop 0
	v_cmp_lt_u64_e64 s[0:1], s[0:1], v[2:3]
	v_mov_b64_e32 v[6:7], 0
	s_and_saveexec_b64 s[40:41], s[0:1]
	s_cbranch_execz .LBB59_47
; %bb.44:
	v_lshl_add_u64 v[6:7], s[8:9], 0, v[0:1]
	v_lshrrev_b64 v[2:3], 8, v[2:3]
	v_subrev_co_u32_e64 v6, s[0:1], s28, v6
	v_lshl_add_u64 v[2:3], v[2:3], 0, 1
	s_nop 0
	v_subbrev_co_u32_e64 v7, s[0:1], 0, v7, s[0:1]
	v_and_b32_e32 v4, -2, v2
	v_mov_b32_e32 v5, v3
	v_lshl_add_u64 v[6:7], s[16:17], 0, v[6:7]
	s_mov_b64 s[42:43], 0x100
	s_mov_b32 s37, s36
	v_lshl_add_u64 v[6:7], v[6:7], 0, s[42:43]
	s_mov_b64 s[44:45], 0
	s_mov_b64 s[46:47], 0x200
	v_mov_b64_e32 v[12:13], v[4:5]
	s_mov_b64 s[48:49], 0
.LBB59_45:                              ; =>This Inner Loop Header: Depth=1
	global_load_sbyte v14, v[6:7], off
	global_load_sbyte v16, v[6:7], off offset:-256
	v_lshl_add_u32 v17, s48, 2, v18
	s_add_u32 s48, s48, 0x200
	s_addc_u32 s49, s49, 0
	v_lshl_add_u32 v19, s42, 2, v18
	v_lshl_add_u64 v[12:13], v[12:13], 0, -2
	s_add_u32 s42, s42, 0x200
	v_cmp_eq_u64_e64 s[0:1], 0, v[12:13]
	s_addc_u32 s43, s43, 0
	v_lshl_add_u64 v[6:7], v[6:7], 0, s[46:47]
	s_or_b64 s[44:45], s[0:1], s[44:45]
	s_waitcnt vmcnt(1)
	v_cvt_f32_i32_e32 v15, v14
	s_waitcnt vmcnt(0)
	v_cvt_f32_i32_e32 v14, v16
	v_pk_mul_f32 v[14:15], s[36:37], v[14:15]
	ds_write_b32 v17, v14
	ds_write_b32 v19, v15
	s_andn2_b64 exec, exec, s[44:45]
	s_cbranch_execnz .LBB59_45
; %bb.46:
	s_or_b64 exec, exec, s[44:45]
	v_cmp_ne_u64_e64 s[0:1], v[2:3], v[4:5]
	v_lshlrev_b64 v[6:7], 8, v[4:5]
	s_orn2_b64 s[42:43], s[0:1], exec
.LBB59_47:
	s_or_b64 exec, exec, s[40:41]
	s_and_b64 exec, exec, s[42:43]
	s_cbranch_execz .LBB59_50
; %bb.48:
	s_sub_u32 s0, s8, s28
	s_subb_u32 s1, s9, 0
	s_add_u32 s40, s16, s0
	v_lshlrev_b32_e32 v4, 2, v6
	s_addc_u32 s41, s17, s1
	v_lshl_add_u64 v[2:3], v[6:7], 0, v[0:1]
	v_lshl_add_u32 v4, v0, 2, v4
	s_mov_b64 s[42:43], 0
	s_mov_b64 s[44:45], 0x100
.LBB59_49:                              ; =>This Inner Loop Header: Depth=1
	v_lshl_add_u64 v[6:7], s[40:41], 0, v[2:3]
	global_load_sbyte v5, v[6:7], off
	v_lshl_add_u64 v[2:3], v[2:3], 0, s[44:45]
	v_cmp_le_i64_e64 s[0:1], s[4:5], v[2:3]
	s_or_b64 s[42:43], s[0:1], s[42:43]
	s_waitcnt vmcnt(0)
	v_cvt_f32_i32_e32 v5, v5
	v_mul_f32_e32 v5, s36, v5
	ds_write_b32 v4, v5
	v_add_u32_e32 v4, 0x400, v4
	s_andn2_b64 exec, exec, s[42:43]
	s_cbranch_execnz .LBB59_49
.LBB59_50:
	s_or_b64 exec, exec, s[38:39]
	s_andn2_saveexec_b64 s[0:1], s[2:3]
	s_cbranch_execz .LBB59_41
.LBB59_51:
	v_lshl_add_u64 v[2:3], s[16:17], 0, v[10:11]
	global_load_sbyte v4, v[2:3], off
	global_load_sbyte v5, v[2:3], off offset:256
	global_load_sbyte v6, v[2:3], off offset:512
	;; [unrolled: 1-line block ×3, first 2 shown]
	s_waitcnt vmcnt(3)
	v_cvt_f32_i32_e32 v2, v4
	s_waitcnt vmcnt(2)
	v_cvt_f32_i32_e32 v3, v5
	;; [unrolled: 2-line block ×4, first 2 shown]
	v_mul_f32_e32 v2, s36, v2
	v_mul_f32_e32 v3, s36, v3
	;; [unrolled: 1-line block ×4, first 2 shown]
	ds_write2st64_b32 v18, v2, v3 offset1:4
	ds_write2st64_b32 v18, v4, v5 offset0:8 offset1:12
	s_or_b64 exec, exec, s[0:1]
	v_cmp_gt_i64_e64 s[0:1], s[6:7], v[0:1]
	s_and_saveexec_b64 s[2:3], s[0:1]
	s_cbranch_execz .LBB59_59
.LBB59_52:
	v_mov_b32_e32 v3, -1
	v_not_b32_e32 v2, v0
	v_lshl_add_u64 v[4:5], s[6:7], 0, v[2:3]
	s_mov_b64 s[0:1], 0xff
	v_cmp_lt_u64_e64 s[0:1], s[0:1], v[4:5]
	s_mov_b64 s[16:17], -1
	v_mov_b64_e32 v[2:3], v[0:1]
	s_and_saveexec_b64 s[4:5], s[0:1]
	s_cbranch_execz .LBB59_56
; %bb.53:
	v_lshrrev_b64 v[2:3], 8, v[4:5]
	v_lshl_add_u64 v[12:13], v[2:3], 0, 1
	v_mov_b32_e32 v3, 0
	v_or_b32_e32 v4, 0x100, v0
	v_mov_b32_e32 v5, v3
	v_and_b32_e32 v14, -2, v12
	v_mov_b32_e32 v15, v13
	v_mov_b32_e32 v2, v0
	v_mov_b64_e32 v[6:7], v[4:5]
	s_mov_b64 s[16:17], 0
	v_mov_b32_e32 v19, 0x1000
	s_mov_b64 s[36:37], 0x200
	v_mov_b64_e32 v[16:17], v[14:15]
	v_mov_b64_e32 v[4:5], v[2:3]
.LBB59_54:                              ; =>This Inner Loop Header: Depth=1
	v_lshl_add_u64 v[16:17], v[16:17], 0, -2
	v_cmp_eq_u64_e64 s[0:1], 0, v[16:17]
	v_lshl_add_u32 v2, v4, 2, v19
	v_lshl_add_u32 v20, v6, 2, v19
	v_lshl_add_u64 v[6:7], v[6:7], 0, s[36:37]
	v_lshl_add_u64 v[4:5], v[4:5], 0, s[36:37]
	s_or_b64 s[16:17], s[0:1], s[16:17]
	ds_write_b32 v2, v3
	ds_write_b32 v20, v3
	s_andn2_b64 exec, exec, s[16:17]
	s_cbranch_execnz .LBB59_54
; %bb.55:
	s_or_b64 exec, exec, s[16:17]
	v_lshlrev_b64 v[2:3], 8, v[14:15]
	v_cmp_ne_u64_e64 s[0:1], v[12:13], v[14:15]
	v_or_b32_e32 v2, v2, v0
	s_orn2_b64 s[16:17], s[0:1], exec
.LBB59_56:
	s_or_b64 exec, exec, s[4:5]
	s_and_b64 exec, exec, s[16:17]
	s_cbranch_execz .LBB59_59
; %bb.57:
	v_mov_b32_e32 v4, 0x1000
	v_lshl_add_u32 v4, v2, 2, v4
	s_mov_b64 s[4:5], 0
	v_mov_b32_e32 v5, 0
	s_mov_b64 s[16:17], 0x100
.LBB59_58:                              ; =>This Inner Loop Header: Depth=1
	v_lshl_add_u64 v[2:3], v[2:3], 0, s[16:17]
	v_cmp_le_i64_e64 s[0:1], s[6:7], v[2:3]
	ds_write_b32 v4, v5
	s_or_b64 s[4:5], s[0:1], s[4:5]
	v_add_u32_e32 v4, 0x400, v4
	s_andn2_b64 exec, exec, s[4:5]
	s_cbranch_execnz .LBB59_58
.LBB59_59:
	s_or_b64 exec, exec, s[2:3]
	s_sub_u32 s2, s22, s6
	v_mov_b64_e32 v[2:3], s[6:7]
	s_subb_u32 s3, s23, s7
	v_cmp_ge_i64_e64 s[0:1], s[22:23], v[2:3]
	s_and_b64 s[0:1], s[0:1], exec
	s_cselect_b32 s5, s3, 0
	s_cselect_b32 s4, s2, 0
	s_waitcnt lgkmcnt(0)
	s_barrier
	s_and_saveexec_b64 s[0:1], vcc
	s_xor_b64 s[16:17], exec, s[0:1]
	s_cbranch_execz .LBB59_76
; %bb.60:
	s_lshl_b64 s[0:1], s[22:23], 3
	s_add_u32 s0, s12, s0
	s_addc_u32 s1, s13, s1
	s_load_dwordx2 s[0:1], s[0:1], 0x0
	s_waitcnt lgkmcnt(0)
	s_sub_u32 s36, s0, s8
	s_subb_u32 s37, s1, s9
	v_cmp_gt_i64_e32 vcc, s[36:37], v[0:1]
	s_and_saveexec_b64 s[38:39], vcc
	s_cbranch_execz .LBB59_75
; %bb.61:
	s_add_u32 s40, s22, -1
	s_addc_u32 s41, s23, -1
	s_add_u32 s2, s22, -2
	s_addc_u32 s3, s23, -1
	s_cmp_lg_u64 s[20:21], s[2:3]
	s_cselect_b64 s[2:3], -1, 0
	s_sub_u32 s42, s0, s28
	v_cndmask_b32_e64 v2, 0, 1, s[2:3]
	s_subb_u32 s43, s1, 0
	s_mov_b64 s[44:45], 0
	v_cmp_ne_u32_e64 s[0:1], 1, v2
	v_mov_b32_e32 v3, 0
	v_mov_b32_e32 v16, 0x1000
	s_mov_b64 s[46:47], 0
	s_branch .LBB59_64
.LBB59_62:                              ;   in Loop: Header=BB59_64 Depth=1
	s_or_b64 exec, exec, s[2:3]
.LBB59_63:                              ;   in Loop: Header=BB59_64 Depth=1
	s_or_b64 exec, exec, s[48:49]
	v_lshl_add_u64 v[6:7], s[18:19], 0, v[6:7]
	global_load_sbyte v5, v[6:7], off
	s_add_u32 s46, s46, 0x100
	s_addc_u32 s47, s47, 0
	v_lshlrev_b32_e32 v6, 2, v4
	s_waitcnt vmcnt(0)
	v_cvt_f32_i32_e32 v7, v5
	v_lshl_add_u64 v[4:5], s[46:47], 0, v[0:1]
	v_cmp_le_i64_e32 vcc, s[36:37], v[4:5]
	s_or_b64 s[44:45], vcc, s[44:45]
	s_waitcnt lgkmcnt(0)
	v_mul_f32_e32 v2, v2, v7
	ds_write_b32 v6, v2
	s_andn2_b64 exec, exec, s[44:45]
	s_cbranch_execz .LBB59_75
.LBB59_64:                              ; =>This Loop Header: Depth=1
                                        ;     Child Loop BB59_66 Depth 2
	v_lshl_add_u64 v[8:9], s[46:47], 0, v[10:11]
	s_and_b64 vcc, exec, s[0:1]
	v_mov_b64_e32 v[12:13], s[20:21]
	v_mov_b64_e32 v[14:15], s[40:41]
	s_cbranch_vccnz .LBB59_68
; %bb.65:                               ;   in Loop: Header=BB59_64 Depth=1
	s_mov_b64 s[48:49], 0
	v_mov_b64_e32 v[12:13], s[20:21]
	v_mov_b64_e32 v[14:15], s[40:41]
.LBB59_66:                              ;   Parent Loop BB59_64 Depth=1
                                        ; =>  This Inner Loop Header: Depth=2
	v_lshl_add_u64 v[4:5], v[14:15], 0, v[12:13]
	v_lshrrev_b32_e32 v2, 31, v5
	v_lshl_add_u64 v[4:5], v[4:5], 0, v[2:3]
	v_ashrrev_i64 v[4:5], 1, v[4:5]
	v_lshl_add_u64 v[6:7], v[4:5], 3, s[12:13]
	global_load_dwordx2 v[6:7], v[6:7], off
	s_waitcnt vmcnt(0)
	v_subrev_co_u32_e32 v6, vcc, s28, v6
	s_nop 1
	v_subbrev_co_u32_e32 v7, vcc, 0, v7, vcc
	v_cmp_lt_i64_e32 vcc, v[8:9], v[6:7]
	s_nop 1
	v_cndmask_b32_e32 v15, v15, v5, vcc
	v_cndmask_b32_e32 v14, v14, v4, vcc
	;; [unrolled: 1-line block ×4, first 2 shown]
	v_lshl_add_u64 v[4:5], v[14:15], 0, -1
	v_cmp_ge_i64_e32 vcc, v[12:13], v[14:15]
	v_cmp_eq_u64_e64 s[2:3], v[12:13], v[4:5]
	s_or_b64 s[2:3], vcc, s[2:3]
	s_and_b64 s[2:3], exec, s[2:3]
	s_or_b64 s[48:49], s[2:3], s[48:49]
	s_andn2_b64 exec, exec, s[48:49]
	s_cbranch_execnz .LBB59_66
; %bb.67:                               ;   in Loop: Header=BB59_64 Depth=1
	s_or_b64 exec, exec, s[48:49]
.LBB59_68:                              ;   in Loop: Header=BB59_64 Depth=1
	v_lshl_add_u64 v[4:5], v[14:15], 3, s[12:13]
	global_load_dwordx2 v[6:7], v[4:5], off
	v_lshl_add_u64 v[4:5], v[8:9], 2, s[14:15]
	global_load_dword v2, v[4:5], off
	v_cmp_le_i64_e32 vcc, s[42:43], v[8:9]
	v_lshl_add_u64 v[4:5], s[46:47], 0, v[0:1]
	v_lshlrev_b32_e32 v5, 2, v4
	s_waitcnt vmcnt(1)
	v_subrev_co_u32_e64 v20, s[2:3], s28, v6
	s_nop 1
	v_subbrev_co_u32_e64 v21, s[2:3], 0, v7, s[2:3]
	s_waitcnt vmcnt(0)
	v_subrev_u32_e32 v6, s28, v2
	v_cmp_lt_i64_e64 s[2:3], v[8:9], v[20:21]
	v_ashrrev_i32_e32 v7, 31, v6
                                        ; implicit-def: $vgpr2
	s_nop 0
	v_cndmask_b32_e64 v9, v15, v13, s[2:3]
	v_cndmask_b32_e64 v8, v14, v12, s[2:3]
	v_cmp_eq_u64_e64 s[2:3], v[8:9], v[6:7]
	s_or_b64 s[2:3], s[2:3], vcc
	s_and_saveexec_b64 s[48:49], s[2:3]
	s_xor_b64 s[2:3], exec, s[48:49]
; %bb.69:                               ;   in Loop: Header=BB59_64 Depth=1
	ds_read_b32 v2, v5
                                        ; implicit-def: $vgpr5
                                        ; implicit-def: $vgpr8_vgpr9
; %bb.70:                               ;   in Loop: Header=BB59_64 Depth=1
	s_andn2_saveexec_b64 s[48:49], s[2:3]
	s_cbranch_execz .LBB59_63
; %bb.71:                               ;   in Loop: Header=BB59_64 Depth=1
	v_cmp_gt_i64_e32 vcc, s[4:5], v[6:7]
	v_cmp_le_i64_e64 s[2:3], s[22:23], v[6:7]
	s_or_b64 s[2:3], vcc, s[2:3]
	v_lshl_add_u64 v[8:9], s[18:19], 0, v[8:9]
                                        ; implicit-def: $vgpr2
	s_and_saveexec_b64 s[50:51], s[2:3]
	s_xor_b64 s[2:3], exec, s[50:51]
	s_cbranch_execz .LBB59_73
; %bb.72:                               ;   in Loop: Header=BB59_64 Depth=1
	global_load_sbyte v8, v[8:9], off
	s_waitcnt lgkmcnt(0)
	ds_read_b32 v2, v5
	s_waitcnt vmcnt(0)
	v_cvt_f32_i32_e32 v5, v8
	v_lshl_add_u64 v[8:9], v[6:7], 2, s[24:25]
	s_waitcnt lgkmcnt(0)
	v_mul_f32_e32 v5, v2, v5
	global_atomic_add_f32 v[8:9], v5, off
                                        ; implicit-def: $vgpr5
                                        ; implicit-def: $vgpr8_vgpr9
.LBB59_73:                              ;   in Loop: Header=BB59_64 Depth=1
	s_andn2_saveexec_b64 s[2:3], s[2:3]
	s_cbranch_execz .LBB59_62
; %bb.74:                               ;   in Loop: Header=BB59_64 Depth=1
	global_load_sbyte v8, v[8:9], off
	s_waitcnt lgkmcnt(0)
	ds_read_b32 v2, v5
	s_waitcnt vmcnt(0)
	v_cvt_f32_i32_e32 v5, v8
	v_subrev_u32_e32 v8, s4, v6
	v_lshl_add_u32 v8, v8, 2, v16
	s_waitcnt lgkmcnt(0)
	v_mul_f32_e32 v5, v2, v5
	ds_add_f32 v8, v5
	s_branch .LBB59_62
.LBB59_75:
	s_or_b64 exec, exec, s[38:39]
                                        ; implicit-def: $vgpr8_vgpr9
                                        ; implicit-def: $vgpr10_vgpr11
.LBB59_76:
	s_andn2_saveexec_b64 s[16:17], s[16:17]
	s_cbranch_execz .LBB59_118
; %bb.77:
	s_add_u32 s36, s22, -1
	s_addc_u32 s37, s23, -1
	s_add_u32 s0, s22, -2
	s_addc_u32 s1, s23, -1
	s_cmp_lg_u64 s[20:21], s[0:1]
	s_cselect_b64 s[2:3], -1, 0
	s_cmp_eq_u64 s[20:21], s[0:1]
	v_mov_b64_e32 v[4:5], s[20:21]
	v_mov_b64_e32 v[6:7], s[36:37]
	s_cbranch_scc1 .LBB59_81
; %bb.78:
	s_mov_b64 s[38:39], 0
	v_mov_b64_e32 v[4:5], s[20:21]
	v_mov_b64_e32 v[6:7], s[36:37]
	v_mov_b32_e32 v3, 0
.LBB59_79:                              ; =>This Inner Loop Header: Depth=1
	v_lshl_add_u64 v[12:13], v[6:7], 0, v[4:5]
	v_lshrrev_b32_e32 v2, 31, v13
	v_lshl_add_u64 v[12:13], v[12:13], 0, v[2:3]
	v_ashrrev_i64 v[12:13], 1, v[12:13]
	v_lshl_add_u64 v[14:15], v[12:13], 3, s[12:13]
	global_load_dwordx2 v[14:15], v[14:15], off
	s_waitcnt vmcnt(0)
	v_subrev_co_u32_e32 v14, vcc, s28, v14
	s_nop 1
	v_subbrev_co_u32_e32 v15, vcc, 0, v15, vcc
	v_cmp_lt_i64_e32 vcc, v[10:11], v[14:15]
	s_nop 1
	v_cndmask_b32_e32 v7, v7, v13, vcc
	v_cndmask_b32_e32 v6, v6, v12, vcc
	;; [unrolled: 1-line block ×4, first 2 shown]
	v_lshl_add_u64 v[12:13], v[6:7], 0, -1
	v_cmp_ge_i64_e32 vcc, v[4:5], v[6:7]
	v_cmp_eq_u64_e64 s[0:1], v[4:5], v[12:13]
	s_or_b64 s[0:1], vcc, s[0:1]
	s_and_b64 s[0:1], exec, s[0:1]
	s_or_b64 s[38:39], s[0:1], s[38:39]
	s_andn2_b64 exec, exec, s[38:39]
	s_cbranch_execnz .LBB59_79
; %bb.80:
	s_or_b64 exec, exec, s[38:39]
.LBB59_81:
	v_lshl_add_u64 v[2:3], v[6:7], 3, s[12:13]
	global_load_dwordx2 v[12:13], v[2:3], off
	v_lshl_add_u64 v[2:3], v[10:11], 2, s[14:15]
	global_load_dword v16, v[2:3], off
	s_lshl_b64 s[0:1], s[22:23], 3
	s_add_u32 s14, s12, s0
	s_addc_u32 s15, s13, s1
	s_waitcnt vmcnt(1)
	v_subrev_co_u32_e32 v14, vcc, s28, v12
	s_nop 1
	v_subbrev_co_u32_e32 v15, vcc, 0, v13, vcc
	s_waitcnt vmcnt(0)
	v_subrev_u32_e32 v12, s28, v16
	v_cmp_lt_i64_e32 vcc, v[10:11], v[14:15]
	v_ashrrev_i32_e32 v13, 31, v12
	s_nop 0
	v_cndmask_b32_e32 v5, v7, v5, vcc
	v_cndmask_b32_e32 v4, v6, v4, vcc
	v_cmp_ne_u64_e32 vcc, v[4:5], v[12:13]
	s_and_saveexec_b64 s[38:39], vcc
	s_cbranch_execz .LBB59_87
; %bb.82:
	s_load_dwordx2 s[0:1], s[14:15], 0x0
	s_waitcnt lgkmcnt(0)
	s_sub_u32 s0, s0, s28
	s_subb_u32 s1, s1, 0
	v_cmp_gt_i64_e32 vcc, s[0:1], v[10:11]
	s_and_b64 exec, exec, vcc
	s_cbranch_execz .LBB59_87
; %bb.83:
	v_cmp_gt_i64_e32 vcc, s[4:5], v[12:13]
	v_cmp_le_i64_e64 s[0:1], s[22:23], v[12:13]
	s_or_b64 s[0:1], vcc, s[0:1]
	v_lshl_add_u64 v[4:5], s[18:19], 0, v[4:5]
	s_and_saveexec_b64 s[40:41], s[0:1]
	s_xor_b64 s[0:1], exec, s[40:41]
	s_cbranch_execz .LBB59_85
; %bb.84:
	global_load_sbyte v4, v[4:5], off
	ds_read_b32 v6, v18
	s_waitcnt vmcnt(0)
	v_cvt_f32_i32_e32 v7, v4
	v_lshl_add_u64 v[4:5], v[12:13], 2, s[24:25]
	s_waitcnt lgkmcnt(0)
	v_mul_f32_e32 v6, v6, v7
	global_atomic_add_f32 v[4:5], v6, off
                                        ; implicit-def: $vgpr4_vgpr5
.LBB59_85:
	s_andn2_saveexec_b64 s[0:1], s[0:1]
	s_cbranch_execz .LBB59_87
; %bb.86:
	global_load_sbyte v4, v[4:5], off
	ds_read_b32 v5, v18
	v_subrev_u32_e32 v6, s4, v12
	v_mov_b32_e32 v7, 0x1000
	v_lshl_add_u32 v6, v6, 2, v7
	s_waitcnt vmcnt(0)
	v_cvt_f32_i32_e32 v4, v4
	s_waitcnt lgkmcnt(0)
	v_mul_f32_e32 v4, v5, v4
	ds_add_f32 v6, v4
.LBB59_87:
	s_or_b64 exec, exec, s[38:39]
	v_lshl_add_u64 v[4:5], s[18:19], 0, v[12:13]
	global_load_sbyte v4, v[4:5], off
	ds_read_b32 v12, v18
	s_mov_b64 s[0:1], 0x100
	v_cndmask_b32_e64 v13, 0, 1, s[2:3]
	v_mov_b64_e32 v[6:7], s[20:21]
	s_andn2_b64 vcc, exec, s[2:3]
	s_waitcnt vmcnt(0)
	v_cvt_f32_i32_e32 v14, v4
	v_lshl_add_u64 v[4:5], v[10:11], 0, s[0:1]
	v_cmp_ne_u32_e64 s[0:1], 1, v13
	s_waitcnt lgkmcnt(0)
	v_mul_f32_e32 v12, v12, v14
	ds_write_b32 v18, v12
	v_mov_b64_e32 v[12:13], s[36:37]
	s_cbranch_vccnz .LBB59_91
; %bb.88:
	s_mov_b64 s[38:39], 0
	v_mov_b64_e32 v[6:7], s[20:21]
	v_mov_b64_e32 v[12:13], s[36:37]
	v_mov_b32_e32 v15, 0
.LBB59_89:                              ; =>This Inner Loop Header: Depth=1
	v_lshl_add_u64 v[16:17], v[12:13], 0, v[6:7]
	v_lshrrev_b32_e32 v14, 31, v17
	v_lshl_add_u64 v[16:17], v[16:17], 0, v[14:15]
	v_ashrrev_i64 v[16:17], 1, v[16:17]
	v_lshl_add_u64 v[20:21], v[16:17], 3, s[12:13]
	global_load_dwordx2 v[20:21], v[20:21], off
	s_waitcnt vmcnt(0)
	v_subrev_co_u32_e32 v20, vcc, s28, v20
	s_nop 1
	v_subbrev_co_u32_e32 v21, vcc, 0, v21, vcc
	v_cmp_lt_i64_e32 vcc, v[4:5], v[20:21]
	s_nop 1
	v_cndmask_b32_e32 v13, v13, v17, vcc
	v_cndmask_b32_e32 v12, v12, v16, vcc
	;; [unrolled: 1-line block ×4, first 2 shown]
	v_lshl_add_u64 v[16:17], v[12:13], 0, -1
	v_cmp_ge_i64_e32 vcc, v[6:7], v[12:13]
	v_cmp_eq_u64_e64 s[2:3], v[6:7], v[16:17]
	s_or_b64 s[2:3], vcc, s[2:3]
	s_and_b64 s[2:3], exec, s[2:3]
	s_or_b64 s[38:39], s[2:3], s[38:39]
	s_andn2_b64 exec, exec, s[38:39]
	s_cbranch_execnz .LBB59_89
; %bb.90:
	s_or_b64 exec, exec, s[38:39]
.LBB59_91:
	v_lshl_add_u64 v[14:15], v[12:13], 3, s[12:13]
	global_load_dwordx2 v[16:17], v[14:15], off
	global_load_dword v19, v[2:3], off offset:1024
	s_waitcnt vmcnt(1)
	v_subrev_co_u32_e32 v16, vcc, s28, v16
	s_nop 1
	v_subbrev_co_u32_e32 v17, vcc, 0, v17, vcc
	s_waitcnt vmcnt(0)
	v_subrev_u32_e32 v14, s28, v19
	v_cmp_lt_i64_e32 vcc, v[4:5], v[16:17]
	v_ashrrev_i32_e32 v15, 31, v14
	s_nop 0
	v_cndmask_b32_e32 v7, v13, v7, vcc
	v_cndmask_b32_e32 v6, v12, v6, vcc
	v_cmp_ne_u64_e32 vcc, v[6:7], v[14:15]
	s_and_saveexec_b64 s[38:39], vcc
	s_cbranch_execz .LBB59_97
; %bb.92:
	s_load_dwordx2 s[2:3], s[14:15], 0x0
	s_waitcnt lgkmcnt(0)
	s_sub_u32 s2, s2, s28
	s_subb_u32 s3, s3, 0
	v_cmp_gt_i64_e32 vcc, s[2:3], v[4:5]
	s_and_b64 exec, exec, vcc
	s_cbranch_execz .LBB59_97
; %bb.93:
	v_cmp_gt_i64_e32 vcc, s[4:5], v[14:15]
	v_cmp_le_i64_e64 s[2:3], s[22:23], v[14:15]
	s_or_b64 s[2:3], vcc, s[2:3]
	v_lshl_add_u64 v[4:5], s[18:19], 0, v[6:7]
	s_and_saveexec_b64 s[40:41], s[2:3]
	s_xor_b64 s[2:3], exec, s[40:41]
	s_cbranch_execz .LBB59_95
; %bb.94:
	global_load_sbyte v4, v[4:5], off
	ds_read_b32 v6, v18 offset:1024
	s_waitcnt vmcnt(0)
	v_cvt_f32_i32_e32 v7, v4
	v_lshl_add_u64 v[4:5], v[14:15], 2, s[24:25]
	s_waitcnt lgkmcnt(0)
	v_mul_f32_e32 v6, v6, v7
	global_atomic_add_f32 v[4:5], v6, off
                                        ; implicit-def: $vgpr4_vgpr5
.LBB59_95:
	s_andn2_saveexec_b64 s[2:3], s[2:3]
	s_cbranch_execz .LBB59_97
; %bb.96:
	global_load_sbyte v4, v[4:5], off
	ds_read_b32 v5, v18 offset:1024
	v_subrev_u32_e32 v6, s4, v14
	v_mov_b32_e32 v7, 0x1000
	v_lshl_add_u32 v6, v6, 2, v7
	s_waitcnt vmcnt(0)
	v_cvt_f32_i32_e32 v4, v4
	s_waitcnt lgkmcnt(0)
	v_mul_f32_e32 v4, v5, v4
	ds_add_f32 v6, v4
.LBB59_97:
	s_or_b64 exec, exec, s[38:39]
	v_lshl_add_u64 v[4:5], s[18:19], 0, v[14:15]
	global_load_sbyte v4, v[4:5], off
	ds_read_b32 v12, v18 offset:1024
	s_mov_b64 s[2:3], 0x200
	s_and_b64 vcc, exec, s[0:1]
	v_mov_b64_e32 v[6:7], s[20:21]
	s_waitcnt vmcnt(0)
	v_cvt_f32_i32_e32 v13, v4
	v_lshl_add_u64 v[4:5], v[10:11], 0, s[2:3]
	s_waitcnt lgkmcnt(0)
	v_mul_f32_e32 v10, v12, v13
	ds_write_b32 v18, v10 offset:1024
	v_mov_b64_e32 v[10:11], s[36:37]
	s_cbranch_vccnz .LBB59_101
; %bb.98:
	s_mov_b64 s[38:39], 0
	v_mov_b64_e32 v[6:7], s[20:21]
	v_mov_b64_e32 v[10:11], s[36:37]
	v_mov_b32_e32 v13, 0
.LBB59_99:                              ; =>This Inner Loop Header: Depth=1
	v_lshl_add_u64 v[14:15], v[10:11], 0, v[6:7]
	v_lshrrev_b32_e32 v12, 31, v15
	v_lshl_add_u64 v[14:15], v[14:15], 0, v[12:13]
	v_ashrrev_i64 v[14:15], 1, v[14:15]
	v_lshl_add_u64 v[16:17], v[14:15], 3, s[12:13]
	global_load_dwordx2 v[16:17], v[16:17], off
	s_waitcnt vmcnt(0)
	v_subrev_co_u32_e32 v16, vcc, s28, v16
	s_nop 1
	v_subbrev_co_u32_e32 v17, vcc, 0, v17, vcc
	v_cmp_lt_i64_e32 vcc, v[4:5], v[16:17]
	s_nop 1
	v_cndmask_b32_e32 v11, v11, v15, vcc
	v_cndmask_b32_e32 v10, v10, v14, vcc
	;; [unrolled: 1-line block ×4, first 2 shown]
	v_lshl_add_u64 v[14:15], v[10:11], 0, -1
	v_cmp_ge_i64_e32 vcc, v[6:7], v[10:11]
	v_cmp_eq_u64_e64 s[2:3], v[6:7], v[14:15]
	s_or_b64 s[2:3], vcc, s[2:3]
	s_and_b64 s[2:3], exec, s[2:3]
	s_or_b64 s[38:39], s[2:3], s[38:39]
	s_andn2_b64 exec, exec, s[38:39]
	s_cbranch_execnz .LBB59_99
; %bb.100:
	s_or_b64 exec, exec, s[38:39]
.LBB59_101:
	v_lshl_add_u64 v[12:13], v[10:11], 3, s[12:13]
	global_load_dwordx2 v[14:15], v[12:13], off
	global_load_dword v16, v[2:3], off offset:2048
	s_waitcnt vmcnt(1)
	v_subrev_co_u32_e32 v14, vcc, s28, v14
	s_nop 1
	v_subbrev_co_u32_e32 v15, vcc, 0, v15, vcc
	s_waitcnt vmcnt(0)
	v_subrev_u32_e32 v12, s28, v16
	v_cmp_lt_i64_e32 vcc, v[4:5], v[14:15]
	v_ashrrev_i32_e32 v13, 31, v12
	s_nop 0
	v_cndmask_b32_e32 v7, v11, v7, vcc
	v_cndmask_b32_e32 v6, v10, v6, vcc
	v_cmp_ne_u64_e32 vcc, v[6:7], v[12:13]
	s_and_saveexec_b64 s[38:39], vcc
	s_cbranch_execz .LBB59_107
; %bb.102:
	s_load_dwordx2 s[2:3], s[14:15], 0x0
	s_waitcnt lgkmcnt(0)
	s_sub_u32 s2, s2, s28
	s_subb_u32 s3, s3, 0
	v_cmp_gt_i64_e32 vcc, s[2:3], v[4:5]
	s_and_b64 exec, exec, vcc
	s_cbranch_execz .LBB59_107
; %bb.103:
	v_cmp_gt_i64_e32 vcc, s[4:5], v[12:13]
	v_cmp_le_i64_e64 s[2:3], s[22:23], v[12:13]
	s_or_b64 s[2:3], vcc, s[2:3]
	v_lshl_add_u64 v[4:5], s[18:19], 0, v[6:7]
	s_and_saveexec_b64 s[40:41], s[2:3]
	s_xor_b64 s[2:3], exec, s[40:41]
	s_cbranch_execz .LBB59_105
; %bb.104:
	global_load_sbyte v4, v[4:5], off
	ds_read_b32 v6, v18 offset:2048
	s_waitcnt vmcnt(0)
	v_cvt_f32_i32_e32 v7, v4
	v_lshl_add_u64 v[4:5], v[12:13], 2, s[24:25]
	s_waitcnt lgkmcnt(0)
	v_mul_f32_e32 v6, v6, v7
	global_atomic_add_f32 v[4:5], v6, off
                                        ; implicit-def: $vgpr4_vgpr5
.LBB59_105:
	s_andn2_saveexec_b64 s[2:3], s[2:3]
	s_cbranch_execz .LBB59_107
; %bb.106:
	global_load_sbyte v4, v[4:5], off
	ds_read_b32 v5, v18 offset:2048
	v_subrev_u32_e32 v6, s4, v12
	v_mov_b32_e32 v7, 0x1000
	v_lshl_add_u32 v6, v6, 2, v7
	s_waitcnt vmcnt(0)
	v_cvt_f32_i32_e32 v4, v4
	s_waitcnt lgkmcnt(0)
	v_mul_f32_e32 v4, v5, v4
	ds_add_f32 v6, v4
.LBB59_107:
	s_or_b64 exec, exec, s[38:39]
	v_lshl_add_u64 v[4:5], s[18:19], 0, v[12:13]
	global_load_sbyte v4, v[4:5], off
	ds_read_b32 v6, v18 offset:2048
	s_and_b64 vcc, exec, s[0:1]
	s_waitcnt vmcnt(0)
	v_cvt_f32_i32_e32 v7, v4
	v_mov_b64_e32 v[4:5], s[20:21]
	s_waitcnt lgkmcnt(0)
	v_mul_f32_e32 v6, v6, v7
	ds_write_b32 v18, v6 offset:2048
	v_mov_b64_e32 v[6:7], s[36:37]
	s_cbranch_vccnz .LBB59_111
; %bb.108:
	s_mov_b64 s[2:3], 0
	v_mov_b64_e32 v[4:5], s[20:21]
	v_mov_b64_e32 v[6:7], s[36:37]
	v_mov_b32_e32 v11, 0
.LBB59_109:                             ; =>This Inner Loop Header: Depth=1
	v_lshl_add_u64 v[12:13], v[6:7], 0, v[4:5]
	v_lshrrev_b32_e32 v10, 31, v13
	v_lshl_add_u64 v[12:13], v[12:13], 0, v[10:11]
	v_ashrrev_i64 v[12:13], 1, v[12:13]
	v_lshl_add_u64 v[14:15], v[12:13], 3, s[12:13]
	global_load_dwordx2 v[14:15], v[14:15], off
	s_waitcnt vmcnt(0)
	v_subrev_co_u32_e32 v14, vcc, s28, v14
	s_nop 1
	v_subbrev_co_u32_e32 v15, vcc, 0, v15, vcc
	v_cmp_lt_i64_e32 vcc, v[8:9], v[14:15]
	s_nop 1
	v_cndmask_b32_e32 v7, v7, v13, vcc
	v_cndmask_b32_e32 v6, v6, v12, vcc
	;; [unrolled: 1-line block ×4, first 2 shown]
	v_lshl_add_u64 v[12:13], v[6:7], 0, -1
	v_cmp_ge_i64_e32 vcc, v[4:5], v[6:7]
	v_cmp_eq_u64_e64 s[0:1], v[4:5], v[12:13]
	s_or_b64 s[0:1], vcc, s[0:1]
	s_and_b64 s[0:1], exec, s[0:1]
	s_or_b64 s[2:3], s[0:1], s[2:3]
	s_andn2_b64 exec, exec, s[2:3]
	s_cbranch_execnz .LBB59_109
; %bb.110:
	s_or_b64 exec, exec, s[2:3]
.LBB59_111:
	global_load_dword v12, v[2:3], off offset:3072
	v_lshl_add_u64 v[2:3], v[6:7], 3, s[12:13]
	global_load_dwordx2 v[10:11], v[2:3], off
	s_waitcnt vmcnt(1)
	v_subrev_u32_e32 v2, s28, v12
	v_ashrrev_i32_e32 v3, 31, v2
	s_waitcnt vmcnt(0)
	v_subrev_co_u32_e32 v10, vcc, s28, v10
	s_nop 1
	v_subbrev_co_u32_e32 v11, vcc, 0, v11, vcc
	v_cmp_lt_i64_e32 vcc, v[8:9], v[10:11]
	s_nop 1
	v_cndmask_b32_e32 v5, v7, v5, vcc
	v_cndmask_b32_e32 v4, v6, v4, vcc
	v_cmp_ne_u64_e32 vcc, v[4:5], v[2:3]
	s_and_saveexec_b64 s[2:3], vcc
	s_cbranch_execz .LBB59_117
; %bb.112:
	s_load_dwordx2 s[0:1], s[14:15], 0x0
	s_waitcnt lgkmcnt(0)
	s_sub_u32 s0, s0, s28
	s_subb_u32 s1, s1, 0
	v_cmp_gt_i64_e32 vcc, s[0:1], v[8:9]
	s_and_b64 exec, exec, vcc
	s_cbranch_execz .LBB59_117
; %bb.113:
	v_cmp_gt_i64_e32 vcc, s[4:5], v[2:3]
	v_cmp_le_i64_e64 s[0:1], s[22:23], v[2:3]
	s_or_b64 s[0:1], vcc, s[0:1]
	v_lshl_add_u64 v[4:5], s[18:19], 0, v[4:5]
	s_and_saveexec_b64 s[14:15], s[0:1]
	s_xor_b64 s[0:1], exec, s[14:15]
	s_cbranch_execz .LBB59_115
; %bb.114:
	global_load_sbyte v4, v[4:5], off
	ds_read_b32 v6, v18 offset:3072
	s_waitcnt vmcnt(0)
	v_cvt_f32_i32_e32 v7, v4
	v_lshl_add_u64 v[4:5], v[2:3], 2, s[24:25]
	s_waitcnt lgkmcnt(0)
	v_mul_f32_e32 v6, v6, v7
	global_atomic_add_f32 v[4:5], v6, off
                                        ; implicit-def: $vgpr4_vgpr5
.LBB59_115:
	s_andn2_saveexec_b64 s[0:1], s[0:1]
	s_cbranch_execz .LBB59_117
; %bb.116:
	global_load_sbyte v4, v[4:5], off
	ds_read_b32 v5, v18 offset:3072
	v_subrev_u32_e32 v6, s4, v2
	v_mov_b32_e32 v7, 0x1000
	v_lshl_add_u32 v6, v6, 2, v7
	s_waitcnt vmcnt(0)
	v_cvt_f32_i32_e32 v4, v4
	s_waitcnt lgkmcnt(0)
	v_mul_f32_e32 v4, v5, v4
	ds_add_f32 v6, v4
.LBB59_117:
	s_or_b64 exec, exec, s[2:3]
	v_lshl_add_u64 v[2:3], s[18:19], 0, v[2:3]
	global_load_sbyte v2, v[2:3], off
	ds_read_b32 v3, v18 offset:3072
	s_waitcnt vmcnt(0)
	v_cvt_f32_i32_e32 v2, v2
	s_waitcnt lgkmcnt(0)
	v_mul_f32_e32 v2, v3, v2
	ds_write_b32 v18, v2 offset:3072
.LBB59_118:
	s_or_b64 exec, exec, s[16:17]
	v_mov_b64_e32 v[2:3], s[6:7]
	v_cmp_lt_i64_e32 vcc, s[22:23], v[2:3]
	s_and_b64 s[0:1], vcc, exec
	s_cselect_b32 s16, s22, s6
	s_cselect_b32 s0, s23, s7
	s_sub_u32 s2, s16, s26
	s_subb_u32 s3, s0, s27
	v_cmp_gt_i64_e32 vcc, s[2:3], v[0:1]
	s_waitcnt lgkmcnt(0)
	s_barrier
	s_and_saveexec_b64 s[0:1], vcc
	s_cbranch_execz .LBB59_121
; %bb.119:
	v_mov_b64_e32 v[2:3], s[6:7]
	v_cmp_gt_i64_e32 vcc, s[22:23], v[2:3]
	s_and_b64 s[4:5], vcc, exec
	s_cselect_b32 s5, s23, s7
	s_cselect_b32 s4, s22, s6
	v_lshlrev_b32_e32 v2, 2, v0
	v_mov_b32_e32 v3, 0
	v_lshl_add_u64 v[2:3], s[4:5], 2, v[2:3]
	s_lshl_b64 s[4:5], s[6:7], 2
	v_mov_b32_e32 v4, s5
	v_subrev_co_u32_e32 v2, vcc, s4, v2
	s_mov_b64 s[4:5], 0
	s_nop 0
	v_subb_co_u32_e32 v3, vcc, v3, v4, vcc
	v_mov_b32_e32 v4, 0x1000
	v_lshl_add_u64 v[2:3], s[24:25], 0, v[2:3]
	v_lshl_add_u32 v6, v0, 2, v4
	s_mov_b64 s[6:7], 0x100
	s_mov_b64 s[14:15], 0x400
	v_mov_b64_e32 v[4:5], v[0:1]
.LBB59_120:                             ; =>This Inner Loop Header: Depth=1
	ds_read_b32 v7, v6
	v_lshl_add_u64 v[4:5], v[4:5], 0, s[6:7]
	v_cmp_le_i64_e32 vcc, s[2:3], v[4:5]
	v_add_u32_e32 v6, 0x400, v6
	s_or_b64 s[4:5], vcc, s[4:5]
	s_waitcnt lgkmcnt(0)
	global_atomic_add_f32 v[2:3], v7, off
	v_lshl_add_u64 v[2:3], v[2:3], 0, s[14:15]
	s_andn2_b64 exec, exec, s[4:5]
	s_cbranch_execnz .LBB59_120
.LBB59_121:
	s_or_b64 exec, exec, s[0:1]
	s_add_i32 s0, s34, -1
	s_ashr_i32 s1, s0, 1
	s_or_b32 s0, s1, s0
	s_ashr_i32 s1, s0, 2
	s_or_b32 s0, s1, s0
	;; [unrolled: 2-line block ×5, first 2 shown]
	s_add_i32 s0, s0, 1
	s_ashr_i32 s3, s0, 1
	v_lshl_add_u64 v[6:7], s[20:21], 0, v[0:1]
	s_cmp_gt_i32 s3, 1
	s_mov_b64 s[0:1], -1
	s_barrier
	s_cbranch_scc1 .LBB59_130
; %bb.122:
	v_cmp_gt_i64_e32 vcc, s[22:23], v[6:7]
	s_and_saveexec_b64 s[0:1], vcc
	s_cbranch_execz .LBB59_129
; %bb.123:
	s_sub_i32 s4, s16, s22
	s_lshl_b32 s4, s4, 2
	s_add_i32 s16, s4, 0x1000
	s_lshl_b32 s4, s8, 2
	s_sub_i32 s17, 0, s4
	s_mov_b64 s[4:5], 0
	v_mov_b64_e32 v[8:9], v[6:7]
	s_branch .LBB59_125
.LBB59_124:                             ;   in Loop: Header=BB59_125 Depth=1
	s_or_b64 exec, exec, s[6:7]
	v_lshl_add_u32 v2, v8, 2, s16
	ds_read_b32 v2, v2
	s_waitcnt lgkmcnt(0)
	v_add_f32_e32 v4, v12, v2
	v_lshl_add_u64 v[2:3], v[8:9], 2, s[24:25]
	global_atomic_add_f32 v[2:3], v4, off
	v_lshl_add_u64 v[8:9], v[8:9], 0, s[30:31]
	v_cmp_le_i64_e32 vcc, s[22:23], v[8:9]
	s_or_b64 s[4:5], vcc, s[4:5]
	s_andn2_b64 exec, exec, s[4:5]
	s_cbranch_execz .LBB59_129
.LBB59_125:                             ; =>This Loop Header: Depth=1
                                        ;     Child Loop BB59_127 Depth 2
	v_lshl_add_u64 v[2:3], v[8:9], 3, s[12:13]
	global_load_dwordx4 v[2:5], v[2:3], off
	v_mov_b32_e32 v12, 0
	s_waitcnt vmcnt(0)
	v_cmp_lt_i64_e32 vcc, v[2:3], v[4:5]
	s_and_saveexec_b64 s[6:7], vcc
	s_cbranch_execz .LBB59_124
; %bb.126:                              ;   in Loop: Header=BB59_125 Depth=1
	v_mov_b32_e32 v10, s9
	v_subrev_co_u32_e32 v4, vcc, s8, v4
	v_mov_b32_e32 v11, s9
	s_nop 0
	v_subb_co_u32_e32 v5, vcc, v5, v10, vcc
	v_subrev_co_u32_e32 v10, vcc, s8, v2
	v_lshl_add_u32 v2, v2, 2, s17
	s_nop 0
	v_subb_co_u32_e32 v11, vcc, v3, v11, vcc
	v_mov_b32_e32 v12, 0
	s_mov_b64 s[14:15], 0
.LBB59_127:                             ;   Parent Loop BB59_125 Depth=1
                                        ; =>  This Inner Loop Header: Depth=2
	ds_read_b32 v3, v2
	v_lshl_add_u64 v[10:11], v[10:11], 0, 1
	v_cmp_ge_i64_e32 vcc, v[10:11], v[4:5]
	v_add_u32_e32 v2, 4, v2
	s_or_b64 s[14:15], vcc, s[14:15]
	s_waitcnt lgkmcnt(0)
	v_add_f32_e32 v12, v12, v3
	s_andn2_b64 exec, exec, s[14:15]
	s_cbranch_execnz .LBB59_127
; %bb.128:                              ;   in Loop: Header=BB59_125 Depth=1
	s_or_b64 exec, exec, s[14:15]
	s_branch .LBB59_124
.LBB59_129:
	s_or_b64 exec, exec, s[0:1]
	s_mov_b64 s[0:1], 0
.LBB59_130:
	s_andn2_b64 vcc, exec, s[0:1]
	s_cbranch_vccnz .LBB59_147
; %bb.131:
	v_cvt_f32_u32_e32 v2, s3
	s_sub_i32 s12, 0, s3
	v_mov_b32_e32 v5, 0
	v_mov_b32_e32 v13, s9
	v_rcp_iflag_f32_e32 v2, v2
	s_nop 0
	v_mul_f32_e32 v2, 0x4f7ffffe, v2
	v_cvt_u32_f32_e32 v2, v2
	v_mul_lo_u32 v3, s12, v2
	v_mul_hi_u32 v3, v2, v3
	v_add_u32_e32 v2, v2, v3
	v_mul_hi_u32 v2, v0, v2
	v_mul_lo_u32 v3, v2, s3
	v_sub_u32_e32 v3, v0, v3
	v_add_u32_e32 v4, 1, v2
	v_cmp_le_u32_e32 vcc, s3, v3
	s_nop 1
	v_cndmask_b32_e32 v2, v2, v4, vcc
	v_subrev_u32_e32 v4, s3, v3
	v_cndmask_b32_e32 v3, v3, v4, vcc
	v_add_u32_e32 v4, 1, v2
	v_cmp_le_u32_e32 vcc, s3, v3
	s_nop 1
	v_cndmask_b32_e32 v4, v2, v4, vcc
	v_lshl_add_u64 v[2:3], v[4:5], 3, s[10:11]
	global_load_dwordx4 v[8:11], v[2:3], off
	v_mov_b32_e32 v3, s9
	s_waitcnt vmcnt(0)
	v_subrev_co_u32_e32 v2, vcc, s8, v8
	s_nop 1
	v_subb_co_u32_e32 v3, vcc, v9, v3, vcc
	v_subrev_co_u32_e32 v12, vcc, s8, v10
	v_mov_b32_e32 v10, v5
	s_nop 0
	v_subb_co_u32_e32 v13, vcc, v11, v13, vcc
	v_sub_co_u32_e32 v8, vcc, v12, v2
	s_nop 1
	v_subb_co_u32_e32 v9, vcc, v13, v3, vcc
	v_mov_b32_e32 v11, v9
	v_cmp_ne_u64_e32 vcc, 0, v[10:11]
                                        ; implicit-def: $vgpr10_vgpr11
	s_and_saveexec_b64 s[0:1], vcc
	s_xor_b64 s[4:5], exec, s[0:1]
	s_cbranch_execz .LBB59_133
; %bb.132:
	s_add_u32 s0, s3, 0
	s_addc_u32 s1, 0, 0
	s_xor_b64 s[6:7], s[0:1], 0
	v_cvt_f32_u32_e32 v10, s6
	v_cvt_f32_u32_e32 v11, s7
	s_sub_u32 s8, 0, s6
	s_subb_u32 s9, 0, s7
	v_ashrrev_i32_e32 v14, 31, v9
	v_fmamk_f32 v10, v11, 0x4f800000, v10
	v_rcp_f32_e32 v10, v10
	v_mov_b32_e32 v15, v14
	v_lshl_add_u64 v[8:9], v[8:9], 0, v[14:15]
	v_xor_b32_e32 v19, v8, v14
	v_mul_f32_e32 v10, 0x5f7ffffc, v10
	v_mul_f32_e32 v11, 0x2f800000, v10
	v_trunc_f32_e32 v11, v11
	v_fmamk_f32 v10, v11, 0xcf800000, v10
	v_cvt_u32_f32_e32 v11, v11
	v_cvt_u32_f32_e32 v10, v10
	v_xor_b32_e32 v15, v9, v14
	v_readfirstlane_b32 s10, v11
	v_readfirstlane_b32 s0, v10
	s_mul_i32 s1, s8, s10
	s_mul_hi_u32 s13, s8, s0
	s_mul_i32 s11, s9, s0
	s_add_i32 s1, s13, s1
	s_mul_i32 s14, s8, s0
	s_add_i32 s1, s1, s11
	s_mul_i32 s13, s0, s1
	s_mul_hi_u32 s15, s0, s14
	s_mul_hi_u32 s11, s0, s1
	s_add_u32 s13, s15, s13
	s_addc_u32 s11, 0, s11
	s_mul_hi_u32 s16, s10, s14
	s_mul_i32 s14, s10, s14
	s_add_u32 s13, s13, s14
	s_mul_hi_u32 s15, s10, s1
	s_addc_u32 s11, s11, s16
	s_addc_u32 s13, s15, 0
	s_mul_i32 s1, s10, s1
	s_add_u32 s1, s11, s1
	s_addc_u32 s11, 0, s13
	s_add_u32 s13, s0, s1
	s_cselect_b64 s[0:1], -1, 0
	s_cmp_lg_u64 s[0:1], 0
	s_addc_u32 s10, s10, s11
	s_mul_i32 s0, s8, s10
	s_mul_hi_u32 s1, s8, s13
	s_add_i32 s0, s1, s0
	s_mul_i32 s9, s9, s13
	s_add_i32 s0, s0, s9
	s_mul_i32 s8, s8, s13
	s_mul_hi_u32 s9, s10, s8
	s_mul_i32 s11, s10, s8
	s_mul_i32 s15, s13, s0
	s_mul_hi_u32 s8, s13, s8
	s_mul_hi_u32 s14, s13, s0
	s_add_u32 s8, s8, s15
	s_addc_u32 s14, 0, s14
	s_add_u32 s8, s8, s11
	s_mul_hi_u32 s1, s10, s0
	s_addc_u32 s8, s14, s9
	s_addc_u32 s1, s1, 0
	s_mul_i32 s0, s10, s0
	s_add_u32 s0, s8, s0
	s_addc_u32 s8, 0, s1
	s_add_u32 s9, s13, s0
	s_cselect_b64 s[0:1], -1, 0
	s_cmp_lg_u64 s[0:1], 0
	s_addc_u32 s8, s10, s8
	v_mad_u64_u32 v[8:9], s[0:1], v19, s8, 0
	v_mul_hi_u32 v10, v19, s9
	v_mov_b32_e32 v11, v5
	v_lshl_add_u64 v[8:9], v[10:11], 0, v[8:9]
	v_mad_u64_u32 v[16:17], s[0:1], v15, s9, 0
	v_add_co_u32_e32 v8, vcc, v8, v16
	v_mad_u64_u32 v[10:11], s[0:1], v15, s8, 0
	s_nop 0
	v_addc_co_u32_e32 v8, vcc, v9, v17, vcc
	v_mov_b32_e32 v9, v5
	s_nop 0
	v_addc_co_u32_e32 v11, vcc, 0, v11, vcc
	v_lshl_add_u64 v[8:9], v[8:9], 0, v[10:11]
	v_mul_lo_u32 v16, s7, v8
	v_mul_lo_u32 v17, s6, v9
	v_mad_u64_u32 v[10:11], s[0:1], s6, v8, 0
	v_add3_u32 v20, v11, v17, v16
	v_sub_u32_e32 v11, v15, v20
	v_mov_b32_e32 v16, s7
	v_sub_co_u32_e32 v19, vcc, v19, v10
	s_nop 1
	v_subb_co_u32_e64 v10, s[0:1], v11, v16, vcc
	v_subrev_co_u32_e64 v11, s[0:1], s6, v19
	v_subb_co_u32_e32 v15, vcc, v15, v20, vcc
	s_nop 0
	v_subbrev_co_u32_e64 v10, s[0:1], 0, v10, s[0:1]
	v_cmp_le_u32_e64 s[0:1], s7, v10
	v_cmp_le_u32_e32 vcc, s7, v15
	s_nop 0
	v_cndmask_b32_e64 v16, 0, -1, s[0:1]
	v_cmp_le_u32_e64 s[0:1], s6, v11
	s_nop 1
	v_cndmask_b32_e64 v11, 0, -1, s[0:1]
	v_cmp_eq_u32_e64 s[0:1], s7, v10
	s_nop 1
	v_cndmask_b32_e64 v21, v16, v11, s[0:1]
	v_lshl_add_u64 v[10:11], v[8:9], 0, 2
	v_lshl_add_u64 v[16:17], v[8:9], 0, 1
	v_cmp_ne_u32_e64 s[0:1], 0, v21
	s_nop 1
	v_cndmask_b32_e64 v11, v17, v11, s[0:1]
	v_cndmask_b32_e64 v17, 0, -1, vcc
	v_cmp_le_u32_e32 vcc, s6, v19
	v_cndmask_b32_e64 v10, v16, v10, s[0:1]
	s_nop 0
	v_cndmask_b32_e64 v19, 0, -1, vcc
	v_cmp_eq_u32_e32 vcc, s7, v15
	s_nop 1
	v_cndmask_b32_e32 v15, v17, v19, vcc
	v_cmp_ne_u32_e32 vcc, 0, v15
	s_nop 1
	v_cndmask_b32_e32 v8, v8, v10, vcc
	v_cndmask_b32_e32 v9, v9, v11, vcc
	v_xor_b32_e32 v8, v8, v14
	v_xor_b32_e32 v9, v9, v14
	v_sub_co_u32_e32 v10, vcc, v8, v14
                                        ; implicit-def: $vgpr8
	s_nop 1
	v_subb_co_u32_e32 v11, vcc, v9, v14, vcc
.LBB59_133:
	s_andn2_saveexec_b64 s[0:1], s[4:5]
	s_cbranch_execz .LBB59_135
; %bb.134:
	v_cvt_f32_u32_e32 v9, s3
	v_rcp_iflag_f32_e32 v9, v9
	s_nop 0
	v_mul_f32_e32 v9, 0x4f7ffffe, v9
	v_cvt_u32_f32_e32 v9, v9
	v_mul_lo_u32 v10, s12, v9
	v_mul_hi_u32 v10, v9, v10
	v_add_u32_e32 v9, v9, v10
	v_mul_hi_u32 v9, v8, v9
	v_mul_lo_u32 v10, v9, s3
	v_sub_u32_e32 v8, v8, v10
	v_add_u32_e32 v11, 1, v9
	v_subrev_u32_e32 v10, s3, v8
	v_cmp_le_u32_e32 vcc, s3, v8
	s_nop 1
	v_cndmask_b32_e32 v8, v8, v10, vcc
	v_cndmask_b32_e32 v9, v9, v11, vcc
	v_add_u32_e32 v10, 1, v9
	v_cmp_le_u32_e32 vcc, s3, v8
	v_mov_b32_e32 v11, 0
	s_nop 0
	v_cndmask_b32_e32 v10, v9, v10, vcc
.LBB59_135:
	s_or_b64 exec, exec, s[0:1]
	v_cmp_gt_i64_e32 vcc, s[26:27], v[4:5]
	v_mov_b32_e32 v14, 0
	s_and_saveexec_b64 s[0:1], vcc
	s_cbranch_execz .LBB59_143
; %bb.136:
	s_add_i32 s4, s3, -1
	v_and_b32_e32 v4, s4, v0
	s_mov_b64 s[4:5], 0
	v_cmp_lt_i64_e32 vcc, 0, v[10:11]
	v_mov_b32_e32 v14, 0
	v_lshlrev_b32_e32 v15, 2, v4
	s_and_saveexec_b64 s[6:7], vcc
	s_cbranch_execz .LBB59_140
; %bb.137:
	v_lshl_add_u32 v5, v2, 2, v15
	s_lshl_b32 s8, s3, 2
	v_mov_b32_e32 v14, 0
	v_mov_b64_e32 v[8:9], v[10:11]
.LBB59_138:                             ; =>This Inner Loop Header: Depth=1
	ds_read_b32 v16, v5
	v_lshl_add_u64 v[8:9], v[8:9], 0, -1
	v_cmp_eq_u64_e32 vcc, 0, v[8:9]
	v_add_u32_e32 v5, s8, v5
	s_or_b64 s[4:5], vcc, s[4:5]
	s_waitcnt lgkmcnt(0)
	v_add_f32_e32 v14, v14, v16
	s_andn2_b64 exec, exec, s[4:5]
	s_cbranch_execnz .LBB59_138
; %bb.139:
	s_or_b64 exec, exec, s[4:5]
.LBB59_140:
	s_or_b64 exec, exec, s[6:7]
	v_mad_u64_u32 v[2:3], s[4:5], v10, s3, v[2:3]
	v_mov_b32_e32 v8, v3
	v_mad_u64_u32 v[8:9], s[4:5], v11, s3, v[8:9]
	v_sub_co_u32_e32 v10, vcc, v12, v2
	v_mov_b32_e32 v5, 0
	s_nop 0
	v_subb_co_u32_e32 v11, vcc, v13, v8, vcc
	v_cmp_gt_i64_e32 vcc, v[10:11], v[4:5]
	s_and_saveexec_b64 s[4:5], vcc
	s_cbranch_execz .LBB59_142
; %bb.141:
	v_lshl_add_u32 v2, v2, 2, v15
	ds_read_b32 v2, v2
	s_waitcnt lgkmcnt(0)
	v_add_f32_e32 v14, v14, v2
.LBB59_142:
	s_or_b64 exec, exec, s[4:5]
.LBB59_143:
	s_or_b64 exec, exec, s[0:1]
	v_cmp_gt_i64_e32 vcc, s[26:27], v[0:1]
	s_barrier
	ds_write_b32 v18, v14
	s_waitcnt lgkmcnt(0)
	s_barrier
	s_and_saveexec_b64 s[0:1], vcc
	s_cbranch_execz .LBB59_147
; %bb.144:
	v_mul_lo_u32 v1, s3, v0
	v_lshlrev_b32_e32 v2, 2, v1
	v_mov_b32_e32 v1, 0
.LBB59_145:                             ; =>This Inner Loop Header: Depth=1
	ds_read_b32 v3, v2
	s_add_i32 s3, s3, -1
	v_add_u32_e32 v2, 4, v2
	s_cmp_eq_u32 s3, 0
	s_waitcnt lgkmcnt(0)
	v_add_f32_e32 v1, v1, v3
	s_cbranch_scc0 .LBB59_145
; %bb.146:
	s_lshl_b32 s0, s2, 2
	s_addk_i32 s0, 0x1000
	v_lshl_add_u32 v0, v0, 2, s0
	ds_read_b32 v0, v0
	s_waitcnt lgkmcnt(0)
	v_add_f32_e32 v2, v1, v0
	v_lshl_add_u64 v[0:1], v[6:7], 2, s[24:25]
	global_atomic_add_f32 v[0:1], v2, off
.LBB59_147:
	s_endpgm
	.section	.rodata,"a",@progbits
	.p2align	6, 0x0
	.amdhsa_kernel _ZN9rocsparseL27csrmvn_symm_adaptive_kernelIliaaffEEvbT_S1_PKS1_NS_24const_host_device_scalarIT4_EES3_PKT0_PKT1_PKT2_S6_PT3_21rocsparse_index_base_b
		.amdhsa_group_segment_fixed_size 4096
		.amdhsa_private_segment_fixed_size 0
		.amdhsa_kernarg_size 352
		.amdhsa_user_sgpr_count 2
		.amdhsa_user_sgpr_dispatch_ptr 0
		.amdhsa_user_sgpr_queue_ptr 0
		.amdhsa_user_sgpr_kernarg_segment_ptr 1
		.amdhsa_user_sgpr_dispatch_id 0
		.amdhsa_user_sgpr_kernarg_preload_length 0
		.amdhsa_user_sgpr_kernarg_preload_offset 0
		.amdhsa_user_sgpr_private_segment_size 0
		.amdhsa_uses_dynamic_stack 0
		.amdhsa_enable_private_segment 0
		.amdhsa_system_sgpr_workgroup_id_x 1
		.amdhsa_system_sgpr_workgroup_id_y 0
		.amdhsa_system_sgpr_workgroup_id_z 0
		.amdhsa_system_sgpr_workgroup_info 0
		.amdhsa_system_vgpr_workitem_id 0
		.amdhsa_next_free_vgpr 22
		.amdhsa_next_free_sgpr 52
		.amdhsa_accum_offset 24
		.amdhsa_reserve_vcc 1
		.amdhsa_float_round_mode_32 0
		.amdhsa_float_round_mode_16_64 0
		.amdhsa_float_denorm_mode_32 3
		.amdhsa_float_denorm_mode_16_64 3
		.amdhsa_dx10_clamp 1
		.amdhsa_ieee_mode 1
		.amdhsa_fp16_overflow 0
		.amdhsa_tg_split 0
		.amdhsa_exception_fp_ieee_invalid_op 0
		.amdhsa_exception_fp_denorm_src 0
		.amdhsa_exception_fp_ieee_div_zero 0
		.amdhsa_exception_fp_ieee_overflow 0
		.amdhsa_exception_fp_ieee_underflow 0
		.amdhsa_exception_fp_ieee_inexact 0
		.amdhsa_exception_int_div_zero 0
	.end_amdhsa_kernel
	.section	.text._ZN9rocsparseL27csrmvn_symm_adaptive_kernelIliaaffEEvbT_S1_PKS1_NS_24const_host_device_scalarIT4_EES3_PKT0_PKT1_PKT2_S6_PT3_21rocsparse_index_base_b,"axG",@progbits,_ZN9rocsparseL27csrmvn_symm_adaptive_kernelIliaaffEEvbT_S1_PKS1_NS_24const_host_device_scalarIT4_EES3_PKT0_PKT1_PKT2_S6_PT3_21rocsparse_index_base_b,comdat
.Lfunc_end59:
	.size	_ZN9rocsparseL27csrmvn_symm_adaptive_kernelIliaaffEEvbT_S1_PKS1_NS_24const_host_device_scalarIT4_EES3_PKT0_PKT1_PKT2_S6_PT3_21rocsparse_index_base_b, .Lfunc_end59-_ZN9rocsparseL27csrmvn_symm_adaptive_kernelIliaaffEEvbT_S1_PKS1_NS_24const_host_device_scalarIT4_EES3_PKT0_PKT1_PKT2_S6_PT3_21rocsparse_index_base_b
                                        ; -- End function
	.set _ZN9rocsparseL27csrmvn_symm_adaptive_kernelIliaaffEEvbT_S1_PKS1_NS_24const_host_device_scalarIT4_EES3_PKT0_PKT1_PKT2_S6_PT3_21rocsparse_index_base_b.num_vgpr, 22
	.set _ZN9rocsparseL27csrmvn_symm_adaptive_kernelIliaaffEEvbT_S1_PKS1_NS_24const_host_device_scalarIT4_EES3_PKT0_PKT1_PKT2_S6_PT3_21rocsparse_index_base_b.num_agpr, 0
	.set _ZN9rocsparseL27csrmvn_symm_adaptive_kernelIliaaffEEvbT_S1_PKS1_NS_24const_host_device_scalarIT4_EES3_PKT0_PKT1_PKT2_S6_PT3_21rocsparse_index_base_b.numbered_sgpr, 52
	.set _ZN9rocsparseL27csrmvn_symm_adaptive_kernelIliaaffEEvbT_S1_PKS1_NS_24const_host_device_scalarIT4_EES3_PKT0_PKT1_PKT2_S6_PT3_21rocsparse_index_base_b.num_named_barrier, 0
	.set _ZN9rocsparseL27csrmvn_symm_adaptive_kernelIliaaffEEvbT_S1_PKS1_NS_24const_host_device_scalarIT4_EES3_PKT0_PKT1_PKT2_S6_PT3_21rocsparse_index_base_b.private_seg_size, 0
	.set _ZN9rocsparseL27csrmvn_symm_adaptive_kernelIliaaffEEvbT_S1_PKS1_NS_24const_host_device_scalarIT4_EES3_PKT0_PKT1_PKT2_S6_PT3_21rocsparse_index_base_b.uses_vcc, 1
	.set _ZN9rocsparseL27csrmvn_symm_adaptive_kernelIliaaffEEvbT_S1_PKS1_NS_24const_host_device_scalarIT4_EES3_PKT0_PKT1_PKT2_S6_PT3_21rocsparse_index_base_b.uses_flat_scratch, 0
	.set _ZN9rocsparseL27csrmvn_symm_adaptive_kernelIliaaffEEvbT_S1_PKS1_NS_24const_host_device_scalarIT4_EES3_PKT0_PKT1_PKT2_S6_PT3_21rocsparse_index_base_b.has_dyn_sized_stack, 0
	.set _ZN9rocsparseL27csrmvn_symm_adaptive_kernelIliaaffEEvbT_S1_PKS1_NS_24const_host_device_scalarIT4_EES3_PKT0_PKT1_PKT2_S6_PT3_21rocsparse_index_base_b.has_recursion, 0
	.set _ZN9rocsparseL27csrmvn_symm_adaptive_kernelIliaaffEEvbT_S1_PKS1_NS_24const_host_device_scalarIT4_EES3_PKT0_PKT1_PKT2_S6_PT3_21rocsparse_index_base_b.has_indirect_call, 0
	.section	.AMDGPU.csdata,"",@progbits
; Kernel info:
; codeLenInByte = 7272
; TotalNumSgprs: 58
; NumVgprs: 22
; NumAgprs: 0
; TotalNumVgprs: 22
; ScratchSize: 0
; MemoryBound: 0
; FloatMode: 240
; IeeeMode: 1
; LDSByteSize: 4096 bytes/workgroup (compile time only)
; SGPRBlocks: 7
; VGPRBlocks: 2
; NumSGPRsForWavesPerEU: 58
; NumVGPRsForWavesPerEU: 22
; AccumOffset: 24
; Occupancy: 8
; WaveLimiterHint : 1
; COMPUTE_PGM_RSRC2:SCRATCH_EN: 0
; COMPUTE_PGM_RSRC2:USER_SGPR: 2
; COMPUTE_PGM_RSRC2:TRAP_HANDLER: 0
; COMPUTE_PGM_RSRC2:TGID_X_EN: 1
; COMPUTE_PGM_RSRC2:TGID_Y_EN: 0
; COMPUTE_PGM_RSRC2:TGID_Z_EN: 0
; COMPUTE_PGM_RSRC2:TIDIG_COMP_CNT: 0
; COMPUTE_PGM_RSRC3_GFX90A:ACCUM_OFFSET: 5
; COMPUTE_PGM_RSRC3_GFX90A:TG_SPLIT: 0
	.section	.text._ZL33csrmvn_symm_large_adaptive_kernelIliaaffEvbT_PKS0_N9rocsparse24const_host_device_scalarIT4_EES2_PKT0_PKT1_PKT2_S6_PT3_21rocsparse_index_base_b,"axG",@progbits,_ZL33csrmvn_symm_large_adaptive_kernelIliaaffEvbT_PKS0_N9rocsparse24const_host_device_scalarIT4_EES2_PKT0_PKT1_PKT2_S6_PT3_21rocsparse_index_base_b,comdat
	.globl	_ZL33csrmvn_symm_large_adaptive_kernelIliaaffEvbT_PKS0_N9rocsparse24const_host_device_scalarIT4_EES2_PKT0_PKT1_PKT2_S6_PT3_21rocsparse_index_base_b ; -- Begin function _ZL33csrmvn_symm_large_adaptive_kernelIliaaffEvbT_PKS0_N9rocsparse24const_host_device_scalarIT4_EES2_PKT0_PKT1_PKT2_S6_PT3_21rocsparse_index_base_b
	.p2align	8
	.type	_ZL33csrmvn_symm_large_adaptive_kernelIliaaffEvbT_PKS0_N9rocsparse24const_host_device_scalarIT4_EES2_PKT0_PKT1_PKT2_S6_PT3_21rocsparse_index_base_b,@function
_ZL33csrmvn_symm_large_adaptive_kernelIliaaffEvbT_PKS0_N9rocsparse24const_host_device_scalarIT4_EES2_PKT0_PKT1_PKT2_S6_PT3_21rocsparse_index_base_b: ; @_ZL33csrmvn_symm_large_adaptive_kernelIliaaffEvbT_PKS0_N9rocsparse24const_host_device_scalarIT4_EES2_PKT0_PKT1_PKT2_S6_PT3_21rocsparse_index_base_b
; %bb.0:
	s_load_dwordx2 s[20:21], s[0:1], 0x50
	s_load_dwordx2 s[22:23], s[0:1], 0x18
	;; [unrolled: 1-line block ×3, first 2 shown]
	s_waitcnt lgkmcnt(0)
	s_bitcmp1_b32 s21, 0
	s_cselect_b64 s[8:9], -1, 0
	s_xor_b64 s[6:7], s[8:9], -1
	s_and_b64 vcc, exec, s[8:9]
	s_cbranch_vccnz .LBB60_2
; %bb.1:
	s_load_dword s22, s[22:23], 0x0
.LBB60_2:
	s_andn2_b64 vcc, exec, s[6:7]
	s_cbranch_vccnz .LBB60_4
; %bb.3:
	s_load_dword s4, s[4:5], 0x0
.LBB60_4:
	s_waitcnt lgkmcnt(0)
	v_cmp_neq_f32_e64 s[6:7], s22, 0
	v_cmp_neq_f32_e64 s[4:5], s4, 1.0
	s_or_b64 s[4:5], s[6:7], s[4:5]
	s_andn2_b64 vcc, exec, s[4:5]
	s_cbranch_vccnz .LBB60_32
; %bb.5:
	s_load_dwordx2 s[4:5], s[0:1], 0x10
	s_ashr_i32 s3, s2, 31
	s_lshl_b64 s[2:3], s[2:3], 3
	v_lshlrev_b32_e32 v8, 2, v0
	v_mov_b32_e32 v9, 0
	s_waitcnt lgkmcnt(0)
	s_add_u32 s2, s4, s2
	s_addc_u32 s3, s5, s3
	ds_write2st64_b32 v8, v9, v9 offset1:4
	ds_write2st64_b32 v8, v9, v9 offset0:8 offset1:12
	s_waitcnt lgkmcnt(0)
	s_barrier
	s_load_dwordx4 s[16:19], s[2:3], 0x0
	s_load_dwordx8 s[8:15], s[0:1], 0x20
	s_load_dwordx2 s[24:25], s[0:1], 0x48
	s_waitcnt lgkmcnt(0)
	v_mov_b64_e32 v[2:3], s[18:19]
	v_cmp_ge_i64_e32 vcc, s[16:17], v[2:3]
	v_subrev_co_u32_e64 v2, s[0:1], s20, v0
	s_nop 1
	v_subb_co_u32_e64 v3, s[0:1], 0, 0, s[0:1]
	s_cbranch_vccnz .LBB60_23
; %bb.6:
	v_cmp_gt_u32_e64 s[0:1], 64, v0
	v_cmp_gt_u32_e64 s[2:3], 16, v0
	;; [unrolled: 1-line block ×3, first 2 shown]
	v_cmp_eq_u32_e64 s[6:7], 0, v0
	s_mov_b64 s[26:27], 0x100
	s_mov_b64 s[28:29], 0x400
	v_mov_b64_e32 v[0:1], s[18:19]
	s_mov_b64 s[30:31], s[16:17]
	s_branch .LBB60_8
.LBB60_7:                               ;   in Loop: Header=BB60_8 Depth=1
	s_or_b64 exec, exec, s[34:35]
	s_add_u32 s30, s30, 1
	s_addc_u32 s31, s31, 0
	v_cmp_ge_i64_e32 vcc, s[30:31], v[0:1]
	s_cbranch_vccnz .LBB60_23
.LBB60_8:                               ; =>This Loop Header: Depth=1
                                        ;     Child Loop BB60_10 Depth 2
	s_lshl_b64 s[34:35], s[30:31], 3
	s_add_u32 s34, s8, s34
	s_addc_u32 s35, s9, s35
	s_load_dwordx4 s[36:39], s[34:35], 0x0
	v_mov_b32_e32 v10, 0
	s_waitcnt lgkmcnt(0)
	s_sub_u32 s34, s38, s20
	v_lshl_add_u64 v[4:5], s[36:37], 0, v[2:3]
	s_subb_u32 s35, s39, 0
	v_cmp_gt_i64_e32 vcc, s[34:35], v[4:5]
	s_and_saveexec_b64 s[36:37], vcc
	s_cbranch_execz .LBB60_12
; %bb.9:                                ;   in Loop: Header=BB60_8 Depth=1
	v_lshl_add_u64 v[6:7], v[4:5], 2, s[10:11]
	v_mov_b32_e32 v10, 0
	s_mov_b64 s[38:39], 0
.LBB60_10:                              ;   Parent Loop BB60_8 Depth=1
                                        ; =>  This Inner Loop Header: Depth=2
	global_load_dword v11, v[6:7], off
	v_lshl_add_u64 v[12:13], s[12:13], 0, v[4:5]
	global_load_sbyte v14, v[12:13], off
	v_lshl_add_u64 v[4:5], v[4:5], 0, s[26:27]
	v_cmp_le_i64_e32 vcc, s[34:35], v[4:5]
	v_lshl_add_u64 v[6:7], v[6:7], 0, s[28:29]
	s_or_b64 s[38:39], vcc, s[38:39]
	s_waitcnt vmcnt(1)
	v_subrev_u32_e32 v12, s20, v11
	v_ashrrev_i32_e32 v13, 31, v12
	v_lshl_add_u64 v[12:13], s[14:15], 0, v[12:13]
	global_load_sbyte v11, v[12:13], off
	s_waitcnt vmcnt(1)
	v_cvt_f32_i32_e32 v12, v14
	s_waitcnt vmcnt(0)
	v_cvt_f32_i32_e32 v11, v11
	v_fmac_f32_e32 v10, v12, v11
	s_andn2_b64 exec, exec, s[38:39]
	s_cbranch_execnz .LBB60_10
; %bb.11:                               ;   in Loop: Header=BB60_8 Depth=1
	s_or_b64 exec, exec, s[38:39]
.LBB60_12:                              ;   in Loop: Header=BB60_8 Depth=1
	s_or_b64 exec, exec, s[36:37]
	ds_write_b32 v8, v10
	s_waitcnt lgkmcnt(0)
	s_barrier
	ds_read2st64_b32 v[4:5], v8 offset1:4
	ds_read2st64_b32 v[6:7], v8 offset0:8 offset1:12
	s_waitcnt lgkmcnt(0)
	v_add_f32_e32 v5, v5, v6
	v_add_f32_e32 v5, v5, v7
	;; [unrolled: 1-line block ×3, first 2 shown]
	ds_write_b32 v8, v4
	s_waitcnt lgkmcnt(0)
	s_barrier
	s_and_saveexec_b64 s[34:35], s[0:1]
	s_cbranch_execz .LBB60_14
; %bb.13:                               ;   in Loop: Header=BB60_8 Depth=1
	ds_read2st64_b32 v[4:5], v8 offset1:1
	ds_read2st64_b32 v[6:7], v8 offset0:2 offset1:3
	s_waitcnt lgkmcnt(0)
	v_add_f32_e32 v5, v5, v6
	v_add_f32_e32 v5, v5, v7
	;; [unrolled: 1-line block ×3, first 2 shown]
	ds_write_b32 v8, v4
.LBB60_14:                              ;   in Loop: Header=BB60_8 Depth=1
	s_or_b64 exec, exec, s[34:35]
	s_waitcnt lgkmcnt(0)
	s_barrier
	s_and_saveexec_b64 s[34:35], s[2:3]
	s_cbranch_execz .LBB60_16
; %bb.15:                               ;   in Loop: Header=BB60_8 Depth=1
	ds_read2_b32 v[4:5], v8 offset1:16
	ds_read2_b32 v[6:7], v8 offset0:32 offset1:48
	s_waitcnt lgkmcnt(0)
	v_add_f32_e32 v5, v5, v6
	v_add_f32_e32 v5, v5, v7
	;; [unrolled: 1-line block ×3, first 2 shown]
	ds_write_b32 v8, v4
.LBB60_16:                              ;   in Loop: Header=BB60_8 Depth=1
	s_or_b64 exec, exec, s[34:35]
	s_waitcnt lgkmcnt(0)
	s_barrier
	s_and_saveexec_b64 s[34:35], s[4:5]
	s_cbranch_execz .LBB60_18
; %bb.17:                               ;   in Loop: Header=BB60_8 Depth=1
	ds_read2_b32 v[4:5], v8 offset1:4
	ds_read2_b32 v[6:7], v8 offset0:8 offset1:12
	s_waitcnt lgkmcnt(0)
	v_add_f32_e32 v5, v5, v6
	v_add_f32_e32 v5, v5, v7
	;; [unrolled: 1-line block ×3, first 2 shown]
	ds_write_b32 v8, v4
.LBB60_18:                              ;   in Loop: Header=BB60_8 Depth=1
	s_or_b64 exec, exec, s[34:35]
	s_waitcnt lgkmcnt(0)
	s_barrier
	s_and_saveexec_b64 s[34:35], s[6:7]
	s_cbranch_execz .LBB60_20
; %bb.19:                               ;   in Loop: Header=BB60_8 Depth=1
	ds_read2_b32 v[4:5], v9 offset0:1 offset1:2
	ds_read_b32 v6, v9 offset:12
	ds_read_b32 v7, v8
	s_waitcnt lgkmcnt(2)
	v_add_f32_e32 v4, v4, v5
	s_waitcnt lgkmcnt(1)
	v_add_f32_e32 v4, v4, v6
	;; [unrolled: 2-line block ×3, first 2 shown]
	ds_write_b32 v8, v4
.LBB60_20:                              ;   in Loop: Header=BB60_8 Depth=1
	s_or_b64 exec, exec, s[34:35]
	s_waitcnt lgkmcnt(0)
	s_barrier
	s_and_saveexec_b64 s[34:35], s[6:7]
	s_cbranch_execz .LBB60_7
; %bb.21:                               ;   in Loop: Header=BB60_8 Depth=1
	s_mov_b64 s[36:37], exec
	v_mbcnt_lo_u32_b32 v4, s36, 0
	v_mbcnt_hi_u32_b32 v4, s37, v4
	v_cmp_eq_u32_e32 vcc, 0, v4
	s_and_b64 s[38:39], exec, vcc
	s_mov_b64 exec, s[38:39]
	s_cbranch_execz .LBB60_7
; %bb.22:                               ;   in Loop: Header=BB60_8 Depth=1
	ds_read_b32 v4, v9
	s_lshl_b64 s[38:39], s[30:31], 2
	s_add_u32 s38, s24, s38
	s_addc_u32 s39, s25, s39
	s_bcnt1_i32_b64 s21, s[36:37]
	s_waitcnt lgkmcnt(0)
	v_mul_f32_e32 v4, s22, v4
	v_cvt_f32_ubyte0_e32 v5, s21
	v_mul_f32_e32 v4, v4, v5
	global_atomic_add_f32 v9, v4, s[38:39]
	s_branch .LBB60_7
.LBB60_23:
	s_lshl_b64 s[0:1], s[16:17], 3
	s_add_u32 s0, s8, s0
	s_addc_u32 s1, s9, s1
	s_lshl_b64 s[2:3], s[18:19], 3
	s_add_u32 s2, s8, s2
	s_addc_u32 s3, s9, s3
	s_load_dwordx2 s[4:5], s[2:3], 0x0
	s_load_dwordx2 s[6:7], s[0:1], 0x0
	s_waitcnt lgkmcnt(0)
	s_sub_u32 s4, s4, s20
	s_subb_u32 s5, s5, 0
	v_lshl_add_u64 v[0:1], s[6:7], 0, v[2:3]
	v_cmp_gt_i64_e32 vcc, s[4:5], v[0:1]
	s_and_saveexec_b64 s[0:1], vcc
	s_cbranch_execz .LBB60_32
; %bb.24:
	s_add_u32 s6, s18, -1
	s_addc_u32 s7, s19, -1
	s_add_u32 s0, s18, -2
	s_addc_u32 s1, s19, -1
	v_mov_b64_e32 v[2:3], s[6:7]
	s_cmp_lg_u64 s[16:17], s[0:1]
	v_cmp_lt_i64_e32 vcc, s[16:17], v[2:3]
	s_cselect_b64 s[0:1], -1, 0
	s_and_b64 s[0:1], vcc, s[0:1]
	v_cndmask_b32_e64 v2, 0, 1, s[0:1]
	s_mov_b64 s[18:19], 0
	v_cmp_ne_u32_e64 s[0:1], 1, v2
	v_mov_b32_e32 v3, 0
	s_mov_b64 s[26:27], 0x100
	s_branch .LBB60_26
.LBB60_25:                              ;   in Loop: Header=BB60_26 Depth=1
	s_or_b64 exec, exec, s[2:3]
	v_lshl_add_u64 v[0:1], v[0:1], 0, s[26:27]
	v_cmp_le_i64_e32 vcc, s[4:5], v[0:1]
	s_or_b64 s[18:19], vcc, s[18:19]
	s_andn2_b64 exec, exec, s[18:19]
	s_cbranch_execz .LBB60_32
.LBB60_26:                              ; =>This Loop Header: Depth=1
                                        ;     Child Loop BB60_28 Depth 2
	s_and_b64 vcc, exec, s[0:1]
	v_mov_b64_e32 v[4:5], s[16:17]
	v_mov_b64_e32 v[6:7], s[6:7]
	s_cbranch_vccnz .LBB60_30
; %bb.27:                               ;   in Loop: Header=BB60_26 Depth=1
	s_mov_b64 s[28:29], 0
	v_mov_b64_e32 v[4:5], s[16:17]
	v_mov_b64_e32 v[6:7], s[6:7]
.LBB60_28:                              ;   Parent Loop BB60_26 Depth=1
                                        ; =>  This Inner Loop Header: Depth=2
	v_lshl_add_u64 v[8:9], v[6:7], 0, v[4:5]
	v_lshrrev_b32_e32 v2, 31, v9
	v_lshl_add_u64 v[8:9], v[8:9], 0, v[2:3]
	v_ashrrev_i64 v[8:9], 1, v[8:9]
	v_lshl_add_u64 v[10:11], v[8:9], 3, s[8:9]
	global_load_dwordx2 v[10:11], v[10:11], off
	s_waitcnt vmcnt(0)
	v_subrev_co_u32_e32 v10, vcc, s20, v10
	s_nop 1
	v_subbrev_co_u32_e32 v11, vcc, 0, v11, vcc
	v_cmp_lt_i64_e32 vcc, v[0:1], v[10:11]
	s_nop 1
	v_cndmask_b32_e32 v7, v7, v9, vcc
	v_cndmask_b32_e32 v6, v6, v8, vcc
	;; [unrolled: 1-line block ×4, first 2 shown]
	v_lshl_add_u64 v[8:9], v[6:7], 0, -1
	v_cmp_ge_i64_e32 vcc, v[4:5], v[6:7]
	v_cmp_eq_u64_e64 s[2:3], v[4:5], v[8:9]
	s_or_b64 s[2:3], vcc, s[2:3]
	s_and_b64 s[2:3], exec, s[2:3]
	s_or_b64 s[28:29], s[2:3], s[28:29]
	s_andn2_b64 exec, exec, s[28:29]
	s_cbranch_execnz .LBB60_28
; %bb.29:                               ;   in Loop: Header=BB60_26 Depth=1
	s_or_b64 exec, exec, s[28:29]
.LBB60_30:                              ;   in Loop: Header=BB60_26 Depth=1
	v_lshl_add_u64 v[8:9], v[6:7], 3, s[8:9]
	global_load_dwordx2 v[8:9], v[8:9], off
	v_lshl_add_u64 v[10:11], v[0:1], 2, s[10:11]
	global_load_dword v2, v[10:11], off
	s_waitcnt vmcnt(1)
	v_subrev_co_u32_e32 v10, vcc, s20, v8
	s_nop 1
	v_subbrev_co_u32_e32 v11, vcc, 0, v9, vcc
	s_waitcnt vmcnt(0)
	v_subrev_u32_e32 v8, s20, v2
	v_cmp_lt_i64_e32 vcc, v[0:1], v[10:11]
	v_ashrrev_i32_e32 v9, 31, v8
	s_nop 0
	v_cndmask_b32_e32 v5, v7, v5, vcc
	v_cndmask_b32_e32 v4, v6, v4, vcc
	v_cmp_ne_u64_e32 vcc, v[4:5], v[8:9]
	s_and_saveexec_b64 s[2:3], vcc
	s_cbranch_execz .LBB60_25
; %bb.31:                               ;   in Loop: Header=BB60_26 Depth=1
	v_lshl_add_u64 v[6:7], s[12:13], 0, v[0:1]
	global_load_sbyte v2, v[6:7], off
	v_lshl_add_u64 v[4:5], s[14:15], 0, v[4:5]
	global_load_sbyte v4, v[4:5], off
	s_waitcnt vmcnt(1)
	v_cvt_f32_i32_e32 v2, v2
	s_waitcnt vmcnt(0)
	v_cvt_f32_i32_e32 v6, v4
	v_lshl_add_u64 v[4:5], v[8:9], 2, s[24:25]
	v_mul_f32_e32 v2, s22, v2
	v_mul_f32_e32 v2, v2, v6
	global_atomic_add_f32 v[4:5], v2, off
	s_branch .LBB60_25
.LBB60_32:
	s_endpgm
	.section	.rodata,"a",@progbits
	.p2align	6, 0x0
	.amdhsa_kernel _ZL33csrmvn_symm_large_adaptive_kernelIliaaffEvbT_PKS0_N9rocsparse24const_host_device_scalarIT4_EES2_PKT0_PKT1_PKT2_S6_PT3_21rocsparse_index_base_b
		.amdhsa_group_segment_fixed_size 4096
		.amdhsa_private_segment_fixed_size 0
		.amdhsa_kernarg_size 88
		.amdhsa_user_sgpr_count 2
		.amdhsa_user_sgpr_dispatch_ptr 0
		.amdhsa_user_sgpr_queue_ptr 0
		.amdhsa_user_sgpr_kernarg_segment_ptr 1
		.amdhsa_user_sgpr_dispatch_id 0
		.amdhsa_user_sgpr_kernarg_preload_length 0
		.amdhsa_user_sgpr_kernarg_preload_offset 0
		.amdhsa_user_sgpr_private_segment_size 0
		.amdhsa_uses_dynamic_stack 0
		.amdhsa_enable_private_segment 0
		.amdhsa_system_sgpr_workgroup_id_x 1
		.amdhsa_system_sgpr_workgroup_id_y 0
		.amdhsa_system_sgpr_workgroup_id_z 0
		.amdhsa_system_sgpr_workgroup_info 0
		.amdhsa_system_vgpr_workitem_id 0
		.amdhsa_next_free_vgpr 15
		.amdhsa_next_free_sgpr 40
		.amdhsa_accum_offset 16
		.amdhsa_reserve_vcc 1
		.amdhsa_float_round_mode_32 0
		.amdhsa_float_round_mode_16_64 0
		.amdhsa_float_denorm_mode_32 3
		.amdhsa_float_denorm_mode_16_64 3
		.amdhsa_dx10_clamp 1
		.amdhsa_ieee_mode 1
		.amdhsa_fp16_overflow 0
		.amdhsa_tg_split 0
		.amdhsa_exception_fp_ieee_invalid_op 0
		.amdhsa_exception_fp_denorm_src 0
		.amdhsa_exception_fp_ieee_div_zero 0
		.amdhsa_exception_fp_ieee_overflow 0
		.amdhsa_exception_fp_ieee_underflow 0
		.amdhsa_exception_fp_ieee_inexact 0
		.amdhsa_exception_int_div_zero 0
	.end_amdhsa_kernel
	.section	.text._ZL33csrmvn_symm_large_adaptive_kernelIliaaffEvbT_PKS0_N9rocsparse24const_host_device_scalarIT4_EES2_PKT0_PKT1_PKT2_S6_PT3_21rocsparse_index_base_b,"axG",@progbits,_ZL33csrmvn_symm_large_adaptive_kernelIliaaffEvbT_PKS0_N9rocsparse24const_host_device_scalarIT4_EES2_PKT0_PKT1_PKT2_S6_PT3_21rocsparse_index_base_b,comdat
.Lfunc_end60:
	.size	_ZL33csrmvn_symm_large_adaptive_kernelIliaaffEvbT_PKS0_N9rocsparse24const_host_device_scalarIT4_EES2_PKT0_PKT1_PKT2_S6_PT3_21rocsparse_index_base_b, .Lfunc_end60-_ZL33csrmvn_symm_large_adaptive_kernelIliaaffEvbT_PKS0_N9rocsparse24const_host_device_scalarIT4_EES2_PKT0_PKT1_PKT2_S6_PT3_21rocsparse_index_base_b
                                        ; -- End function
	.set _ZL33csrmvn_symm_large_adaptive_kernelIliaaffEvbT_PKS0_N9rocsparse24const_host_device_scalarIT4_EES2_PKT0_PKT1_PKT2_S6_PT3_21rocsparse_index_base_b.num_vgpr, 15
	.set _ZL33csrmvn_symm_large_adaptive_kernelIliaaffEvbT_PKS0_N9rocsparse24const_host_device_scalarIT4_EES2_PKT0_PKT1_PKT2_S6_PT3_21rocsparse_index_base_b.num_agpr, 0
	.set _ZL33csrmvn_symm_large_adaptive_kernelIliaaffEvbT_PKS0_N9rocsparse24const_host_device_scalarIT4_EES2_PKT0_PKT1_PKT2_S6_PT3_21rocsparse_index_base_b.numbered_sgpr, 40
	.set _ZL33csrmvn_symm_large_adaptive_kernelIliaaffEvbT_PKS0_N9rocsparse24const_host_device_scalarIT4_EES2_PKT0_PKT1_PKT2_S6_PT3_21rocsparse_index_base_b.num_named_barrier, 0
	.set _ZL33csrmvn_symm_large_adaptive_kernelIliaaffEvbT_PKS0_N9rocsparse24const_host_device_scalarIT4_EES2_PKT0_PKT1_PKT2_S6_PT3_21rocsparse_index_base_b.private_seg_size, 0
	.set _ZL33csrmvn_symm_large_adaptive_kernelIliaaffEvbT_PKS0_N9rocsparse24const_host_device_scalarIT4_EES2_PKT0_PKT1_PKT2_S6_PT3_21rocsparse_index_base_b.uses_vcc, 1
	.set _ZL33csrmvn_symm_large_adaptive_kernelIliaaffEvbT_PKS0_N9rocsparse24const_host_device_scalarIT4_EES2_PKT0_PKT1_PKT2_S6_PT3_21rocsparse_index_base_b.uses_flat_scratch, 0
	.set _ZL33csrmvn_symm_large_adaptive_kernelIliaaffEvbT_PKS0_N9rocsparse24const_host_device_scalarIT4_EES2_PKT0_PKT1_PKT2_S6_PT3_21rocsparse_index_base_b.has_dyn_sized_stack, 0
	.set _ZL33csrmvn_symm_large_adaptive_kernelIliaaffEvbT_PKS0_N9rocsparse24const_host_device_scalarIT4_EES2_PKT0_PKT1_PKT2_S6_PT3_21rocsparse_index_base_b.has_recursion, 0
	.set _ZL33csrmvn_symm_large_adaptive_kernelIliaaffEvbT_PKS0_N9rocsparse24const_host_device_scalarIT4_EES2_PKT0_PKT1_PKT2_S6_PT3_21rocsparse_index_base_b.has_indirect_call, 0
	.section	.AMDGPU.csdata,"",@progbits
; Kernel info:
; codeLenInByte = 1400
; TotalNumSgprs: 46
; NumVgprs: 15
; NumAgprs: 0
; TotalNumVgprs: 15
; ScratchSize: 0
; MemoryBound: 0
; FloatMode: 240
; IeeeMode: 1
; LDSByteSize: 4096 bytes/workgroup (compile time only)
; SGPRBlocks: 5
; VGPRBlocks: 1
; NumSGPRsForWavesPerEU: 46
; NumVGPRsForWavesPerEU: 15
; AccumOffset: 16
; Occupancy: 8
; WaveLimiterHint : 1
; COMPUTE_PGM_RSRC2:SCRATCH_EN: 0
; COMPUTE_PGM_RSRC2:USER_SGPR: 2
; COMPUTE_PGM_RSRC2:TRAP_HANDLER: 0
; COMPUTE_PGM_RSRC2:TGID_X_EN: 1
; COMPUTE_PGM_RSRC2:TGID_Y_EN: 0
; COMPUTE_PGM_RSRC2:TGID_Z_EN: 0
; COMPUTE_PGM_RSRC2:TIDIG_COMP_CNT: 0
; COMPUTE_PGM_RSRC3_GFX90A:ACCUM_OFFSET: 3
; COMPUTE_PGM_RSRC3_GFX90A:TG_SPLIT: 0
	.section	.text._ZN9rocsparseL22csrmvn_adaptive_kernelIllaaffEEvbT_PKS1_PjPKT0_NS_24const_host_device_scalarIT4_EES3_S7_PKT1_PKT2_SA_PT3_21rocsparse_index_base_b,"axG",@progbits,_ZN9rocsparseL22csrmvn_adaptive_kernelIllaaffEEvbT_PKS1_PjPKT0_NS_24const_host_device_scalarIT4_EES3_S7_PKT1_PKT2_SA_PT3_21rocsparse_index_base_b,comdat
	.globl	_ZN9rocsparseL22csrmvn_adaptive_kernelIllaaffEEvbT_PKS1_PjPKT0_NS_24const_host_device_scalarIT4_EES3_S7_PKT1_PKT2_SA_PT3_21rocsparse_index_base_b ; -- Begin function _ZN9rocsparseL22csrmvn_adaptive_kernelIllaaffEEvbT_PKS1_PjPKT0_NS_24const_host_device_scalarIT4_EES3_S7_PKT1_PKT2_SA_PT3_21rocsparse_index_base_b
	.p2align	8
	.type	_ZN9rocsparseL22csrmvn_adaptive_kernelIllaaffEEvbT_PKS1_PjPKT0_NS_24const_host_device_scalarIT4_EES3_S7_PKT1_PKT2_SA_PT3_21rocsparse_index_base_b,@function
_ZN9rocsparseL22csrmvn_adaptive_kernelIllaaffEEvbT_PKS1_PjPKT0_NS_24const_host_device_scalarIT4_EES3_S7_PKT1_PKT2_SA_PT3_21rocsparse_index_base_b: ; @_ZN9rocsparseL22csrmvn_adaptive_kernelIllaaffEEvbT_PKS1_PjPKT0_NS_24const_host_device_scalarIT4_EES3_S7_PKT1_PKT2_SA_PT3_21rocsparse_index_base_b
; %bb.0:
	s_load_dwordx2 s[48:49], s[0:1], 0x60
	s_load_dwordx2 s[46:47], s[0:1], 0x28
	s_load_dwordx2 s[22:23], s[0:1], 0x50
	s_waitcnt lgkmcnt(0)
	s_bitcmp1_b32 s49, 0
	s_cselect_b64 s[6:7], -1, 0
	s_xor_b64 s[4:5], s[6:7], -1
	s_and_b64 vcc, exec, s[6:7]
	s_cbranch_vccnz .LBB61_2
; %bb.1:
	s_load_dword s46, s[46:47], 0x0
.LBB61_2:
	s_andn2_b64 vcc, exec, s[4:5]
	s_cbranch_vccnz .LBB61_4
; %bb.3:
	s_load_dword s22, s[22:23], 0x0
.LBB61_4:
	s_waitcnt lgkmcnt(0)
	v_cmp_neq_f32_e64 s[4:5], s46, 0
	v_cmp_neq_f32_e64 s[6:7], s22, 1.0
	s_or_b64 s[4:5], s[4:5], s[6:7]
	s_andn2_b64 vcc, exec, s[4:5]
	s_cbranch_vccnz .LBB61_114
; %bb.5:
	s_load_dwordx2 s[4:5], s[0:1], 0x10
	s_load_dwordx2 s[6:7], s[0:1], 0x20
	s_ashr_i32 s3, s2, 31
	s_lshl_b64 s[8:9], s[2:3], 3
	s_waitcnt lgkmcnt(0)
	s_add_u32 s4, s4, s8
	s_addc_u32 s5, s5, s9
	s_load_dwordx4 s[36:39], s[4:5], 0x0
	s_load_dwordx2 s[34:35], s[0:1], 0x58
	s_load_dwordx8 s[24:31], s[0:1], 0x30
	s_waitcnt lgkmcnt(0)
	s_sub_u32 s4, s38, s36
	s_subb_u32 s5, s39, s37
	s_add_u32 s6, s6, s8
	s_addc_u32 s7, s7, s9
	s_lshl_b64 s[8:9], s[36:37], 3
	s_add_u32 s44, s24, s8
	s_addc_u32 s45, s25, s9
	s_load_dwordx2 s[40:41], s[6:7], 0x0
	s_load_dwordx2 s[42:43], s[44:45], 0x0
	v_cmp_lt_i64_e64 s[8:9], s[4:5], 2
	s_mov_b64 s[6:7], -1
	s_and_b64 vcc, exec, s[8:9]
	s_cbranch_vccz .LBB61_70
; %bb.6:
	s_cmp_lg_u64 s[4:5], 1
	s_cselect_b64 s[4:5], -1, 0
	s_waitcnt lgkmcnt(0)
	s_cmp_lg_u64 s[40:41], 0
	s_cselect_b64 s[6:7], -1, 0
	s_or_b64 s[4:5], s[4:5], s[6:7]
	s_mov_b64 s[18:19], -1
	s_and_b64 vcc, exec, s[4:5]
	v_cmp_gt_u32_e64 s[4:5], 64, v0
	v_cmp_gt_u32_e64 s[6:7], 32, v0
	;; [unrolled: 1-line block ×6, first 2 shown]
	v_cmp_eq_u32_e64 s[16:17], 0, v0
	s_cbranch_vccnz .LBB61_34
; %bb.7:
	v_subrev_co_u32_e32 v2, vcc, s48, v0
	v_cmp_neq_f32_e64 s[20:21], s22, 0
	s_nop 0
	v_subb_co_u32_e64 v3, s[18:19], 0, 0, vcc
	s_movk_i32 s18, 0x80
	v_cndmask_b32_e64 v4, 0, 1, s[20:21]
	v_mov_b32_e32 v1, 0
	v_lshlrev_b32_e32 v10, 2, v0
	v_cmp_gt_u32_e64 s[18:19], s18, v0
	s_mov_b64 s[50:51], 0x100
	s_mov_b64 s[52:53], 0x800
	v_cmp_ne_u32_e64 s[20:21], 1, v4
	v_mov_b64_e32 v[4:5], s[38:39]
	s_mov_b64 s[54:55], s[36:37]
	s_branch .LBB61_10
.LBB61_8:                               ;   in Loop: Header=BB61_10 Depth=1
	s_lshl_b64 s[58:59], s[54:55], 2
	s_add_u32 s58, s34, s58
	s_addc_u32 s59, s35, s59
	s_waitcnt lgkmcnt(0)
	global_store_dword v1, v6, s[58:59]
.LBB61_9:                               ;   in Loop: Header=BB61_10 Depth=1
	s_or_b64 exec, exec, s[56:57]
	s_add_u32 s54, s54, 1
	s_addc_u32 s55, s55, 0
	v_cmp_ge_i64_e32 vcc, s[54:55], v[4:5]
	s_cbranch_vccnz .LBB61_33
.LBB61_10:                              ; =>This Loop Header: Depth=1
                                        ;     Child Loop BB61_12 Depth 2
	s_lshl_b64 s[56:57], s[54:55], 3
	s_add_u32 s56, s24, s56
	s_addc_u32 s57, s25, s57
	s_load_dwordx4 s[60:63], s[56:57], 0x0
	v_mov_b32_e32 v11, 0
	s_waitcnt lgkmcnt(0)
	s_sub_u32 s56, s62, s48
	v_lshl_add_u64 v[6:7], s[60:61], 0, v[2:3]
	s_subb_u32 s57, s63, 0
	v_cmp_gt_i64_e32 vcc, s[56:57], v[6:7]
	s_and_saveexec_b64 s[58:59], vcc
	s_cbranch_execz .LBB61_14
; %bb.11:                               ;   in Loop: Header=BB61_10 Depth=1
	v_lshl_add_u64 v[8:9], v[6:7], 3, s[26:27]
	v_mov_b32_e32 v11, 0
	s_mov_b64 s[60:61], 0
.LBB61_12:                              ;   Parent Loop BB61_10 Depth=1
                                        ; =>  This Inner Loop Header: Depth=2
	global_load_dwordx2 v[12:13], v[8:9], off
	v_lshl_add_u64 v[14:15], s[28:29], 0, v[6:7]
	global_load_sbyte v14, v[14:15], off
	v_lshl_add_u64 v[6:7], v[6:7], 0, s[50:51]
	v_lshl_add_u64 v[8:9], v[8:9], 0, s[52:53]
	s_waitcnt vmcnt(1)
	v_subrev_co_u32_e32 v12, vcc, s48, v12
	s_nop 1
	v_subbrev_co_u32_e32 v13, vcc, 0, v13, vcc
	v_lshl_add_u64 v[12:13], s[30:31], 0, v[12:13]
	global_load_sbyte v12, v[12:13], off
	s_waitcnt vmcnt(1)
	v_cvt_f32_i32_e32 v13, v14
	v_cmp_le_i64_e32 vcc, s[56:57], v[6:7]
	s_or_b64 s[60:61], vcc, s[60:61]
	v_mul_f32_e32 v13, s46, v13
	s_waitcnt vmcnt(0)
	v_cvt_f32_i32_e32 v12, v12
	v_fmac_f32_e32 v11, v13, v12
	s_andn2_b64 exec, exec, s[60:61]
	s_cbranch_execnz .LBB61_12
; %bb.13:                               ;   in Loop: Header=BB61_10 Depth=1
	s_or_b64 exec, exec, s[60:61]
.LBB61_14:                              ;   in Loop: Header=BB61_10 Depth=1
	s_or_b64 exec, exec, s[58:59]
	ds_write_b32 v10, v11
	s_waitcnt lgkmcnt(0)
	s_barrier
	s_and_saveexec_b64 s[56:57], s[18:19]
	s_cbranch_execz .LBB61_16
; %bb.15:                               ;   in Loop: Header=BB61_10 Depth=1
	ds_read2st64_b32 v[6:7], v10 offset1:2
	s_waitcnt lgkmcnt(0)
	v_add_f32_e32 v6, v6, v7
	ds_write_b32 v10, v6
.LBB61_16:                              ;   in Loop: Header=BB61_10 Depth=1
	s_or_b64 exec, exec, s[56:57]
	s_waitcnt lgkmcnt(0)
	s_barrier
	s_and_saveexec_b64 s[56:57], s[4:5]
	s_cbranch_execz .LBB61_18
; %bb.17:                               ;   in Loop: Header=BB61_10 Depth=1
	ds_read2st64_b32 v[6:7], v10 offset1:1
	s_waitcnt lgkmcnt(0)
	v_add_f32_e32 v6, v6, v7
	ds_write_b32 v10, v6
.LBB61_18:                              ;   in Loop: Header=BB61_10 Depth=1
	s_or_b64 exec, exec, s[56:57]
	s_waitcnt lgkmcnt(0)
	s_barrier
	s_and_saveexec_b64 s[56:57], s[6:7]
	s_cbranch_execz .LBB61_20
; %bb.19:                               ;   in Loop: Header=BB61_10 Depth=1
	ds_read2_b32 v[6:7], v10 offset1:32
	s_waitcnt lgkmcnt(0)
	v_add_f32_e32 v6, v6, v7
	ds_write_b32 v10, v6
.LBB61_20:                              ;   in Loop: Header=BB61_10 Depth=1
	s_or_b64 exec, exec, s[56:57]
	s_waitcnt lgkmcnt(0)
	s_barrier
	s_and_saveexec_b64 s[56:57], s[8:9]
	s_cbranch_execz .LBB61_22
; %bb.21:                               ;   in Loop: Header=BB61_10 Depth=1
	ds_read2_b32 v[6:7], v10 offset1:16
	s_waitcnt lgkmcnt(0)
	v_add_f32_e32 v6, v6, v7
	ds_write_b32 v10, v6
.LBB61_22:                              ;   in Loop: Header=BB61_10 Depth=1
	s_or_b64 exec, exec, s[56:57]
	s_waitcnt lgkmcnt(0)
	s_barrier
	s_and_saveexec_b64 s[56:57], s[10:11]
	s_cbranch_execz .LBB61_24
; %bb.23:                               ;   in Loop: Header=BB61_10 Depth=1
	ds_read2_b32 v[6:7], v10 offset1:8
	s_waitcnt lgkmcnt(0)
	v_add_f32_e32 v6, v6, v7
	ds_write_b32 v10, v6
.LBB61_24:                              ;   in Loop: Header=BB61_10 Depth=1
	s_or_b64 exec, exec, s[56:57]
	s_waitcnt lgkmcnt(0)
	s_barrier
	s_and_saveexec_b64 s[56:57], s[12:13]
	s_cbranch_execz .LBB61_26
; %bb.25:                               ;   in Loop: Header=BB61_10 Depth=1
	ds_read2_b32 v[6:7], v10 offset1:4
	s_waitcnt lgkmcnt(0)
	v_add_f32_e32 v6, v6, v7
	ds_write_b32 v10, v6
.LBB61_26:                              ;   in Loop: Header=BB61_10 Depth=1
	s_or_b64 exec, exec, s[56:57]
	s_waitcnt lgkmcnt(0)
	s_barrier
	s_and_saveexec_b64 s[56:57], s[14:15]
	s_cbranch_execz .LBB61_28
; %bb.27:                               ;   in Loop: Header=BB61_10 Depth=1
	ds_read2_b32 v[6:7], v10 offset1:2
	s_waitcnt lgkmcnt(0)
	v_add_f32_e32 v6, v6, v7
	ds_write_b32 v10, v6
.LBB61_28:                              ;   in Loop: Header=BB61_10 Depth=1
	s_or_b64 exec, exec, s[56:57]
	s_waitcnt lgkmcnt(0)
	s_barrier
	s_and_saveexec_b64 s[56:57], s[16:17]
	s_cbranch_execz .LBB61_30
; %bb.29:                               ;   in Loop: Header=BB61_10 Depth=1
	ds_read_b64 v[6:7], v1
	s_waitcnt lgkmcnt(0)
	v_add_f32_e32 v6, v6, v7
	ds_write_b32 v1, v6
.LBB61_30:                              ;   in Loop: Header=BB61_10 Depth=1
	s_or_b64 exec, exec, s[56:57]
	s_waitcnt lgkmcnt(0)
	s_barrier
	s_and_saveexec_b64 s[56:57], s[16:17]
	s_cbranch_execz .LBB61_9
; %bb.31:                               ;   in Loop: Header=BB61_10 Depth=1
	ds_read_b32 v6, v1
	s_and_b64 vcc, exec, s[20:21]
	s_cbranch_vccnz .LBB61_8
; %bb.32:                               ;   in Loop: Header=BB61_10 Depth=1
	s_lshl_b64 s[58:59], s[54:55], 2
	s_add_u32 s58, s34, s58
	s_addc_u32 s59, s35, s59
	global_load_dword v7, v1, s[58:59]
	s_waitcnt vmcnt(0) lgkmcnt(0)
	v_fmac_f32_e32 v6, s22, v7
	s_branch .LBB61_8
.LBB61_33:
	s_mov_b64 s[18:19], 0
.LBB61_34:
	s_and_b64 vcc, exec, s[18:19]
	s_cbranch_vccz .LBB61_69
; %bb.35:
	s_load_dwordx2 s[6:7], s[0:1], 0x18
	s_sub_u32 s8, s2, s40
	s_subb_u32 s9, s3, s41
	s_lshl_b64 s[2:3], s[2:3], 2
	v_mov_b32_e32 v1, 0
	s_waitcnt lgkmcnt(0)
	s_add_u32 s4, s6, s2
	s_addc_u32 s5, s7, s3
	global_load_dword v6, v1, s[4:5]
	s_cmp_lg_u64 s[40:41], 0
	s_cselect_b64 s[10:11], -1, 0
	s_cmp_eq_u64 s[40:41], 0
	s_cselect_b64 s[2:3], -1, 0
	v_cmp_eq_u32_e32 vcc, 0, v0
	s_and_b64 s[2:3], vcc, s[2:3]
	v_mov_b32_e32 v7, 0
	s_and_saveexec_b64 s[12:13], s[2:3]
	s_cbranch_execz .LBB61_39
; %bb.36:
	s_lshl_b64 s[2:3], s[36:37], 2
	s_add_u32 s2, s34, s2
	s_addc_u32 s3, s35, s3
	v_mov_b32_e32 v4, 0
	global_load_dword v2, v4, s[2:3]
	s_mov_b64 s[14:15], exec
	v_mbcnt_lo_u32_b32 v5, s14, 0
	v_mbcnt_hi_u32_b32 v5, s15, v5
	v_add_f32_e64 v3, s22, -1.0
	v_cmp_eq_u32_e64 s[2:3], 0, v5
	s_waitcnt vmcnt(0) expcnt(0) lgkmcnt(0)
	s_and_saveexec_b64 s[16:17], s[2:3]
	s_cbranch_execz .LBB61_38
; %bb.37:
	s_lshl_b64 s[2:3], s[8:9], 2
	s_add_u32 s2, s6, s2
	s_addc_u32 s3, s7, s3
	s_bcnt1_i32_b64 s14, s[14:15]
	s_and_b32 s14, s14, 1
	v_mov_b32_e32 v5, s14
	global_atomic_xor v4, v5, s[2:3]
.LBB61_38:
	s_or_b64 exec, exec, s[16:17]
	v_mul_f32_e32 v7, v3, v2
.LBB61_39:
	s_or_b64 exec, exec, s[12:13]
	s_mul_i32 s2, s41, 0xc00
	s_mul_hi_u32 s3, s40, 0xc00
	s_add_i32 s12, s3, s2
	s_load_dwordx2 s[2:3], s[44:45], 0x8
	s_sub_u32 s14, s42, s48
	s_mul_i32 s13, s40, 0xc00
	s_subb_u32 s15, s43, 0
	s_add_u32 s16, s14, s13
	s_addc_u32 s17, s15, s12
	s_waitcnt lgkmcnt(0)
	s_sub_u32 s14, s2, s48
	s_subb_u32 s15, s3, 0
	v_lshl_add_u64 v[2:3], s[16:17], 0, v[0:1]
	v_cmp_gt_i64_e64 s[2:3], s[14:15], v[2:3]
	s_and_saveexec_b64 s[12:13], s[2:3]
	s_cbranch_execz .LBB61_43
; %bb.40:
	s_add_u32 s16, s16, 0xc00
	s_addc_u32 s17, s17, 0
	v_mov_b64_e32 v[4:5], s[14:15]
	v_cmp_lt_i64_e64 s[2:3], s[16:17], v[4:5]
	s_and_b64 s[2:3], s[2:3], exec
	s_cselect_b32 s15, s17, s15
	s_cselect_b32 s14, s16, s14
	v_lshl_add_u64 v[4:5], v[2:3], 3, s[26:27]
	s_mov_b64 s[16:17], 0
	s_mov_b64 s[18:19], 0x100
	;; [unrolled: 1-line block ×3, first 2 shown]
.LBB61_41:                              ; =>This Inner Loop Header: Depth=1
	global_load_dwordx2 v[8:9], v[4:5], off
	v_lshl_add_u64 v[10:11], s[28:29], 0, v[2:3]
	global_load_sbyte v1, v[10:11], off
	v_lshl_add_u64 v[2:3], v[2:3], 0, s[18:19]
	v_lshl_add_u64 v[4:5], v[4:5], 0, s[20:21]
	s_waitcnt vmcnt(1)
	v_subrev_co_u32_e64 v8, s[2:3], s48, v8
	s_nop 1
	v_subbrev_co_u32_e64 v9, s[2:3], 0, v9, s[2:3]
	v_lshl_add_u64 v[8:9], s[30:31], 0, v[8:9]
	global_load_sbyte v8, v[8:9], off
	s_waitcnt vmcnt(1)
	v_cvt_f32_i32_e32 v1, v1
	v_cmp_le_i64_e64 s[2:3], s[14:15], v[2:3]
	s_or_b64 s[16:17], s[2:3], s[16:17]
	v_mul_f32_e32 v1, s46, v1
	s_waitcnt vmcnt(0)
	v_cvt_f32_i32_e32 v8, v8
	v_fmac_f32_e32 v7, v1, v8
	s_andn2_b64 exec, exec, s[16:17]
	s_cbranch_execnz .LBB61_41
; %bb.42:
	s_or_b64 exec, exec, s[16:17]
.LBB61_43:
	s_or_b64 exec, exec, s[12:13]
	s_movk_i32 s2, 0x80
	v_lshlrev_b32_e32 v1, 2, v0
	v_cmp_gt_u32_e64 s[2:3], s2, v0
	ds_write_b32 v1, v7
	s_waitcnt lgkmcnt(0)
	s_barrier
	s_and_saveexec_b64 s[12:13], s[2:3]
	s_cbranch_execz .LBB61_45
; %bb.44:
	ds_read2st64_b32 v[2:3], v1 offset1:2
	s_waitcnt lgkmcnt(0)
	v_add_f32_e32 v2, v2, v3
	ds_write_b32 v1, v2
.LBB61_45:
	s_or_b64 exec, exec, s[12:13]
	v_cmp_gt_u32_e64 s[2:3], 64, v0
	s_waitcnt lgkmcnt(0)
	s_barrier
	s_and_saveexec_b64 s[12:13], s[2:3]
	s_cbranch_execz .LBB61_47
; %bb.46:
	ds_read2st64_b32 v[2:3], v1 offset1:1
	s_waitcnt lgkmcnt(0)
	v_add_f32_e32 v2, v2, v3
	ds_write_b32 v1, v2
.LBB61_47:
	s_or_b64 exec, exec, s[12:13]
	v_cmp_gt_u32_e64 s[2:3], 32, v0
	s_waitcnt lgkmcnt(0)
	s_barrier
	s_and_saveexec_b64 s[12:13], s[2:3]
	s_cbranch_execz .LBB61_49
; %bb.48:
	ds_read2_b32 v[2:3], v1 offset1:32
	s_waitcnt lgkmcnt(0)
	v_add_f32_e32 v2, v2, v3
	ds_write_b32 v1, v2
.LBB61_49:
	s_or_b64 exec, exec, s[12:13]
	v_cmp_gt_u32_e64 s[2:3], 16, v0
	s_waitcnt lgkmcnt(0)
	s_barrier
	s_and_saveexec_b64 s[12:13], s[2:3]
	s_cbranch_execz .LBB61_51
; %bb.50:
	ds_read2_b32 v[2:3], v1 offset1:16
	s_waitcnt lgkmcnt(0)
	v_add_f32_e32 v2, v2, v3
	ds_write_b32 v1, v2
.LBB61_51:
	s_or_b64 exec, exec, s[12:13]
	v_cmp_gt_u32_e64 s[2:3], 8, v0
	s_waitcnt lgkmcnt(0)
	s_barrier
	s_and_saveexec_b64 s[12:13], s[2:3]
	s_cbranch_execz .LBB61_53
; %bb.52:
	ds_read2_b32 v[2:3], v1 offset1:8
	s_waitcnt lgkmcnt(0)
	v_add_f32_e32 v2, v2, v3
	ds_write_b32 v1, v2
.LBB61_53:
	s_or_b64 exec, exec, s[12:13]
	v_cmp_gt_u32_e64 s[2:3], 4, v0
	s_waitcnt lgkmcnt(0)
	s_barrier
	s_and_saveexec_b64 s[12:13], s[2:3]
	s_cbranch_execz .LBB61_55
; %bb.54:
	ds_read2_b32 v[2:3], v1 offset1:4
	s_waitcnt lgkmcnt(0)
	v_add_f32_e32 v2, v2, v3
	ds_write_b32 v1, v2
.LBB61_55:
	s_or_b64 exec, exec, s[12:13]
	v_cmp_gt_u32_e64 s[2:3], 2, v0
	s_waitcnt lgkmcnt(0)
	s_barrier
	s_and_saveexec_b64 s[12:13], s[2:3]
	s_cbranch_execz .LBB61_57
; %bb.56:
	ds_read2_b32 v[2:3], v1 offset1:2
	s_waitcnt lgkmcnt(0)
	v_add_f32_e32 v2, v2, v3
	ds_write_b32 v1, v2
.LBB61_57:
	s_or_b64 exec, exec, s[12:13]
	s_waitcnt lgkmcnt(0)
	s_barrier
	s_and_saveexec_b64 s[2:3], vcc
	s_cbranch_execz .LBB61_59
; %bb.58:
	v_mov_b32_e32 v1, 0
	ds_read_b64 v[2:3], v1
	s_waitcnt lgkmcnt(0)
	v_add_f32_e32 v2, v2, v3
	ds_write_b32 v1, v2
.LBB61_59:
	s_or_b64 exec, exec, s[2:3]
	s_waitcnt lgkmcnt(0)
	s_barrier
	s_and_saveexec_b64 s[2:3], vcc
	s_cbranch_execz .LBB61_68
; %bb.60:
	s_andn2_b64 vcc, exec, s[10:11]
	s_cbranch_vccnz .LBB61_66
; %bb.61:
	s_lshl_b64 s[8:9], s[8:9], 2
	s_add_u32 s6, s6, s8
	s_addc_u32 s7, s7, s9
	v_mov_b32_e32 v1, 0
	s_branch .LBB61_63
.LBB61_62:                              ;   in Loop: Header=BB61_63 Depth=1
	s_or_b64 exec, exec, s[8:9]
	s_waitcnt vmcnt(0)
	v_readfirstlane_b32 s8, v2
	s_nop 1
	v_cmp_eq_u32_e32 vcc, s8, v6
	s_cbranch_vccz .LBB61_65
.LBB61_63:                              ; =>This Inner Loop Header: Depth=1
	v_mbcnt_lo_u32_b32 v2, exec_lo, 0
	v_mbcnt_hi_u32_b32 v2, exec_hi, v2
	v_cmp_eq_u32_e32 vcc, 0, v2
                                        ; implicit-def: $vgpr2
	s_and_saveexec_b64 s[8:9], vcc
	s_cbranch_execz .LBB61_62
; %bb.64:                               ;   in Loop: Header=BB61_63 Depth=1
	global_load_dword v2, v1, s[6:7] sc1
	s_branch .LBB61_62
.LBB61_65:
	v_mov_b32_e32 v1, 0
	global_load_ushort v2, v1, s[4:5]
	s_waitcnt vmcnt(0)
	v_xor_b32_e32 v2, 1, v2
	global_store_short v1, v2, s[4:5]
.LBB61_66:
	s_mov_b64 s[4:5], exec
	v_mbcnt_lo_u32_b32 v1, s4, 0
	v_mbcnt_hi_u32_b32 v1, s5, v1
	v_cmp_eq_u32_e32 vcc, 0, v1
	s_and_b64 s[6:7], exec, vcc
	s_mov_b64 exec, s[6:7]
	s_cbranch_execz .LBB61_68
; %bb.67:
	v_mov_b32_e32 v1, 0
	ds_read_b32 v2, v1
	s_lshl_b64 s[6:7], s[36:37], 2
	s_add_u32 s6, s34, s6
	s_addc_u32 s7, s35, s7
	s_bcnt1_i32_b64 s4, s[4:5]
	v_cvt_f32_ubyte0_e32 v3, s4
	s_waitcnt lgkmcnt(0)
	v_mul_f32_e32 v2, v2, v3
	global_atomic_add_f32 v1, v2, s[6:7]
.LBB61_68:
	s_or_b64 exec, exec, s[2:3]
.LBB61_69:
	s_mov_b64 s[6:7], 0
.LBB61_70:
	s_andn2_b64 vcc, exec, s[6:7]
	s_cbranch_vccnz .LBB61_114
; %bb.71:
	s_load_dwordx2 s[0:1], s[0:1], 0x8
	v_subrev_co_u32_e32 v2, vcc, s48, v0
	v_mov_b32_e32 v1, 0
	s_nop 0
	v_subb_co_u32_e64 v3, s[2:3], 0, 0, vcc
	s_waitcnt lgkmcnt(0)
	v_lshl_add_u64 v[2:3], s[42:43], 0, v[2:3]
	s_mov_b64 s[2:3], 0x300
	v_lshl_add_u64 v[4:5], v[2:3], 0, s[2:3]
	v_cmp_le_i64_e32 vcc, s[0:1], v[4:5]
	s_and_saveexec_b64 s[0:1], vcc
	s_xor_b64 s[0:1], exec, s[0:1]
	s_cbranch_execz .LBB61_76
; %bb.72:
	s_lshl_b64 s[2:3], s[38:39], 3
	s_add_u32 s2, s24, s2
	s_addc_u32 s3, s25, s3
	s_load_dwordx2 s[2:3], s[2:3], 0x0
	s_waitcnt lgkmcnt(0)
	s_sub_u32 s2, s2, s48
	s_subb_u32 s3, s3, 0
	v_cmp_gt_i64_e32 vcc, s[2:3], v[2:3]
	s_and_saveexec_b64 s[4:5], vcc
	s_cbranch_execz .LBB61_75
; %bb.73:
	s_waitcnt vmcnt(0)
	v_lshlrev_b32_e32 v6, 2, v0
	v_lshl_add_u64 v[4:5], v[2:3], 3, s[26:27]
	s_mov_b64 s[6:7], 0
	s_mov_b64 s[8:9], 0x100
	;; [unrolled: 1-line block ×3, first 2 shown]
.LBB61_74:                              ; =>This Inner Loop Header: Depth=1
	global_load_dwordx2 v[8:9], v[4:5], off
	v_lshl_add_u64 v[10:11], s[28:29], 0, v[2:3]
	global_load_sbyte v7, v[10:11], off
	v_lshl_add_u64 v[2:3], v[2:3], 0, s[8:9]
	v_lshl_add_u64 v[4:5], v[4:5], 0, s[10:11]
	s_waitcnt vmcnt(1)
	v_subrev_co_u32_e32 v8, vcc, s48, v8
	s_nop 1
	v_subbrev_co_u32_e32 v9, vcc, 0, v9, vcc
	v_lshl_add_u64 v[8:9], s[30:31], 0, v[8:9]
	global_load_sbyte v8, v[8:9], off
	s_waitcnt vmcnt(1)
	v_cvt_f32_i32_e32 v7, v7
	v_cmp_le_i64_e32 vcc, s[2:3], v[2:3]
	s_or_b64 s[6:7], vcc, s[6:7]
	v_mul_f32_e32 v7, s46, v7
	s_waitcnt vmcnt(0)
	v_cvt_f32_i32_e32 v8, v8
	v_mul_f32_e32 v7, v7, v8
	ds_write_b32 v6, v7
	v_add_u32_e32 v6, 0x400, v6
	s_andn2_b64 exec, exec, s[6:7]
	s_cbranch_execnz .LBB61_74
.LBB61_75:
	s_or_b64 exec, exec, s[4:5]
                                        ; implicit-def: $vgpr2_vgpr3
.LBB61_76:
	s_or_saveexec_b64 s[0:1], s[0:1]
	v_lshlrev_b32_e32 v10, 2, v0
	s_xor_b64 exec, exec, s[0:1]
	s_cbranch_execz .LBB61_78
; %bb.77:
	v_lshl_add_u64 v[4:5], v[2:3], 3, s[26:27]
	global_load_dwordx2 v[6:7], v[4:5], off
	global_load_dwordx2 v[8:9], v[4:5], off offset:2048
	s_movk_i32 s2, 0x1000
	v_add_co_u32_e32 v4, vcc, s2, v4
	v_lshl_add_u64 v[2:3], s[28:29], 0, v[2:3]
	s_nop 0
	v_addc_co_u32_e32 v5, vcc, 0, v5, vcc
	global_load_dwordx2 v[12:13], v[4:5], off
	global_load_dwordx2 v[14:15], v[4:5], off offset:2048
	global_load_sbyte v11, v[2:3], off
	global_load_sbyte v16, v[2:3], off offset:256
	global_load_sbyte v17, v[2:3], off offset:512
	;; [unrolled: 1-line block ×3, first 2 shown]
	s_waitcnt vmcnt(7)
	v_subrev_co_u32_e32 v2, vcc, s48, v6
	s_nop 1
	v_subbrev_co_u32_e32 v3, vcc, 0, v7, vcc
	s_waitcnt vmcnt(6)
	v_subrev_co_u32_e32 v4, vcc, s48, v8
	v_lshl_add_u64 v[2:3], s[30:31], 0, v[2:3]
	s_nop 0
	v_subbrev_co_u32_e32 v5, vcc, 0, v9, vcc
	s_waitcnt vmcnt(5)
	v_subrev_co_u32_e32 v6, vcc, s48, v12
	v_lshl_add_u64 v[4:5], s[30:31], 0, v[4:5]
	s_nop 0
	v_subbrev_co_u32_e32 v7, vcc, 0, v13, vcc
	s_waitcnt vmcnt(4)
	v_subrev_co_u32_e32 v8, vcc, s48, v14
	global_load_sbyte v12, v[2:3], off
	global_load_sbyte v13, v[4:5], off
	v_subbrev_co_u32_e32 v9, vcc, 0, v15, vcc
	v_lshl_add_u64 v[2:3], s[30:31], 0, v[6:7]
	v_lshl_add_u64 v[4:5], s[30:31], 0, v[8:9]
	global_load_sbyte v6, v[2:3], off
	global_load_sbyte v7, v[4:5], off
	s_waitcnt vmcnt(7)
	v_cvt_f32_i32_e32 v2, v11
	s_waitcnt vmcnt(6)
	v_cvt_f32_i32_e32 v3, v16
	;; [unrolled: 2-line block ×4, first 2 shown]
	v_mul_f32_e32 v2, s46, v2
	v_mul_f32_e32 v3, s46, v3
	;; [unrolled: 1-line block ×4, first 2 shown]
	s_waitcnt vmcnt(3)
	v_cvt_f32_i32_e32 v8, v12
	s_waitcnt vmcnt(2)
	v_cvt_f32_i32_e32 v9, v13
	v_mul_f32_e32 v2, v2, v8
	s_waitcnt vmcnt(1)
	v_cvt_f32_i32_e32 v6, v6
	s_waitcnt vmcnt(0)
	v_cvt_f32_i32_e32 v7, v7
	v_mul_f32_e32 v3, v3, v9
	ds_write2st64_b32 v10, v2, v3 offset1:4
	v_mul_f32_e32 v2, v4, v6
	v_mul_f32_e32 v3, v5, v7
	ds_write2st64_b32 v10, v2, v3 offset0:8 offset1:12
.LBB61_78:
	s_or_b64 exec, exec, s[0:1]
	v_cmp_lt_i64_e64 s[2:3], s[40:41], 2
	s_mov_b64 s[0:1], -1
	s_and_b64 vcc, exec, s[2:3]
	s_waitcnt lgkmcnt(0)
	s_barrier
	s_cbranch_vccz .LBB61_89
; %bb.79:
	s_waitcnt vmcnt(0)
	v_lshl_add_u64 v[6:7], s[36:37], 0, v[0:1]
	v_cmp_gt_i64_e32 vcc, s[38:39], v[6:7]
	s_and_saveexec_b64 s[0:1], vcc
	s_cbranch_execz .LBB61_88
; %bb.80:
	s_lshl_b32 s4, s42, 2
	v_cmp_neq_f32_e64 s[2:3], s22, 0
	s_sub_i32 s12, 0, s4
	s_mov_b64 s[4:5], 0
	s_mov_b64 s[6:7], 0x100
	s_branch .LBB61_82
.LBB61_81:                              ;   in Loop: Header=BB61_82 Depth=1
	v_lshl_add_u64 v[6:7], v[6:7], 0, s[6:7]
	v_cmp_le_i64_e32 vcc, s[38:39], v[6:7]
	s_or_b64 s[4:5], vcc, s[4:5]
	global_store_dword v[2:3], v1, off
	s_andn2_b64 exec, exec, s[4:5]
	s_cbranch_execz .LBB61_88
.LBB61_82:                              ; =>This Loop Header: Depth=1
                                        ;     Child Loop BB61_84 Depth 2
	v_lshl_add_u64 v[2:3], v[6:7], 3, s[24:25]
	global_load_dwordx4 v[2:5], v[2:3], off
	v_mov_b32_e32 v1, 0
	s_waitcnt vmcnt(0)
	v_cmp_lt_i64_e32 vcc, v[2:3], v[4:5]
	s_and_saveexec_b64 s[8:9], vcc
	s_cbranch_execz .LBB61_86
; %bb.83:                               ;   in Loop: Header=BB61_82 Depth=1
	v_mov_b32_e32 v1, s43
	v_subrev_co_u32_e32 v4, vcc, s42, v4
	s_mov_b64 s[10:11], 0
	s_nop 0
	v_subb_co_u32_e32 v5, vcc, v5, v1, vcc
	v_subrev_co_u32_e32 v8, vcc, s42, v2
	v_lshl_add_u32 v2, v2, 2, s12
	s_nop 0
	v_subb_co_u32_e32 v9, vcc, v3, v1, vcc
	v_mov_b32_e32 v1, 0
.LBB61_84:                              ;   Parent Loop BB61_82 Depth=1
                                        ; =>  This Inner Loop Header: Depth=2
	ds_read_b32 v3, v2
	v_lshl_add_u64 v[8:9], v[8:9], 0, 1
	v_cmp_ge_i64_e32 vcc, v[8:9], v[4:5]
	v_add_u32_e32 v2, 4, v2
	s_or_b64 s[10:11], vcc, s[10:11]
	s_waitcnt lgkmcnt(0)
	v_add_f32_e32 v1, v1, v3
	s_andn2_b64 exec, exec, s[10:11]
	s_cbranch_execnz .LBB61_84
; %bb.85:                               ;   in Loop: Header=BB61_82 Depth=1
	s_or_b64 exec, exec, s[10:11]
.LBB61_86:                              ;   in Loop: Header=BB61_82 Depth=1
	s_or_b64 exec, exec, s[8:9]
	s_and_b64 vcc, exec, s[2:3]
	v_lshl_add_u64 v[2:3], v[6:7], 2, s[34:35]
	s_cbranch_vccz .LBB61_81
; %bb.87:                               ;   in Loop: Header=BB61_82 Depth=1
	global_load_dword v4, v[2:3], off
	s_waitcnt vmcnt(0)
	v_fmac_f32_e32 v1, s22, v4
	s_branch .LBB61_81
.LBB61_88:
	s_or_b64 exec, exec, s[0:1]
	s_mov_b64 s[0:1], 0
.LBB61_89:
	s_andn2_b64 vcc, exec, s[0:1]
	s_cbranch_vccnz .LBB61_114
; %bb.90:
	s_flbit_i32_b32 s0, s40
	s_min_u32 s0, s0, 32
	s_sub_i32 s0, 31, s0
	v_lshrrev_b32_e32 v4, s0, v0
	v_mov_b32_e32 v5, 0
	v_lshl_add_u64 v[2:3], s[36:37], 0, v[4:5]
	s_add_i32 s0, s40, -1
	v_and_b32_e32 v0, s0, v0
	v_mov_b32_e32 v1, v5
	v_cmp_le_i64_e64 s[0:1], s[38:39], v[2:3]
	v_cmp_gt_i64_e32 vcc, s[38:39], v[2:3]
	s_and_saveexec_b64 s[2:3], vcc
	s_cbranch_execz .LBB61_96
; %bb.91:
	v_lshlrev_b32_e32 v4, 3, v4
	global_load_dwordx4 v[4:7], v4, s[44:45]
	v_mov_b32_e32 v9, s43
	v_subrev_co_u32_e32 v8, vcc, s42, v0
	v_mov_b32_e32 v11, s43
	s_nop 0
	v_subb_co_u32_e32 v9, vcc, 0, v9, vcc
	s_waitcnt vmcnt(0)
	v_subrev_co_u32_e32 v6, vcc, s42, v6
	s_nop 1
	v_subb_co_u32_e32 v7, vcc, v7, v11, vcc
	v_lshl_add_u64 v[8:9], v[4:5], 0, v[8:9]
	v_cmp_lt_i64_e32 vcc, v[8:9], v[6:7]
	v_mov_b32_e32 v5, 0
	s_and_saveexec_b64 s[4:5], vcc
	s_cbranch_execz .LBB61_95
; %bb.92:
	v_lshlrev_b32_e32 v4, 2, v8
	s_lshl_b32 s8, s40, 2
	v_mov_b32_e32 v5, 0
	s_mov_b64 s[6:7], 0
.LBB61_93:                              ; =>This Inner Loop Header: Depth=1
	ds_read_b32 v11, v4
	v_lshl_add_u64 v[8:9], v[8:9], 0, s[40:41]
	v_cmp_ge_i64_e32 vcc, v[8:9], v[6:7]
	v_add_u32_e32 v4, s8, v4
	s_or_b64 s[6:7], vcc, s[6:7]
	s_waitcnt lgkmcnt(0)
	v_add_f32_e32 v5, v5, v11
	s_andn2_b64 exec, exec, s[6:7]
	s_cbranch_execnz .LBB61_93
; %bb.94:
	s_or_b64 exec, exec, s[6:7]
.LBB61_95:
	s_or_b64 exec, exec, s[4:5]
.LBB61_96:
	s_or_b64 exec, exec, s[2:3]
	s_waitcnt vmcnt(0)
	v_mov_b64_e32 v[6:7], 0x81
	v_cmp_lt_u64_e32 vcc, s[40:41], v[6:7]
	s_and_b64 vcc, exec, vcc
	s_barrier
	ds_write_b32 v10, v5
	s_waitcnt lgkmcnt(0)
	s_barrier
	s_cbranch_vccnz .LBB61_98
; %bb.97:
	ds_read_b32 v4, v10 offset:512
	s_waitcnt lgkmcnt(0)
	s_barrier
	v_add_f32_e32 v5, v5, v4
	ds_write_b32 v10, v5
.LBB61_98:
	v_mov_b64_e32 v[6:7], 0x41
	v_cmp_lt_u64_e32 vcc, s[40:41], v[6:7]
	s_waitcnt lgkmcnt(0)
	s_barrier
	s_cbranch_vccnz .LBB61_100
; %bb.99:
	ds_read_b32 v4, v10 offset:256
	s_waitcnt lgkmcnt(0)
	s_barrier
	v_add_f32_e32 v5, v5, v4
	ds_write_b32 v10, v5
.LBB61_100:
	v_cmp_lt_u64_e64 s[2:3], s[40:41], 33
	s_and_b64 vcc, exec, s[2:3]
	s_waitcnt lgkmcnt(0)
	s_barrier
	s_cbranch_vccnz .LBB61_102
; %bb.101:
	ds_read_b32 v4, v10 offset:128
	s_waitcnt lgkmcnt(0)
	s_barrier
	v_add_f32_e32 v5, v5, v4
	ds_write_b32 v10, v5
.LBB61_102:
	v_cmp_lt_u64_e64 s[2:3], s[40:41], 17
	s_and_b64 vcc, exec, s[2:3]
	;; [unrolled: 12-line block ×4, first 2 shown]
	s_waitcnt lgkmcnt(0)
	s_barrier
	s_cbranch_vccnz .LBB61_108
; %bb.107:
	ds_read_b32 v4, v10 offset:16
	s_waitcnt lgkmcnt(0)
	s_barrier
	v_add_f32_e32 v5, v5, v4
	ds_write_b32 v10, v5
.LBB61_108:
	s_cmp_eq_u64 s[40:41], 2
	s_waitcnt lgkmcnt(0)
	s_barrier
	s_cbranch_scc1 .LBB61_110
; %bb.109:
	ds_read_b32 v4, v10 offset:8
	s_waitcnt lgkmcnt(0)
	s_barrier
	v_add_f32_e32 v5, v5, v4
	ds_write_b32 v10, v5
.LBB61_110:
	s_waitcnt lgkmcnt(0)
	s_barrier
	ds_read_b32 v4, v10 offset:4
	v_cmp_eq_u64_e32 vcc, 0, v[0:1]
	s_xor_b64 s[0:1], s[0:1], -1
	s_and_b64 s[0:1], vcc, s[0:1]
	s_waitcnt lgkmcnt(0)
	v_add_f32_e32 v4, v5, v4
	s_barrier
	ds_write_b32 v10, v4
	s_and_saveexec_b64 s[2:3], s[0:1]
	s_cbranch_execz .LBB61_114
; %bb.111:
	v_cmp_eq_f32_e64 s[0:1], s22, 0
	s_and_b64 vcc, exec, s[0:1]
	v_lshl_add_u64 v[0:1], v[2:3], 2, s[34:35]
	s_cbranch_vccnz .LBB61_113
; %bb.112:
	global_load_dword v2, v[0:1], off
	s_waitcnt vmcnt(0)
	v_fmac_f32_e32 v4, s22, v2
.LBB61_113:
	global_store_dword v[0:1], v4, off
.LBB61_114:
	s_endpgm
	.section	.rodata,"a",@progbits
	.p2align	6, 0x0
	.amdhsa_kernel _ZN9rocsparseL22csrmvn_adaptive_kernelIllaaffEEvbT_PKS1_PjPKT0_NS_24const_host_device_scalarIT4_EES3_S7_PKT1_PKT2_SA_PT3_21rocsparse_index_base_b
		.amdhsa_group_segment_fixed_size 4096
		.amdhsa_private_segment_fixed_size 0
		.amdhsa_kernarg_size 104
		.amdhsa_user_sgpr_count 2
		.amdhsa_user_sgpr_dispatch_ptr 0
		.amdhsa_user_sgpr_queue_ptr 0
		.amdhsa_user_sgpr_kernarg_segment_ptr 1
		.amdhsa_user_sgpr_dispatch_id 0
		.amdhsa_user_sgpr_kernarg_preload_length 0
		.amdhsa_user_sgpr_kernarg_preload_offset 0
		.amdhsa_user_sgpr_private_segment_size 0
		.amdhsa_uses_dynamic_stack 0
		.amdhsa_enable_private_segment 0
		.amdhsa_system_sgpr_workgroup_id_x 1
		.amdhsa_system_sgpr_workgroup_id_y 0
		.amdhsa_system_sgpr_workgroup_id_z 0
		.amdhsa_system_sgpr_workgroup_info 0
		.amdhsa_system_vgpr_workitem_id 0
		.amdhsa_next_free_vgpr 19
		.amdhsa_next_free_sgpr 64
		.amdhsa_accum_offset 20
		.amdhsa_reserve_vcc 1
		.amdhsa_float_round_mode_32 0
		.amdhsa_float_round_mode_16_64 0
		.amdhsa_float_denorm_mode_32 3
		.amdhsa_float_denorm_mode_16_64 3
		.amdhsa_dx10_clamp 1
		.amdhsa_ieee_mode 1
		.amdhsa_fp16_overflow 0
		.amdhsa_tg_split 0
		.amdhsa_exception_fp_ieee_invalid_op 0
		.amdhsa_exception_fp_denorm_src 0
		.amdhsa_exception_fp_ieee_div_zero 0
		.amdhsa_exception_fp_ieee_overflow 0
		.amdhsa_exception_fp_ieee_underflow 0
		.amdhsa_exception_fp_ieee_inexact 0
		.amdhsa_exception_int_div_zero 0
	.end_amdhsa_kernel
	.section	.text._ZN9rocsparseL22csrmvn_adaptive_kernelIllaaffEEvbT_PKS1_PjPKT0_NS_24const_host_device_scalarIT4_EES3_S7_PKT1_PKT2_SA_PT3_21rocsparse_index_base_b,"axG",@progbits,_ZN9rocsparseL22csrmvn_adaptive_kernelIllaaffEEvbT_PKS1_PjPKT0_NS_24const_host_device_scalarIT4_EES3_S7_PKT1_PKT2_SA_PT3_21rocsparse_index_base_b,comdat
.Lfunc_end61:
	.size	_ZN9rocsparseL22csrmvn_adaptive_kernelIllaaffEEvbT_PKS1_PjPKT0_NS_24const_host_device_scalarIT4_EES3_S7_PKT1_PKT2_SA_PT3_21rocsparse_index_base_b, .Lfunc_end61-_ZN9rocsparseL22csrmvn_adaptive_kernelIllaaffEEvbT_PKS1_PjPKT0_NS_24const_host_device_scalarIT4_EES3_S7_PKT1_PKT2_SA_PT3_21rocsparse_index_base_b
                                        ; -- End function
	.set _ZN9rocsparseL22csrmvn_adaptive_kernelIllaaffEEvbT_PKS1_PjPKT0_NS_24const_host_device_scalarIT4_EES3_S7_PKT1_PKT2_SA_PT3_21rocsparse_index_base_b.num_vgpr, 19
	.set _ZN9rocsparseL22csrmvn_adaptive_kernelIllaaffEEvbT_PKS1_PjPKT0_NS_24const_host_device_scalarIT4_EES3_S7_PKT1_PKT2_SA_PT3_21rocsparse_index_base_b.num_agpr, 0
	.set _ZN9rocsparseL22csrmvn_adaptive_kernelIllaaffEEvbT_PKS1_PjPKT0_NS_24const_host_device_scalarIT4_EES3_S7_PKT1_PKT2_SA_PT3_21rocsparse_index_base_b.numbered_sgpr, 64
	.set _ZN9rocsparseL22csrmvn_adaptive_kernelIllaaffEEvbT_PKS1_PjPKT0_NS_24const_host_device_scalarIT4_EES3_S7_PKT1_PKT2_SA_PT3_21rocsparse_index_base_b.num_named_barrier, 0
	.set _ZN9rocsparseL22csrmvn_adaptive_kernelIllaaffEEvbT_PKS1_PjPKT0_NS_24const_host_device_scalarIT4_EES3_S7_PKT1_PKT2_SA_PT3_21rocsparse_index_base_b.private_seg_size, 0
	.set _ZN9rocsparseL22csrmvn_adaptive_kernelIllaaffEEvbT_PKS1_PjPKT0_NS_24const_host_device_scalarIT4_EES3_S7_PKT1_PKT2_SA_PT3_21rocsparse_index_base_b.uses_vcc, 1
	.set _ZN9rocsparseL22csrmvn_adaptive_kernelIllaaffEEvbT_PKS1_PjPKT0_NS_24const_host_device_scalarIT4_EES3_S7_PKT1_PKT2_SA_PT3_21rocsparse_index_base_b.uses_flat_scratch, 0
	.set _ZN9rocsparseL22csrmvn_adaptive_kernelIllaaffEEvbT_PKS1_PjPKT0_NS_24const_host_device_scalarIT4_EES3_S7_PKT1_PKT2_SA_PT3_21rocsparse_index_base_b.has_dyn_sized_stack, 0
	.set _ZN9rocsparseL22csrmvn_adaptive_kernelIllaaffEEvbT_PKS1_PjPKT0_NS_24const_host_device_scalarIT4_EES3_S7_PKT1_PKT2_SA_PT3_21rocsparse_index_base_b.has_recursion, 0
	.set _ZN9rocsparseL22csrmvn_adaptive_kernelIllaaffEEvbT_PKS1_PjPKT0_NS_24const_host_device_scalarIT4_EES3_S7_PKT1_PKT2_SA_PT3_21rocsparse_index_base_b.has_indirect_call, 0
	.section	.AMDGPU.csdata,"",@progbits
; Kernel info:
; codeLenInByte = 3852
; TotalNumSgprs: 70
; NumVgprs: 19
; NumAgprs: 0
; TotalNumVgprs: 19
; ScratchSize: 0
; MemoryBound: 0
; FloatMode: 240
; IeeeMode: 1
; LDSByteSize: 4096 bytes/workgroup (compile time only)
; SGPRBlocks: 8
; VGPRBlocks: 2
; NumSGPRsForWavesPerEU: 70
; NumVGPRsForWavesPerEU: 19
; AccumOffset: 20
; Occupancy: 8
; WaveLimiterHint : 1
; COMPUTE_PGM_RSRC2:SCRATCH_EN: 0
; COMPUTE_PGM_RSRC2:USER_SGPR: 2
; COMPUTE_PGM_RSRC2:TRAP_HANDLER: 0
; COMPUTE_PGM_RSRC2:TGID_X_EN: 1
; COMPUTE_PGM_RSRC2:TGID_Y_EN: 0
; COMPUTE_PGM_RSRC2:TGID_Z_EN: 0
; COMPUTE_PGM_RSRC2:TIDIG_COMP_CNT: 0
; COMPUTE_PGM_RSRC3_GFX90A:ACCUM_OFFSET: 4
; COMPUTE_PGM_RSRC3_GFX90A:TG_SPLIT: 0
	.section	.text._ZN9rocsparseL27csrmvn_symm_adaptive_kernelIllaaffEEvbT_S1_PKS1_NS_24const_host_device_scalarIT4_EES3_PKT0_PKT1_PKT2_S6_PT3_21rocsparse_index_base_b,"axG",@progbits,_ZN9rocsparseL27csrmvn_symm_adaptive_kernelIllaaffEEvbT_S1_PKS1_NS_24const_host_device_scalarIT4_EES3_PKT0_PKT1_PKT2_S6_PT3_21rocsparse_index_base_b,comdat
	.globl	_ZN9rocsparseL27csrmvn_symm_adaptive_kernelIllaaffEEvbT_S1_PKS1_NS_24const_host_device_scalarIT4_EES3_PKT0_PKT1_PKT2_S6_PT3_21rocsparse_index_base_b ; -- Begin function _ZN9rocsparseL27csrmvn_symm_adaptive_kernelIllaaffEEvbT_S1_PKS1_NS_24const_host_device_scalarIT4_EES3_PKT0_PKT1_PKT2_S6_PT3_21rocsparse_index_base_b
	.p2align	8
	.type	_ZN9rocsparseL27csrmvn_symm_adaptive_kernelIllaaffEEvbT_S1_PKS1_NS_24const_host_device_scalarIT4_EES3_PKT0_PKT1_PKT2_S6_PT3_21rocsparse_index_base_b,@function
_ZN9rocsparseL27csrmvn_symm_adaptive_kernelIllaaffEEvbT_S1_PKS1_NS_24const_host_device_scalarIT4_EES3_PKT0_PKT1_PKT2_S6_PT3_21rocsparse_index_base_b: ; @_ZN9rocsparseL27csrmvn_symm_adaptive_kernelIllaaffEEvbT_S1_PKS1_NS_24const_host_device_scalarIT4_EES3_PKT0_PKT1_PKT2_S6_PT3_21rocsparse_index_base_b
; %bb.0:
	s_load_dwordx2 s[28:29], s[0:1], 0x58
	s_load_dwordx2 s[36:37], s[0:1], 0x20
	;; [unrolled: 1-line block ×3, first 2 shown]
	s_waitcnt lgkmcnt(0)
	s_bitcmp1_b32 s29, 0
	s_cselect_b64 s[8:9], -1, 0
	s_xor_b64 s[6:7], s[8:9], -1
	s_and_b64 vcc, exec, s[8:9]
	s_cbranch_vccnz .LBB62_2
; %bb.1:
	s_load_dword s36, s[36:37], 0x0
.LBB62_2:
	s_andn2_b64 vcc, exec, s[6:7]
	s_cbranch_vccnz .LBB62_4
; %bb.3:
	s_load_dword s4, s[4:5], 0x0
.LBB62_4:
	s_waitcnt lgkmcnt(0)
	v_cmp_neq_f32_e64 s[6:7], s36, 0
	v_cmp_neq_f32_e64 s[4:5], s4, 1.0
	s_or_b64 s[4:5], s[6:7], s[4:5]
	s_andn2_b64 vcc, exec, s[4:5]
	s_cbranch_vccnz .LBB62_147
; %bb.5:
	s_load_dwordx2 s[4:5], s[0:1], 0x18
	s_ashr_i32 s3, s2, 31
	s_lshl_b64 s[2:3], s[2:3], 3
	v_lshlrev_b32_e32 v18, 2, v0
	v_mov_b32_e32 v1, 0
	s_waitcnt lgkmcnt(0)
	s_add_u32 s2, s4, s2
	s_addc_u32 s3, s5, s3
	ds_write2st64_b32 v18, v1, v1 offset1:4
	ds_write2st64_b32 v18, v1, v1 offset0:8 offset1:12
	s_waitcnt lgkmcnt(0)
	s_barrier
	s_load_dwordx4 s[20:23], s[2:3], 0x0
	s_load_dwordx8 s[12:19], s[0:1], 0x28
	s_load_dwordx2 s[24:25], s[0:1], 0x50
	s_mov_b64 s[2:3], -1
	s_waitcnt lgkmcnt(0)
	s_sub_u32 s26, s22, s20
	s_subb_u32 s27, s23, s21
	v_cmp_gt_i64_e64 s[4:5], s[26:27], 2
	s_and_b64 vcc, exec, s[4:5]
	s_cbranch_vccnz .LBB62_36
; %bb.6:
	v_mov_b64_e32 v[2:3], s[20:21]
	v_cmp_le_i64_e32 vcc, s[22:23], v[2:3]
	v_subrev_co_u32_e64 v2, s[2:3], s28, v0
	s_nop 1
	v_subb_co_u32_e64 v3, s[2:3], 0, 0, s[2:3]
	s_cbranch_vccnz .LBB62_26
; %bb.7:
	s_movk_i32 s2, 0x100
	v_cmp_gt_u32_e64 s[2:3], s2, v0
	v_cmp_gt_u32_e64 s[4:5], 64, v0
	;; [unrolled: 1-line block ×4, first 2 shown]
	v_cmp_eq_u32_e64 s[10:11], 0, v0
	s_mov_b64 s[30:31], 0x100
	s_mov_b64 s[34:35], 0x800
	v_mov_b32_e32 v1, 0
	v_mov_b64_e32 v[4:5], s[22:23]
	s_mov_b64 s[38:39], s[20:21]
	s_branch .LBB62_9
.LBB62_8:                               ;   in Loop: Header=BB62_9 Depth=1
	s_or_b64 exec, exec, s[40:41]
	s_add_u32 s38, s38, 1
	s_addc_u32 s39, s39, 0
	v_cmp_ge_i64_e32 vcc, s[38:39], v[4:5]
	s_cbranch_vccnz .LBB62_26
.LBB62_9:                               ; =>This Loop Header: Depth=1
                                        ;     Child Loop BB62_11 Depth 2
	s_lshl_b64 s[40:41], s[38:39], 3
	s_add_u32 s40, s12, s40
	s_addc_u32 s41, s13, s41
	s_load_dwordx4 s[44:47], s[40:41], 0x0
	v_mov_b32_e32 v10, 0
	s_waitcnt lgkmcnt(0)
	s_sub_u32 s40, s46, s28
	v_lshl_add_u64 v[6:7], s[44:45], 0, v[2:3]
	s_subb_u32 s41, s47, 0
	v_cmp_gt_i64_e32 vcc, s[40:41], v[6:7]
	s_and_saveexec_b64 s[42:43], vcc
	s_cbranch_execz .LBB62_13
; %bb.10:                               ;   in Loop: Header=BB62_9 Depth=1
	v_lshl_add_u64 v[8:9], v[6:7], 3, s[14:15]
	v_mov_b32_e32 v10, 0
	s_mov_b64 s[44:45], 0
.LBB62_11:                              ;   Parent Loop BB62_9 Depth=1
                                        ; =>  This Inner Loop Header: Depth=2
	global_load_dwordx2 v[12:13], v[8:9], off
	v_lshl_add_u64 v[14:15], s[16:17], 0, v[6:7]
	global_load_sbyte v11, v[14:15], off
	v_lshl_add_u64 v[6:7], v[6:7], 0, s[30:31]
	v_lshl_add_u64 v[8:9], v[8:9], 0, s[34:35]
	s_waitcnt vmcnt(1)
	v_subrev_co_u32_e32 v12, vcc, s28, v12
	s_nop 1
	v_subbrev_co_u32_e32 v13, vcc, 0, v13, vcc
	v_lshl_add_u64 v[12:13], s[18:19], 0, v[12:13]
	global_load_sbyte v12, v[12:13], off
	s_waitcnt vmcnt(1)
	v_cvt_f32_i32_e32 v11, v11
	v_cmp_le_i64_e32 vcc, s[40:41], v[6:7]
	s_or_b64 s[44:45], vcc, s[44:45]
	s_waitcnt vmcnt(0)
	v_cvt_f32_i32_e32 v12, v12
	v_fmac_f32_e32 v10, v11, v12
	s_andn2_b64 exec, exec, s[44:45]
	s_cbranch_execnz .LBB62_11
; %bb.12:                               ;   in Loop: Header=BB62_9 Depth=1
	s_or_b64 exec, exec, s[44:45]
.LBB62_13:                              ;   in Loop: Header=BB62_9 Depth=1
	s_or_b64 exec, exec, s[42:43]
	ds_write_b32 v18, v10
	s_waitcnt lgkmcnt(0)
	s_barrier
	s_and_saveexec_b64 s[40:41], s[2:3]
	s_cbranch_execz .LBB62_15
; %bb.14:                               ;   in Loop: Header=BB62_9 Depth=1
	ds_read2st64_b32 v[6:7], v18 offset1:4
	ds_read2st64_b32 v[8:9], v18 offset0:8 offset1:12
	s_waitcnt lgkmcnt(0)
	v_add_f32_e32 v7, v7, v8
	v_add_f32_e32 v7, v7, v9
	;; [unrolled: 1-line block ×3, first 2 shown]
	ds_write_b32 v18, v6
.LBB62_15:                              ;   in Loop: Header=BB62_9 Depth=1
	s_or_b64 exec, exec, s[40:41]
	s_waitcnt lgkmcnt(0)
	s_barrier
	s_and_saveexec_b64 s[40:41], s[4:5]
	s_cbranch_execz .LBB62_17
; %bb.16:                               ;   in Loop: Header=BB62_9 Depth=1
	ds_read2st64_b32 v[6:7], v18 offset1:1
	ds_read2st64_b32 v[8:9], v18 offset0:2 offset1:3
	s_waitcnt lgkmcnt(0)
	v_add_f32_e32 v7, v7, v8
	v_add_f32_e32 v7, v7, v9
	;; [unrolled: 1-line block ×3, first 2 shown]
	ds_write_b32 v18, v6
.LBB62_17:                              ;   in Loop: Header=BB62_9 Depth=1
	s_or_b64 exec, exec, s[40:41]
	s_waitcnt lgkmcnt(0)
	s_barrier
	s_and_saveexec_b64 s[40:41], s[6:7]
	s_cbranch_execz .LBB62_19
; %bb.18:                               ;   in Loop: Header=BB62_9 Depth=1
	ds_read2_b32 v[6:7], v18 offset1:16
	ds_read2_b32 v[8:9], v18 offset0:32 offset1:48
	s_waitcnt lgkmcnt(0)
	v_add_f32_e32 v7, v7, v8
	v_add_f32_e32 v7, v7, v9
	;; [unrolled: 1-line block ×3, first 2 shown]
	ds_write_b32 v18, v6
.LBB62_19:                              ;   in Loop: Header=BB62_9 Depth=1
	s_or_b64 exec, exec, s[40:41]
	s_waitcnt lgkmcnt(0)
	s_barrier
	s_and_saveexec_b64 s[40:41], s[8:9]
	s_cbranch_execz .LBB62_21
; %bb.20:                               ;   in Loop: Header=BB62_9 Depth=1
	ds_read2_b32 v[6:7], v18 offset1:4
	ds_read2_b32 v[8:9], v18 offset0:8 offset1:12
	s_waitcnt lgkmcnt(0)
	v_add_f32_e32 v7, v7, v8
	v_add_f32_e32 v7, v7, v9
	;; [unrolled: 1-line block ×3, first 2 shown]
	ds_write_b32 v18, v6
.LBB62_21:                              ;   in Loop: Header=BB62_9 Depth=1
	s_or_b64 exec, exec, s[40:41]
	s_waitcnt lgkmcnt(0)
	s_barrier
	s_and_saveexec_b64 s[40:41], s[10:11]
	s_cbranch_execz .LBB62_23
; %bb.22:                               ;   in Loop: Header=BB62_9 Depth=1
	ds_read2_b32 v[6:7], v1 offset0:1 offset1:2
	ds_read_b32 v8, v1 offset:12
	ds_read_b32 v9, v18
	s_waitcnt lgkmcnt(2)
	v_add_f32_e32 v6, v6, v7
	s_waitcnt lgkmcnt(1)
	v_add_f32_e32 v6, v6, v8
	s_waitcnt lgkmcnt(0)
	v_add_f32_e32 v6, v9, v6
	ds_write_b32 v18, v6
.LBB62_23:                              ;   in Loop: Header=BB62_9 Depth=1
	s_or_b64 exec, exec, s[40:41]
	s_waitcnt lgkmcnt(0)
	s_barrier
	s_and_saveexec_b64 s[40:41], s[10:11]
	s_cbranch_execz .LBB62_8
; %bb.24:                               ;   in Loop: Header=BB62_9 Depth=1
	s_mov_b64 s[42:43], exec
	v_mbcnt_lo_u32_b32 v6, s42, 0
	v_mbcnt_hi_u32_b32 v6, s43, v6
	v_cmp_eq_u32_e32 vcc, 0, v6
	s_and_b64 s[44:45], exec, vcc
	s_mov_b64 exec, s[44:45]
	s_cbranch_execz .LBB62_8
; %bb.25:                               ;   in Loop: Header=BB62_9 Depth=1
	ds_read_b32 v6, v1
	s_lshl_b64 s[44:45], s[38:39], 2
	s_add_u32 s44, s24, s44
	s_addc_u32 s45, s25, s45
	s_bcnt1_i32_b64 s29, s[42:43]
	s_waitcnt lgkmcnt(0)
	v_mul_f32_e32 v6, s36, v6
	v_cvt_f32_ubyte0_e32 v7, s29
	v_mul_f32_e32 v6, v6, v7
	global_atomic_add_f32 v1, v6, s[44:45]
	s_branch .LBB62_8
.LBB62_26:
	s_lshl_b64 s[2:3], s[20:21], 3
	s_add_u32 s2, s12, s2
	s_addc_u32 s3, s13, s3
	s_lshl_b64 s[4:5], s[22:23], 3
	s_add_u32 s4, s12, s4
	s_addc_u32 s5, s13, s5
	s_load_dwordx2 s[6:7], s[4:5], 0x0
	s_load_dwordx2 s[8:9], s[2:3], 0x0
	s_waitcnt lgkmcnt(0)
	s_sub_u32 s6, s6, s28
	s_subb_u32 s7, s7, 0
	v_lshl_add_u64 v[2:3], s[8:9], 0, v[2:3]
	v_cmp_gt_i64_e32 vcc, s[6:7], v[2:3]
	s_and_saveexec_b64 s[8:9], vcc
	s_cbranch_execz .LBB62_35
; %bb.27:
	s_add_u32 s10, s22, -1
	s_addc_u32 s11, s23, -1
	s_add_u32 s2, s22, -2
	s_addc_u32 s3, s23, -1
	v_mov_b64_e32 v[4:5], s[10:11]
	s_cmp_lg_u64 s[20:21], s[2:3]
	v_cmp_lt_i64_e32 vcc, s[20:21], v[4:5]
	s_cselect_b64 s[2:3], -1, 0
	s_and_b64 s[2:3], vcc, s[2:3]
	v_cndmask_b32_e64 v1, 0, 1, s[2:3]
	s_mov_b64 s[30:31], 0
	v_cmp_ne_u32_e64 s[2:3], 1, v1
	v_mov_b32_e32 v5, 0
	s_mov_b64 s[34:35], 0x100
	s_branch .LBB62_29
.LBB62_28:                              ;   in Loop: Header=BB62_29 Depth=1
	s_or_b64 exec, exec, s[4:5]
	v_lshl_add_u64 v[2:3], v[2:3], 0, s[34:35]
	v_cmp_le_i64_e32 vcc, s[6:7], v[2:3]
	s_or_b64 s[30:31], vcc, s[30:31]
	s_andn2_b64 exec, exec, s[30:31]
	s_cbranch_execz .LBB62_35
.LBB62_29:                              ; =>This Loop Header: Depth=1
                                        ;     Child Loop BB62_31 Depth 2
	s_and_b64 vcc, exec, s[2:3]
	v_mov_b64_e32 v[6:7], s[20:21]
	v_mov_b64_e32 v[8:9], s[10:11]
	s_cbranch_vccnz .LBB62_33
; %bb.30:                               ;   in Loop: Header=BB62_29 Depth=1
	s_mov_b64 s[38:39], 0
	v_mov_b64_e32 v[6:7], s[20:21]
	v_mov_b64_e32 v[8:9], s[10:11]
.LBB62_31:                              ;   Parent Loop BB62_29 Depth=1
                                        ; =>  This Inner Loop Header: Depth=2
	v_lshl_add_u64 v[10:11], v[8:9], 0, v[6:7]
	v_lshrrev_b32_e32 v4, 31, v11
	v_lshl_add_u64 v[10:11], v[10:11], 0, v[4:5]
	v_ashrrev_i64 v[10:11], 1, v[10:11]
	v_lshl_add_u64 v[12:13], v[10:11], 3, s[12:13]
	global_load_dwordx2 v[12:13], v[12:13], off
	s_waitcnt vmcnt(0)
	v_subrev_co_u32_e32 v12, vcc, s28, v12
	s_nop 1
	v_subbrev_co_u32_e32 v13, vcc, 0, v13, vcc
	v_cmp_lt_i64_e32 vcc, v[2:3], v[12:13]
	s_nop 1
	v_cndmask_b32_e32 v9, v9, v11, vcc
	v_cndmask_b32_e32 v8, v8, v10, vcc
	;; [unrolled: 1-line block ×4, first 2 shown]
	v_lshl_add_u64 v[10:11], v[8:9], 0, -1
	v_cmp_ge_i64_e32 vcc, v[6:7], v[8:9]
	v_cmp_eq_u64_e64 s[4:5], v[6:7], v[10:11]
	s_or_b64 s[4:5], vcc, s[4:5]
	s_and_b64 s[4:5], exec, s[4:5]
	s_or_b64 s[38:39], s[4:5], s[38:39]
	s_andn2_b64 exec, exec, s[38:39]
	s_cbranch_execnz .LBB62_31
; %bb.32:                               ;   in Loop: Header=BB62_29 Depth=1
	s_or_b64 exec, exec, s[38:39]
.LBB62_33:                              ;   in Loop: Header=BB62_29 Depth=1
	v_lshl_add_u64 v[10:11], v[8:9], 3, s[12:13]
	global_load_dwordx2 v[10:11], v[10:11], off
	v_lshl_add_u64 v[12:13], v[2:3], 3, s[14:15]
	global_load_dwordx2 v[12:13], v[12:13], off
	s_waitcnt vmcnt(1)
	v_subrev_co_u32_e32 v10, vcc, s28, v10
	s_nop 1
	v_subbrev_co_u32_e32 v11, vcc, 0, v11, vcc
	v_cmp_lt_i64_e32 vcc, v[2:3], v[10:11]
	s_nop 1
	v_cndmask_b32_e32 v9, v9, v7, vcc
	v_cndmask_b32_e32 v8, v8, v6, vcc
	s_waitcnt vmcnt(0)
	v_subrev_co_u32_e32 v6, vcc, s28, v12
	s_nop 1
	v_subbrev_co_u32_e32 v7, vcc, 0, v13, vcc
	v_cmp_ne_u64_e32 vcc, v[6:7], v[8:9]
	s_and_saveexec_b64 s[4:5], vcc
	s_cbranch_execz .LBB62_28
; %bb.34:                               ;   in Loop: Header=BB62_29 Depth=1
	v_lshl_add_u64 v[10:11], s[16:17], 0, v[2:3]
	global_load_sbyte v1, v[10:11], off
	v_lshl_add_u64 v[8:9], s[18:19], 0, v[8:9]
	global_load_sbyte v4, v[8:9], off
	v_lshl_add_u64 v[6:7], v[6:7], 2, s[24:25]
	s_waitcnt vmcnt(1)
	v_cvt_f32_i32_e32 v1, v1
	s_waitcnt vmcnt(0)
	v_cvt_f32_i32_e32 v4, v4
	v_mul_f32_e32 v1, s36, v1
	v_mul_f32_e32 v1, v1, v4
	global_atomic_add_f32 v[6:7], v1, off
	s_branch .LBB62_28
.LBB62_35:
	s_or_b64 exec, exec, s[8:9]
	s_mov_b64 s[2:3], 0
.LBB62_36:
	s_and_b64 vcc, exec, s[2:3]
	s_cbranch_vccz .LBB62_147
; %bb.37:
	s_load_dword s2, s[0:1], 0x6c
	s_mov_b32 s31, 0
	v_mov_b64_e32 v[2:3], s[26:27]
	s_mov_b64 s[34:35], 0
	s_waitcnt lgkmcnt(0)
	s_and_b32 s30, s2, 0xffff
	v_cmp_lt_u64_e32 vcc, s[30:31], v[2:3]
	s_cbranch_vccnz .LBB62_39
; %bb.38:
	v_cvt_f32_u32_e32 v1, s26
	s_sub_i32 s2, 0, s26
	v_rcp_iflag_f32_e32 v1, v1
	s_nop 0
	v_mul_f32_e32 v1, 0x4f7ffffe, v1
	v_cvt_u32_f32_e32 v1, v1
	s_nop 0
	v_readfirstlane_b32 s3, v1
	s_mul_i32 s2, s2, s3
	s_mul_hi_u32 s2, s3, s2
	s_add_i32 s3, s3, s2
	s_mul_hi_u32 s2, s30, s3
	s_mul_i32 s4, s2, s26
	s_sub_i32 s4, s30, s4
	s_add_i32 s3, s2, 1
	s_sub_i32 s5, s4, s26
	s_cmp_ge_u32 s4, s26
	s_cselect_b32 s2, s3, s2
	s_cselect_b32 s4, s5, s4
	s_add_i32 s3, s2, 1
	s_cmp_ge_u32 s4, s26
	s_cselect_b32 s34, s3, s2
.LBB62_39:
	s_load_dwordx4 s[4:7], s[0:1], 0x8
	s_lshl_b64 s[0:1], s[20:21], 3
	s_add_u32 s10, s12, s0
	s_addc_u32 s11, s13, s1
	s_load_dwordx2 s[8:9], s[10:11], 0x0
	v_subrev_co_u32_e32 v2, vcc, s28, v0
	v_mov_b32_e32 v1, 0
	s_nop 0
	v_subb_co_u32_e64 v3, s[0:1], 0, 0, vcc
	s_waitcnt lgkmcnt(0)
	v_lshl_add_u64 v[10:11], s[8:9], 0, v[2:3]
	s_mov_b64 s[0:1], 0x300
	v_lshl_add_u64 v[8:9], v[10:11], 0, s[0:1]
	v_cmp_le_i64_e32 vcc, s[4:5], v[8:9]
	s_and_saveexec_b64 s[0:1], vcc
	s_xor_b64 s[2:3], exec, s[0:1]
	s_cbranch_execnz .LBB62_42
; %bb.40:
	s_andn2_saveexec_b64 s[0:1], s[2:3]
	s_cbranch_execnz .LBB62_51
.LBB62_41:
	s_or_b64 exec, exec, s[0:1]
	v_cmp_gt_i64_e64 s[0:1], s[6:7], v[0:1]
	s_and_saveexec_b64 s[2:3], s[0:1]
	s_cbranch_execnz .LBB62_52
	s_branch .LBB62_59
.LBB62_42:
	s_lshl_b64 s[0:1], s[22:23], 3
	s_add_u32 s0, s12, s0
	s_addc_u32 s1, s13, s1
	s_load_dwordx2 s[40:41], s[0:1], 0x0
	s_waitcnt lgkmcnt(0)
	s_sub_u32 s4, s40, s8
	s_subb_u32 s5, s41, s9
	v_cmp_gt_i64_e64 s[0:1], s[4:5], v[0:1]
	s_and_saveexec_b64 s[38:39], s[0:1]
	s_cbranch_execz .LBB62_50
; %bb.43:
	s_not_b64 s[0:1], s[8:9]
	s_add_u32 s0, s40, s0
	s_addc_u32 s1, s41, s1
	v_mov_b32_e32 v3, s1
	v_sub_co_u32_e64 v2, s[0:1], s0, v0
	s_mov_b64 s[42:43], -1
	s_nop 0
	v_subbrev_co_u32_e64 v3, s[0:1], 0, v3, s[0:1]
	s_mov_b64 s[0:1], 0xff
	s_nop 0
	v_cmp_lt_u64_e64 s[0:1], s[0:1], v[2:3]
	v_mov_b64_e32 v[6:7], 0
	s_and_saveexec_b64 s[40:41], s[0:1]
	s_cbranch_execz .LBB62_47
; %bb.44:
	v_lshl_add_u64 v[6:7], s[8:9], 0, v[0:1]
	v_lshrrev_b64 v[2:3], 8, v[2:3]
	v_subrev_co_u32_e64 v6, s[0:1], s28, v6
	v_lshl_add_u64 v[2:3], v[2:3], 0, 1
	s_nop 0
	v_subbrev_co_u32_e64 v7, s[0:1], 0, v7, s[0:1]
	v_and_b32_e32 v4, -2, v2
	v_mov_b32_e32 v5, v3
	v_lshl_add_u64 v[6:7], s[16:17], 0, v[6:7]
	s_mov_b64 s[42:43], 0x100
	s_mov_b32 s37, s36
	v_lshl_add_u64 v[6:7], v[6:7], 0, s[42:43]
	s_mov_b64 s[44:45], 0
	s_mov_b64 s[46:47], 0x200
	v_mov_b64_e32 v[12:13], v[4:5]
	s_mov_b64 s[48:49], 0
.LBB62_45:                              ; =>This Inner Loop Header: Depth=1
	global_load_sbyte v14, v[6:7], off
	global_load_sbyte v16, v[6:7], off offset:-256
	v_lshl_add_u32 v17, s48, 2, v18
	s_add_u32 s48, s48, 0x200
	s_addc_u32 s49, s49, 0
	v_lshl_add_u32 v19, s42, 2, v18
	v_lshl_add_u64 v[12:13], v[12:13], 0, -2
	s_add_u32 s42, s42, 0x200
	v_cmp_eq_u64_e64 s[0:1], 0, v[12:13]
	s_addc_u32 s43, s43, 0
	v_lshl_add_u64 v[6:7], v[6:7], 0, s[46:47]
	s_or_b64 s[44:45], s[0:1], s[44:45]
	s_waitcnt vmcnt(1)
	v_cvt_f32_i32_e32 v15, v14
	s_waitcnt vmcnt(0)
	v_cvt_f32_i32_e32 v14, v16
	v_pk_mul_f32 v[14:15], s[36:37], v[14:15]
	ds_write_b32 v17, v14
	ds_write_b32 v19, v15
	s_andn2_b64 exec, exec, s[44:45]
	s_cbranch_execnz .LBB62_45
; %bb.46:
	s_or_b64 exec, exec, s[44:45]
	v_cmp_ne_u64_e64 s[0:1], v[2:3], v[4:5]
	v_lshlrev_b64 v[6:7], 8, v[4:5]
	s_orn2_b64 s[42:43], s[0:1], exec
.LBB62_47:
	s_or_b64 exec, exec, s[40:41]
	s_and_b64 exec, exec, s[42:43]
	s_cbranch_execz .LBB62_50
; %bb.48:
	s_sub_u32 s0, s8, s28
	s_subb_u32 s1, s9, 0
	s_add_u32 s40, s16, s0
	v_lshlrev_b32_e32 v4, 2, v6
	s_addc_u32 s41, s17, s1
	v_lshl_add_u64 v[2:3], v[6:7], 0, v[0:1]
	v_lshl_add_u32 v4, v0, 2, v4
	s_mov_b64 s[42:43], 0
	s_mov_b64 s[44:45], 0x100
.LBB62_49:                              ; =>This Inner Loop Header: Depth=1
	v_lshl_add_u64 v[6:7], s[40:41], 0, v[2:3]
	global_load_sbyte v5, v[6:7], off
	v_lshl_add_u64 v[2:3], v[2:3], 0, s[44:45]
	v_cmp_le_i64_e64 s[0:1], s[4:5], v[2:3]
	s_or_b64 s[42:43], s[0:1], s[42:43]
	s_waitcnt vmcnt(0)
	v_cvt_f32_i32_e32 v5, v5
	v_mul_f32_e32 v5, s36, v5
	ds_write_b32 v4, v5
	v_add_u32_e32 v4, 0x400, v4
	s_andn2_b64 exec, exec, s[42:43]
	s_cbranch_execnz .LBB62_49
.LBB62_50:
	s_or_b64 exec, exec, s[38:39]
	s_andn2_saveexec_b64 s[0:1], s[2:3]
	s_cbranch_execz .LBB62_41
.LBB62_51:
	v_lshl_add_u64 v[2:3], s[16:17], 0, v[10:11]
	global_load_sbyte v4, v[2:3], off
	global_load_sbyte v5, v[2:3], off offset:256
	global_load_sbyte v6, v[2:3], off offset:512
	;; [unrolled: 1-line block ×3, first 2 shown]
	s_waitcnt vmcnt(3)
	v_cvt_f32_i32_e32 v2, v4
	s_waitcnt vmcnt(2)
	v_cvt_f32_i32_e32 v3, v5
	;; [unrolled: 2-line block ×4, first 2 shown]
	v_mul_f32_e32 v2, s36, v2
	v_mul_f32_e32 v3, s36, v3
	;; [unrolled: 1-line block ×4, first 2 shown]
	ds_write2st64_b32 v18, v2, v3 offset1:4
	ds_write2st64_b32 v18, v4, v5 offset0:8 offset1:12
	s_or_b64 exec, exec, s[0:1]
	v_cmp_gt_i64_e64 s[0:1], s[6:7], v[0:1]
	s_and_saveexec_b64 s[2:3], s[0:1]
	s_cbranch_execz .LBB62_59
.LBB62_52:
	v_mov_b32_e32 v3, -1
	v_not_b32_e32 v2, v0
	v_lshl_add_u64 v[4:5], s[6:7], 0, v[2:3]
	s_mov_b64 s[0:1], 0xff
	v_cmp_lt_u64_e64 s[0:1], s[0:1], v[4:5]
	s_mov_b64 s[16:17], -1
	v_mov_b64_e32 v[2:3], v[0:1]
	s_and_saveexec_b64 s[4:5], s[0:1]
	s_cbranch_execz .LBB62_56
; %bb.53:
	v_lshrrev_b64 v[2:3], 8, v[4:5]
	v_lshl_add_u64 v[12:13], v[2:3], 0, 1
	v_mov_b32_e32 v3, 0
	v_or_b32_e32 v4, 0x100, v0
	v_mov_b32_e32 v5, v3
	v_and_b32_e32 v14, -2, v12
	v_mov_b32_e32 v15, v13
	v_mov_b32_e32 v2, v0
	v_mov_b64_e32 v[6:7], v[4:5]
	s_mov_b64 s[16:17], 0
	v_mov_b32_e32 v19, 0x1000
	s_mov_b64 s[36:37], 0x200
	v_mov_b64_e32 v[16:17], v[14:15]
	v_mov_b64_e32 v[4:5], v[2:3]
.LBB62_54:                              ; =>This Inner Loop Header: Depth=1
	v_lshl_add_u64 v[16:17], v[16:17], 0, -2
	v_cmp_eq_u64_e64 s[0:1], 0, v[16:17]
	v_lshl_add_u32 v2, v4, 2, v19
	v_lshl_add_u32 v20, v6, 2, v19
	v_lshl_add_u64 v[6:7], v[6:7], 0, s[36:37]
	v_lshl_add_u64 v[4:5], v[4:5], 0, s[36:37]
	s_or_b64 s[16:17], s[0:1], s[16:17]
	ds_write_b32 v2, v3
	ds_write_b32 v20, v3
	s_andn2_b64 exec, exec, s[16:17]
	s_cbranch_execnz .LBB62_54
; %bb.55:
	s_or_b64 exec, exec, s[16:17]
	v_lshlrev_b64 v[2:3], 8, v[14:15]
	v_cmp_ne_u64_e64 s[0:1], v[12:13], v[14:15]
	v_or_b32_e32 v2, v2, v0
	s_orn2_b64 s[16:17], s[0:1], exec
.LBB62_56:
	s_or_b64 exec, exec, s[4:5]
	s_and_b64 exec, exec, s[16:17]
	s_cbranch_execz .LBB62_59
; %bb.57:
	v_mov_b32_e32 v4, 0x1000
	v_lshl_add_u32 v4, v2, 2, v4
	s_mov_b64 s[4:5], 0
	v_mov_b32_e32 v5, 0
	s_mov_b64 s[16:17], 0x100
.LBB62_58:                              ; =>This Inner Loop Header: Depth=1
	v_lshl_add_u64 v[2:3], v[2:3], 0, s[16:17]
	v_cmp_le_i64_e64 s[0:1], s[6:7], v[2:3]
	ds_write_b32 v4, v5
	s_or_b64 s[4:5], s[0:1], s[4:5]
	v_add_u32_e32 v4, 0x400, v4
	s_andn2_b64 exec, exec, s[4:5]
	s_cbranch_execnz .LBB62_58
.LBB62_59:
	s_or_b64 exec, exec, s[2:3]
	s_sub_u32 s2, s22, s6
	v_mov_b64_e32 v[2:3], s[6:7]
	s_subb_u32 s3, s23, s7
	v_cmp_ge_i64_e64 s[0:1], s[22:23], v[2:3]
	s_and_b64 s[0:1], s[0:1], exec
	s_cselect_b32 s5, s3, 0
	s_cselect_b32 s4, s2, 0
	s_waitcnt lgkmcnt(0)
	s_barrier
	s_and_saveexec_b64 s[0:1], vcc
	s_xor_b64 s[16:17], exec, s[0:1]
	s_cbranch_execz .LBB62_76
; %bb.60:
	s_lshl_b64 s[0:1], s[22:23], 3
	s_add_u32 s0, s12, s0
	s_addc_u32 s1, s13, s1
	s_load_dwordx2 s[0:1], s[0:1], 0x0
	s_waitcnt lgkmcnt(0)
	s_sub_u32 s36, s0, s8
	s_subb_u32 s37, s1, s9
	v_cmp_gt_i64_e32 vcc, s[36:37], v[0:1]
	s_and_saveexec_b64 s[38:39], vcc
	s_cbranch_execz .LBB62_75
; %bb.61:
	s_add_u32 s40, s22, -1
	s_addc_u32 s41, s23, -1
	s_add_u32 s2, s22, -2
	s_addc_u32 s3, s23, -1
	s_cmp_lg_u64 s[20:21], s[2:3]
	s_cselect_b64 s[2:3], -1, 0
	s_sub_u32 s42, s0, s28
	v_cndmask_b32_e64 v2, 0, 1, s[2:3]
	s_subb_u32 s43, s1, 0
	s_mov_b64 s[44:45], 0
	v_cmp_ne_u32_e64 s[0:1], 1, v2
	v_mov_b32_e32 v3, 0
	v_mov_b32_e32 v16, 0x1000
	s_mov_b64 s[46:47], 0
	s_branch .LBB62_64
.LBB62_62:                              ;   in Loop: Header=BB62_64 Depth=1
	s_or_b64 exec, exec, s[2:3]
.LBB62_63:                              ;   in Loop: Header=BB62_64 Depth=1
	s_or_b64 exec, exec, s[48:49]
	v_lshl_add_u64 v[6:7], s[18:19], 0, v[6:7]
	global_load_sbyte v5, v[6:7], off
	s_add_u32 s46, s46, 0x100
	s_addc_u32 s47, s47, 0
	v_lshlrev_b32_e32 v6, 2, v4
	s_waitcnt vmcnt(0)
	v_cvt_f32_i32_e32 v7, v5
	v_lshl_add_u64 v[4:5], s[46:47], 0, v[0:1]
	v_cmp_le_i64_e32 vcc, s[36:37], v[4:5]
	s_or_b64 s[44:45], vcc, s[44:45]
	s_waitcnt lgkmcnt(0)
	v_mul_f32_e32 v2, v2, v7
	ds_write_b32 v6, v2
	s_andn2_b64 exec, exec, s[44:45]
	s_cbranch_execz .LBB62_75
.LBB62_64:                              ; =>This Loop Header: Depth=1
                                        ;     Child Loop BB62_66 Depth 2
	v_lshl_add_u64 v[8:9], s[46:47], 0, v[10:11]
	s_and_b64 vcc, exec, s[0:1]
	v_mov_b64_e32 v[12:13], s[20:21]
	v_mov_b64_e32 v[14:15], s[40:41]
	s_cbranch_vccnz .LBB62_68
; %bb.65:                               ;   in Loop: Header=BB62_64 Depth=1
	s_mov_b64 s[48:49], 0
	v_mov_b64_e32 v[12:13], s[20:21]
	v_mov_b64_e32 v[14:15], s[40:41]
.LBB62_66:                              ;   Parent Loop BB62_64 Depth=1
                                        ; =>  This Inner Loop Header: Depth=2
	v_lshl_add_u64 v[4:5], v[14:15], 0, v[12:13]
	v_lshrrev_b32_e32 v2, 31, v5
	v_lshl_add_u64 v[4:5], v[4:5], 0, v[2:3]
	v_ashrrev_i64 v[4:5], 1, v[4:5]
	v_lshl_add_u64 v[6:7], v[4:5], 3, s[12:13]
	global_load_dwordx2 v[6:7], v[6:7], off
	s_waitcnt vmcnt(0)
	v_subrev_co_u32_e32 v6, vcc, s28, v6
	s_nop 1
	v_subbrev_co_u32_e32 v7, vcc, 0, v7, vcc
	v_cmp_lt_i64_e32 vcc, v[8:9], v[6:7]
	s_nop 1
	v_cndmask_b32_e32 v15, v15, v5, vcc
	v_cndmask_b32_e32 v14, v14, v4, vcc
	;; [unrolled: 1-line block ×4, first 2 shown]
	v_lshl_add_u64 v[4:5], v[14:15], 0, -1
	v_cmp_ge_i64_e32 vcc, v[12:13], v[14:15]
	v_cmp_eq_u64_e64 s[2:3], v[12:13], v[4:5]
	s_or_b64 s[2:3], vcc, s[2:3]
	s_and_b64 s[2:3], exec, s[2:3]
	s_or_b64 s[48:49], s[2:3], s[48:49]
	s_andn2_b64 exec, exec, s[48:49]
	s_cbranch_execnz .LBB62_66
; %bb.67:                               ;   in Loop: Header=BB62_64 Depth=1
	s_or_b64 exec, exec, s[48:49]
.LBB62_68:                              ;   in Loop: Header=BB62_64 Depth=1
	v_lshl_add_u64 v[4:5], v[14:15], 3, s[12:13]
	global_load_dwordx2 v[6:7], v[4:5], off
	v_lshl_add_u64 v[4:5], v[8:9], 3, s[14:15]
	global_load_dwordx2 v[20:21], v[4:5], off
	v_cmp_le_i64_e32 vcc, s[42:43], v[8:9]
	v_lshl_add_u64 v[4:5], s[46:47], 0, v[0:1]
	v_lshlrev_b32_e32 v5, 2, v4
                                        ; implicit-def: $vgpr2
	s_waitcnt vmcnt(1)
	v_subrev_co_u32_e64 v22, s[2:3], s28, v6
	s_nop 1
	v_subbrev_co_u32_e64 v23, s[2:3], 0, v7, s[2:3]
	s_waitcnt vmcnt(0)
	v_subrev_co_u32_e64 v6, s[2:3], s28, v20
	s_nop 1
	v_subbrev_co_u32_e64 v7, s[2:3], 0, v21, s[2:3]
	v_cmp_lt_i64_e64 s[2:3], v[8:9], v[22:23]
	s_nop 1
	v_cndmask_b32_e64 v9, v15, v13, s[2:3]
	v_cndmask_b32_e64 v8, v14, v12, s[2:3]
	v_cmp_eq_u64_e64 s[2:3], v[6:7], v[8:9]
	s_or_b64 s[2:3], s[2:3], vcc
	s_and_saveexec_b64 s[48:49], s[2:3]
	s_xor_b64 s[2:3], exec, s[48:49]
; %bb.69:                               ;   in Loop: Header=BB62_64 Depth=1
	ds_read_b32 v2, v5
                                        ; implicit-def: $vgpr5
                                        ; implicit-def: $vgpr8_vgpr9
; %bb.70:                               ;   in Loop: Header=BB62_64 Depth=1
	s_andn2_saveexec_b64 s[48:49], s[2:3]
	s_cbranch_execz .LBB62_63
; %bb.71:                               ;   in Loop: Header=BB62_64 Depth=1
	v_cmp_gt_i64_e32 vcc, s[4:5], v[6:7]
	v_cmp_le_i64_e64 s[2:3], s[22:23], v[6:7]
	s_or_b64 s[2:3], vcc, s[2:3]
	v_lshl_add_u64 v[8:9], s[18:19], 0, v[8:9]
                                        ; implicit-def: $vgpr2
	s_and_saveexec_b64 s[50:51], s[2:3]
	s_xor_b64 s[2:3], exec, s[50:51]
	s_cbranch_execz .LBB62_73
; %bb.72:                               ;   in Loop: Header=BB62_64 Depth=1
	global_load_sbyte v8, v[8:9], off
	s_waitcnt lgkmcnt(0)
	ds_read_b32 v2, v5
	s_waitcnt vmcnt(0)
	v_cvt_f32_i32_e32 v5, v8
	v_lshl_add_u64 v[8:9], v[6:7], 2, s[24:25]
	s_waitcnt lgkmcnt(0)
	v_mul_f32_e32 v5, v2, v5
	global_atomic_add_f32 v[8:9], v5, off
                                        ; implicit-def: $vgpr5
                                        ; implicit-def: $vgpr8_vgpr9
.LBB62_73:                              ;   in Loop: Header=BB62_64 Depth=1
	s_andn2_saveexec_b64 s[2:3], s[2:3]
	s_cbranch_execz .LBB62_62
; %bb.74:                               ;   in Loop: Header=BB62_64 Depth=1
	global_load_sbyte v8, v[8:9], off
	s_waitcnt lgkmcnt(0)
	ds_read_b32 v2, v5
	s_waitcnt vmcnt(0)
	v_cvt_f32_i32_e32 v5, v8
	v_subrev_u32_e32 v8, s4, v6
	v_lshl_add_u32 v8, v8, 2, v16
	s_waitcnt lgkmcnt(0)
	v_mul_f32_e32 v5, v2, v5
	ds_add_f32 v8, v5
	s_branch .LBB62_62
.LBB62_75:
	s_or_b64 exec, exec, s[38:39]
                                        ; implicit-def: $vgpr8_vgpr9
                                        ; implicit-def: $vgpr10_vgpr11
.LBB62_76:
	s_andn2_saveexec_b64 s[16:17], s[16:17]
	s_cbranch_execz .LBB62_118
; %bb.77:
	s_add_u32 s36, s22, -1
	s_addc_u32 s37, s23, -1
	s_add_u32 s0, s22, -2
	s_addc_u32 s1, s23, -1
	s_cmp_lg_u64 s[20:21], s[0:1]
	s_cselect_b64 s[2:3], -1, 0
	s_cmp_eq_u64 s[20:21], s[0:1]
	v_mov_b64_e32 v[4:5], s[20:21]
	v_mov_b64_e32 v[6:7], s[36:37]
	s_cbranch_scc1 .LBB62_81
; %bb.78:
	s_mov_b64 s[38:39], 0
	v_mov_b64_e32 v[4:5], s[20:21]
	v_mov_b64_e32 v[6:7], s[36:37]
	v_mov_b32_e32 v3, 0
.LBB62_79:                              ; =>This Inner Loop Header: Depth=1
	v_lshl_add_u64 v[12:13], v[6:7], 0, v[4:5]
	v_lshrrev_b32_e32 v2, 31, v13
	v_lshl_add_u64 v[12:13], v[12:13], 0, v[2:3]
	v_ashrrev_i64 v[12:13], 1, v[12:13]
	v_lshl_add_u64 v[14:15], v[12:13], 3, s[12:13]
	global_load_dwordx2 v[14:15], v[14:15], off
	s_waitcnt vmcnt(0)
	v_subrev_co_u32_e32 v14, vcc, s28, v14
	s_nop 1
	v_subbrev_co_u32_e32 v15, vcc, 0, v15, vcc
	v_cmp_lt_i64_e32 vcc, v[10:11], v[14:15]
	s_nop 1
	v_cndmask_b32_e32 v7, v7, v13, vcc
	v_cndmask_b32_e32 v6, v6, v12, vcc
	v_cndmask_b32_e32 v5, v13, v5, vcc
	v_cndmask_b32_e32 v4, v12, v4, vcc
	v_lshl_add_u64 v[12:13], v[6:7], 0, -1
	v_cmp_ge_i64_e32 vcc, v[4:5], v[6:7]
	v_cmp_eq_u64_e64 s[0:1], v[4:5], v[12:13]
	s_or_b64 s[0:1], vcc, s[0:1]
	s_and_b64 s[0:1], exec, s[0:1]
	s_or_b64 s[38:39], s[0:1], s[38:39]
	s_andn2_b64 exec, exec, s[38:39]
	s_cbranch_execnz .LBB62_79
; %bb.80:
	s_or_b64 exec, exec, s[38:39]
.LBB62_81:
	v_lshl_add_u64 v[2:3], v[6:7], 3, s[12:13]
	global_load_dwordx2 v[12:13], v[2:3], off
	v_lshl_add_u64 v[2:3], v[10:11], 3, s[14:15]
	global_load_dwordx2 v[14:15], v[2:3], off
	s_lshl_b64 s[0:1], s[22:23], 3
	s_add_u32 s14, s12, s0
	s_addc_u32 s15, s13, s1
	s_waitcnt vmcnt(1)
	v_subrev_co_u32_e32 v12, vcc, s28, v12
	s_nop 1
	v_subbrev_co_u32_e32 v13, vcc, 0, v13, vcc
	v_cmp_lt_i64_e32 vcc, v[10:11], v[12:13]
	s_nop 1
	v_cndmask_b32_e32 v7, v7, v5, vcc
	v_cndmask_b32_e32 v6, v6, v4, vcc
	s_waitcnt vmcnt(0)
	v_subrev_co_u32_e32 v4, vcc, s28, v14
	s_nop 1
	v_subbrev_co_u32_e32 v5, vcc, 0, v15, vcc
	v_cmp_ne_u64_e32 vcc, v[4:5], v[6:7]
	s_and_saveexec_b64 s[38:39], vcc
	s_cbranch_execz .LBB62_87
; %bb.82:
	s_load_dwordx2 s[0:1], s[14:15], 0x0
	s_waitcnt lgkmcnt(0)
	s_sub_u32 s0, s0, s28
	s_subb_u32 s1, s1, 0
	v_cmp_gt_i64_e32 vcc, s[0:1], v[10:11]
	s_and_b64 exec, exec, vcc
	s_cbranch_execz .LBB62_87
; %bb.83:
	v_cmp_gt_i64_e32 vcc, s[4:5], v[4:5]
	v_cmp_le_i64_e64 s[0:1], s[22:23], v[4:5]
	s_or_b64 s[0:1], vcc, s[0:1]
	v_lshl_add_u64 v[6:7], s[18:19], 0, v[6:7]
	s_and_saveexec_b64 s[40:41], s[0:1]
	s_xor_b64 s[0:1], exec, s[40:41]
	s_cbranch_execz .LBB62_85
; %bb.84:
	global_load_sbyte v6, v[6:7], off
	ds_read_b32 v12, v18
	s_waitcnt vmcnt(0)
	v_cvt_f32_i32_e32 v13, v6
	v_lshl_add_u64 v[6:7], v[4:5], 2, s[24:25]
	s_waitcnt lgkmcnt(0)
	v_mul_f32_e32 v12, v12, v13
	global_atomic_add_f32 v[6:7], v12, off
                                        ; implicit-def: $vgpr6_vgpr7
.LBB62_85:
	s_andn2_saveexec_b64 s[0:1], s[0:1]
	s_cbranch_execz .LBB62_87
; %bb.86:
	global_load_sbyte v6, v[6:7], off
	ds_read_b32 v7, v18
	v_subrev_u32_e32 v12, s4, v4
	v_mov_b32_e32 v13, 0x1000
	v_lshl_add_u32 v12, v12, 2, v13
	s_waitcnt vmcnt(0)
	v_cvt_f32_i32_e32 v6, v6
	s_waitcnt lgkmcnt(0)
	v_mul_f32_e32 v6, v7, v6
	ds_add_f32 v12, v6
.LBB62_87:
	s_or_b64 exec, exec, s[38:39]
	v_lshl_add_u64 v[4:5], s[18:19], 0, v[4:5]
	global_load_sbyte v4, v[4:5], off
	ds_read_b32 v12, v18
	s_mov_b64 s[0:1], 0x100
	v_cndmask_b32_e64 v13, 0, 1, s[2:3]
	v_mov_b64_e32 v[6:7], s[20:21]
	s_andn2_b64 vcc, exec, s[2:3]
	s_waitcnt vmcnt(0)
	v_cvt_f32_i32_e32 v14, v4
	v_lshl_add_u64 v[4:5], v[10:11], 0, s[0:1]
	v_cmp_ne_u32_e64 s[0:1], 1, v13
	s_waitcnt lgkmcnt(0)
	v_mul_f32_e32 v12, v12, v14
	ds_write_b32 v18, v12
	v_mov_b64_e32 v[12:13], s[36:37]
	s_cbranch_vccnz .LBB62_91
; %bb.88:
	s_mov_b64 s[38:39], 0
	v_mov_b64_e32 v[6:7], s[20:21]
	v_mov_b64_e32 v[12:13], s[36:37]
	v_mov_b32_e32 v15, 0
.LBB62_89:                              ; =>This Inner Loop Header: Depth=1
	v_lshl_add_u64 v[16:17], v[12:13], 0, v[6:7]
	v_lshrrev_b32_e32 v14, 31, v17
	v_lshl_add_u64 v[16:17], v[16:17], 0, v[14:15]
	v_ashrrev_i64 v[16:17], 1, v[16:17]
	v_lshl_add_u64 v[20:21], v[16:17], 3, s[12:13]
	global_load_dwordx2 v[20:21], v[20:21], off
	s_waitcnt vmcnt(0)
	v_subrev_co_u32_e32 v20, vcc, s28, v20
	s_nop 1
	v_subbrev_co_u32_e32 v21, vcc, 0, v21, vcc
	v_cmp_lt_i64_e32 vcc, v[4:5], v[20:21]
	s_nop 1
	v_cndmask_b32_e32 v13, v13, v17, vcc
	v_cndmask_b32_e32 v12, v12, v16, vcc
	;; [unrolled: 1-line block ×4, first 2 shown]
	v_lshl_add_u64 v[16:17], v[12:13], 0, -1
	v_cmp_ge_i64_e32 vcc, v[6:7], v[12:13]
	v_cmp_eq_u64_e64 s[2:3], v[6:7], v[16:17]
	s_or_b64 s[2:3], vcc, s[2:3]
	s_and_b64 s[2:3], exec, s[2:3]
	s_or_b64 s[38:39], s[2:3], s[38:39]
	s_andn2_b64 exec, exec, s[38:39]
	s_cbranch_execnz .LBB62_89
; %bb.90:
	s_or_b64 exec, exec, s[38:39]
.LBB62_91:
	v_lshl_add_u64 v[14:15], v[12:13], 3, s[12:13]
	global_load_dwordx2 v[16:17], v[14:15], off
	global_load_dwordx2 v[20:21], v[2:3], off offset:2048
	s_waitcnt vmcnt(1)
	v_subrev_co_u32_e32 v14, vcc, s28, v16
	s_nop 1
	v_subbrev_co_u32_e32 v15, vcc, 0, v17, vcc
	v_cmp_lt_i64_e32 vcc, v[4:5], v[14:15]
	s_nop 1
	v_cndmask_b32_e32 v13, v13, v7, vcc
	v_cndmask_b32_e32 v12, v12, v6, vcc
	s_waitcnt vmcnt(0)
	v_subrev_co_u32_e32 v6, vcc, s28, v20
	s_nop 1
	v_subbrev_co_u32_e32 v7, vcc, 0, v21, vcc
	v_cmp_ne_u64_e32 vcc, v[6:7], v[12:13]
	s_and_saveexec_b64 s[38:39], vcc
	s_cbranch_execz .LBB62_97
; %bb.92:
	s_load_dwordx2 s[2:3], s[14:15], 0x0
	s_waitcnt lgkmcnt(0)
	s_sub_u32 s2, s2, s28
	s_subb_u32 s3, s3, 0
	v_cmp_gt_i64_e32 vcc, s[2:3], v[4:5]
	s_and_b64 exec, exec, vcc
	s_cbranch_execz .LBB62_97
; %bb.93:
	v_cmp_gt_i64_e32 vcc, s[4:5], v[6:7]
	v_cmp_le_i64_e64 s[2:3], s[22:23], v[6:7]
	s_or_b64 s[2:3], vcc, s[2:3]
	v_lshl_add_u64 v[4:5], s[18:19], 0, v[12:13]
	s_and_saveexec_b64 s[40:41], s[2:3]
	s_xor_b64 s[2:3], exec, s[40:41]
	s_cbranch_execz .LBB62_95
; %bb.94:
	global_load_sbyte v4, v[4:5], off
	ds_read_b32 v12, v18 offset:1024
	s_waitcnt vmcnt(0)
	v_cvt_f32_i32_e32 v13, v4
	v_lshl_add_u64 v[4:5], v[6:7], 2, s[24:25]
	s_waitcnt lgkmcnt(0)
	v_mul_f32_e32 v12, v12, v13
	global_atomic_add_f32 v[4:5], v12, off
                                        ; implicit-def: $vgpr4_vgpr5
.LBB62_95:
	s_andn2_saveexec_b64 s[2:3], s[2:3]
	s_cbranch_execz .LBB62_97
; %bb.96:
	global_load_sbyte v4, v[4:5], off
	ds_read_b32 v5, v18 offset:1024
	v_subrev_u32_e32 v12, s4, v6
	v_mov_b32_e32 v13, 0x1000
	v_lshl_add_u32 v12, v12, 2, v13
	s_waitcnt vmcnt(0)
	v_cvt_f32_i32_e32 v4, v4
	s_waitcnt lgkmcnt(0)
	v_mul_f32_e32 v4, v5, v4
	ds_add_f32 v12, v4
.LBB62_97:
	s_or_b64 exec, exec, s[38:39]
	v_lshl_add_u64 v[4:5], s[18:19], 0, v[6:7]
	global_load_sbyte v4, v[4:5], off
	ds_read_b32 v12, v18 offset:1024
	s_mov_b64 s[2:3], 0x200
	s_and_b64 vcc, exec, s[0:1]
	v_mov_b64_e32 v[6:7], s[20:21]
	s_waitcnt vmcnt(0)
	v_cvt_f32_i32_e32 v13, v4
	v_lshl_add_u64 v[4:5], v[10:11], 0, s[2:3]
	s_waitcnt lgkmcnt(0)
	v_mul_f32_e32 v10, v12, v13
	ds_write_b32 v18, v10 offset:1024
	v_mov_b64_e32 v[10:11], s[36:37]
	s_cbranch_vccnz .LBB62_101
; %bb.98:
	s_mov_b64 s[38:39], 0
	v_mov_b64_e32 v[6:7], s[20:21]
	v_mov_b64_e32 v[10:11], s[36:37]
	v_mov_b32_e32 v13, 0
.LBB62_99:                              ; =>This Inner Loop Header: Depth=1
	v_lshl_add_u64 v[14:15], v[10:11], 0, v[6:7]
	v_lshrrev_b32_e32 v12, 31, v15
	v_lshl_add_u64 v[14:15], v[14:15], 0, v[12:13]
	v_ashrrev_i64 v[14:15], 1, v[14:15]
	v_lshl_add_u64 v[16:17], v[14:15], 3, s[12:13]
	global_load_dwordx2 v[16:17], v[16:17], off
	s_waitcnt vmcnt(0)
	v_subrev_co_u32_e32 v16, vcc, s28, v16
	s_nop 1
	v_subbrev_co_u32_e32 v17, vcc, 0, v17, vcc
	v_cmp_lt_i64_e32 vcc, v[4:5], v[16:17]
	s_nop 1
	v_cndmask_b32_e32 v11, v11, v15, vcc
	v_cndmask_b32_e32 v10, v10, v14, vcc
	;; [unrolled: 1-line block ×4, first 2 shown]
	v_lshl_add_u64 v[14:15], v[10:11], 0, -1
	v_cmp_ge_i64_e32 vcc, v[6:7], v[10:11]
	v_cmp_eq_u64_e64 s[2:3], v[6:7], v[14:15]
	s_or_b64 s[2:3], vcc, s[2:3]
	s_and_b64 s[2:3], exec, s[2:3]
	s_or_b64 s[38:39], s[2:3], s[38:39]
	s_andn2_b64 exec, exec, s[38:39]
	s_cbranch_execnz .LBB62_99
; %bb.100:
	s_or_b64 exec, exec, s[38:39]
.LBB62_101:
	v_lshl_add_u64 v[12:13], v[10:11], 3, s[12:13]
	global_load_dwordx2 v[12:13], v[12:13], off
	v_add_co_u32_e32 v14, vcc, 0x1000, v2
	s_nop 1
	v_addc_co_u32_e32 v15, vcc, 0, v3, vcc
	global_load_dwordx2 v[14:15], v[14:15], off
	s_waitcnt vmcnt(1)
	v_subrev_co_u32_e32 v12, vcc, s28, v12
	s_nop 1
	v_subbrev_co_u32_e32 v13, vcc, 0, v13, vcc
	v_cmp_lt_i64_e32 vcc, v[4:5], v[12:13]
	s_nop 1
	v_cndmask_b32_e32 v11, v11, v7, vcc
	v_cndmask_b32_e32 v10, v10, v6, vcc
	s_waitcnt vmcnt(0)
	v_subrev_co_u32_e32 v6, vcc, s28, v14
	s_nop 1
	v_subbrev_co_u32_e32 v7, vcc, 0, v15, vcc
	v_cmp_ne_u64_e32 vcc, v[6:7], v[10:11]
	s_and_saveexec_b64 s[38:39], vcc
	s_cbranch_execz .LBB62_107
; %bb.102:
	s_load_dwordx2 s[2:3], s[14:15], 0x0
	s_waitcnt lgkmcnt(0)
	s_sub_u32 s2, s2, s28
	s_subb_u32 s3, s3, 0
	v_cmp_gt_i64_e32 vcc, s[2:3], v[4:5]
	s_and_b64 exec, exec, vcc
	s_cbranch_execz .LBB62_107
; %bb.103:
	v_cmp_gt_i64_e32 vcc, s[4:5], v[6:7]
	v_cmp_le_i64_e64 s[2:3], s[22:23], v[6:7]
	s_or_b64 s[2:3], vcc, s[2:3]
	v_lshl_add_u64 v[4:5], s[18:19], 0, v[10:11]
	s_and_saveexec_b64 s[40:41], s[2:3]
	s_xor_b64 s[2:3], exec, s[40:41]
	s_cbranch_execz .LBB62_105
; %bb.104:
	global_load_sbyte v4, v[4:5], off
	ds_read_b32 v10, v18 offset:2048
	s_waitcnt vmcnt(0)
	v_cvt_f32_i32_e32 v11, v4
	v_lshl_add_u64 v[4:5], v[6:7], 2, s[24:25]
	s_waitcnt lgkmcnt(0)
	v_mul_f32_e32 v10, v10, v11
	global_atomic_add_f32 v[4:5], v10, off
                                        ; implicit-def: $vgpr4_vgpr5
.LBB62_105:
	s_andn2_saveexec_b64 s[2:3], s[2:3]
	s_cbranch_execz .LBB62_107
; %bb.106:
	global_load_sbyte v4, v[4:5], off
	ds_read_b32 v5, v18 offset:2048
	v_subrev_u32_e32 v10, s4, v6
	v_mov_b32_e32 v11, 0x1000
	v_lshl_add_u32 v10, v10, 2, v11
	s_waitcnt vmcnt(0)
	v_cvt_f32_i32_e32 v4, v4
	s_waitcnt lgkmcnt(0)
	v_mul_f32_e32 v4, v5, v4
	ds_add_f32 v10, v4
.LBB62_107:
	s_or_b64 exec, exec, s[38:39]
	v_lshl_add_u64 v[4:5], s[18:19], 0, v[6:7]
	global_load_sbyte v4, v[4:5], off
	ds_read_b32 v6, v18 offset:2048
	s_and_b64 vcc, exec, s[0:1]
	s_waitcnt vmcnt(0)
	v_cvt_f32_i32_e32 v7, v4
	v_mov_b64_e32 v[4:5], s[20:21]
	s_waitcnt lgkmcnt(0)
	v_mul_f32_e32 v6, v6, v7
	ds_write_b32 v18, v6 offset:2048
	v_mov_b64_e32 v[6:7], s[36:37]
	s_cbranch_vccnz .LBB62_111
; %bb.108:
	s_mov_b64 s[2:3], 0
	v_mov_b64_e32 v[4:5], s[20:21]
	v_mov_b64_e32 v[6:7], s[36:37]
	v_mov_b32_e32 v11, 0
.LBB62_109:                             ; =>This Inner Loop Header: Depth=1
	v_lshl_add_u64 v[12:13], v[6:7], 0, v[4:5]
	v_lshrrev_b32_e32 v10, 31, v13
	v_lshl_add_u64 v[12:13], v[12:13], 0, v[10:11]
	v_ashrrev_i64 v[12:13], 1, v[12:13]
	v_lshl_add_u64 v[14:15], v[12:13], 3, s[12:13]
	global_load_dwordx2 v[14:15], v[14:15], off
	s_waitcnt vmcnt(0)
	v_subrev_co_u32_e32 v14, vcc, s28, v14
	s_nop 1
	v_subbrev_co_u32_e32 v15, vcc, 0, v15, vcc
	v_cmp_lt_i64_e32 vcc, v[8:9], v[14:15]
	s_nop 1
	v_cndmask_b32_e32 v7, v7, v13, vcc
	v_cndmask_b32_e32 v6, v6, v12, vcc
	;; [unrolled: 1-line block ×4, first 2 shown]
	v_lshl_add_u64 v[12:13], v[6:7], 0, -1
	v_cmp_ge_i64_e32 vcc, v[4:5], v[6:7]
	v_cmp_eq_u64_e64 s[0:1], v[4:5], v[12:13]
	s_or_b64 s[0:1], vcc, s[0:1]
	s_and_b64 s[0:1], exec, s[0:1]
	s_or_b64 s[2:3], s[0:1], s[2:3]
	s_andn2_b64 exec, exec, s[2:3]
	s_cbranch_execnz .LBB62_109
; %bb.110:
	s_or_b64 exec, exec, s[2:3]
.LBB62_111:
	v_lshl_add_u64 v[10:11], v[6:7], 3, s[12:13]
	global_load_dwordx2 v[10:11], v[10:11], off
	v_add_co_u32_e32 v2, vcc, 0x1000, v2
	s_nop 1
	v_addc_co_u32_e32 v3, vcc, 0, v3, vcc
	global_load_dwordx2 v[2:3], v[2:3], off offset:2048
	s_waitcnt vmcnt(1)
	v_subrev_co_u32_e32 v10, vcc, s28, v10
	s_nop 1
	v_subbrev_co_u32_e32 v11, vcc, 0, v11, vcc
	v_cmp_lt_i64_e32 vcc, v[8:9], v[10:11]
	s_nop 1
	v_cndmask_b32_e32 v5, v7, v5, vcc
	v_cndmask_b32_e32 v4, v6, v4, vcc
	s_waitcnt vmcnt(0)
	v_subrev_co_u32_e32 v2, vcc, s28, v2
	s_nop 1
	v_subbrev_co_u32_e32 v3, vcc, 0, v3, vcc
	v_cmp_ne_u64_e32 vcc, v[2:3], v[4:5]
	s_and_saveexec_b64 s[2:3], vcc
	s_cbranch_execz .LBB62_117
; %bb.112:
	s_load_dwordx2 s[0:1], s[14:15], 0x0
	s_waitcnt lgkmcnt(0)
	s_sub_u32 s0, s0, s28
	s_subb_u32 s1, s1, 0
	v_cmp_gt_i64_e32 vcc, s[0:1], v[8:9]
	s_and_b64 exec, exec, vcc
	s_cbranch_execz .LBB62_117
; %bb.113:
	v_cmp_gt_i64_e32 vcc, s[4:5], v[2:3]
	v_cmp_le_i64_e64 s[0:1], s[22:23], v[2:3]
	s_or_b64 s[0:1], vcc, s[0:1]
	v_lshl_add_u64 v[4:5], s[18:19], 0, v[4:5]
	s_and_saveexec_b64 s[14:15], s[0:1]
	s_xor_b64 s[0:1], exec, s[14:15]
	s_cbranch_execz .LBB62_115
; %bb.114:
	global_load_sbyte v4, v[4:5], off
	ds_read_b32 v6, v18 offset:3072
	s_waitcnt vmcnt(0)
	v_cvt_f32_i32_e32 v7, v4
	v_lshl_add_u64 v[4:5], v[2:3], 2, s[24:25]
	s_waitcnt lgkmcnt(0)
	v_mul_f32_e32 v6, v6, v7
	global_atomic_add_f32 v[4:5], v6, off
                                        ; implicit-def: $vgpr4_vgpr5
.LBB62_115:
	s_andn2_saveexec_b64 s[0:1], s[0:1]
	s_cbranch_execz .LBB62_117
; %bb.116:
	global_load_sbyte v4, v[4:5], off
	ds_read_b32 v5, v18 offset:3072
	v_subrev_u32_e32 v6, s4, v2
	v_mov_b32_e32 v7, 0x1000
	v_lshl_add_u32 v6, v6, 2, v7
	s_waitcnt vmcnt(0)
	v_cvt_f32_i32_e32 v4, v4
	s_waitcnt lgkmcnt(0)
	v_mul_f32_e32 v4, v5, v4
	ds_add_f32 v6, v4
.LBB62_117:
	s_or_b64 exec, exec, s[2:3]
	v_lshl_add_u64 v[2:3], s[18:19], 0, v[2:3]
	global_load_sbyte v2, v[2:3], off
	ds_read_b32 v3, v18 offset:3072
	s_waitcnt vmcnt(0)
	v_cvt_f32_i32_e32 v2, v2
	s_waitcnt lgkmcnt(0)
	v_mul_f32_e32 v2, v3, v2
	ds_write_b32 v18, v2 offset:3072
.LBB62_118:
	s_or_b64 exec, exec, s[16:17]
	v_mov_b64_e32 v[2:3], s[6:7]
	v_cmp_lt_i64_e32 vcc, s[22:23], v[2:3]
	s_and_b64 s[0:1], vcc, exec
	s_cselect_b32 s16, s22, s6
	s_cselect_b32 s0, s23, s7
	s_sub_u32 s2, s16, s26
	s_subb_u32 s3, s0, s27
	v_cmp_gt_i64_e32 vcc, s[2:3], v[0:1]
	s_waitcnt lgkmcnt(0)
	s_barrier
	s_and_saveexec_b64 s[0:1], vcc
	s_cbranch_execz .LBB62_121
; %bb.119:
	v_mov_b64_e32 v[2:3], s[6:7]
	v_cmp_gt_i64_e32 vcc, s[22:23], v[2:3]
	s_and_b64 s[4:5], vcc, exec
	s_cselect_b32 s5, s23, s7
	s_cselect_b32 s4, s22, s6
	v_lshlrev_b32_e32 v2, 2, v0
	v_mov_b32_e32 v3, 0
	v_lshl_add_u64 v[2:3], s[4:5], 2, v[2:3]
	s_lshl_b64 s[4:5], s[6:7], 2
	v_mov_b32_e32 v4, s5
	v_subrev_co_u32_e32 v2, vcc, s4, v2
	s_mov_b64 s[4:5], 0
	s_nop 0
	v_subb_co_u32_e32 v3, vcc, v3, v4, vcc
	v_mov_b32_e32 v4, 0x1000
	v_lshl_add_u64 v[2:3], s[24:25], 0, v[2:3]
	v_lshl_add_u32 v6, v0, 2, v4
	s_mov_b64 s[6:7], 0x100
	s_mov_b64 s[14:15], 0x400
	v_mov_b64_e32 v[4:5], v[0:1]
.LBB62_120:                             ; =>This Inner Loop Header: Depth=1
	ds_read_b32 v7, v6
	v_lshl_add_u64 v[4:5], v[4:5], 0, s[6:7]
	v_cmp_le_i64_e32 vcc, s[2:3], v[4:5]
	v_add_u32_e32 v6, 0x400, v6
	s_or_b64 s[4:5], vcc, s[4:5]
	s_waitcnt lgkmcnt(0)
	global_atomic_add_f32 v[2:3], v7, off
	v_lshl_add_u64 v[2:3], v[2:3], 0, s[14:15]
	s_andn2_b64 exec, exec, s[4:5]
	s_cbranch_execnz .LBB62_120
.LBB62_121:
	s_or_b64 exec, exec, s[0:1]
	s_add_i32 s0, s34, -1
	s_ashr_i32 s1, s0, 1
	s_or_b32 s0, s1, s0
	s_ashr_i32 s1, s0, 2
	s_or_b32 s0, s1, s0
	;; [unrolled: 2-line block ×5, first 2 shown]
	s_add_i32 s0, s0, 1
	s_ashr_i32 s3, s0, 1
	v_lshl_add_u64 v[6:7], s[20:21], 0, v[0:1]
	s_cmp_gt_i32 s3, 1
	s_mov_b64 s[0:1], -1
	s_barrier
	s_cbranch_scc1 .LBB62_130
; %bb.122:
	v_cmp_gt_i64_e32 vcc, s[22:23], v[6:7]
	s_and_saveexec_b64 s[0:1], vcc
	s_cbranch_execz .LBB62_129
; %bb.123:
	s_sub_i32 s4, s16, s22
	s_lshl_b32 s4, s4, 2
	s_add_i32 s16, s4, 0x1000
	s_lshl_b32 s4, s8, 2
	s_sub_i32 s17, 0, s4
	s_mov_b64 s[4:5], 0
	v_mov_b64_e32 v[8:9], v[6:7]
	s_branch .LBB62_125
.LBB62_124:                             ;   in Loop: Header=BB62_125 Depth=1
	s_or_b64 exec, exec, s[6:7]
	v_lshl_add_u32 v2, v8, 2, s16
	ds_read_b32 v2, v2
	s_waitcnt lgkmcnt(0)
	v_add_f32_e32 v4, v12, v2
	v_lshl_add_u64 v[2:3], v[8:9], 2, s[24:25]
	global_atomic_add_f32 v[2:3], v4, off
	v_lshl_add_u64 v[8:9], v[8:9], 0, s[30:31]
	v_cmp_le_i64_e32 vcc, s[22:23], v[8:9]
	s_or_b64 s[4:5], vcc, s[4:5]
	s_andn2_b64 exec, exec, s[4:5]
	s_cbranch_execz .LBB62_129
.LBB62_125:                             ; =>This Loop Header: Depth=1
                                        ;     Child Loop BB62_127 Depth 2
	v_lshl_add_u64 v[2:3], v[8:9], 3, s[12:13]
	global_load_dwordx4 v[2:5], v[2:3], off
	v_mov_b32_e32 v12, 0
	s_waitcnt vmcnt(0)
	v_cmp_lt_i64_e32 vcc, v[2:3], v[4:5]
	s_and_saveexec_b64 s[6:7], vcc
	s_cbranch_execz .LBB62_124
; %bb.126:                              ;   in Loop: Header=BB62_125 Depth=1
	v_mov_b32_e32 v10, s9
	v_subrev_co_u32_e32 v4, vcc, s8, v4
	v_mov_b32_e32 v11, s9
	s_nop 0
	v_subb_co_u32_e32 v5, vcc, v5, v10, vcc
	v_subrev_co_u32_e32 v10, vcc, s8, v2
	v_lshl_add_u32 v2, v2, 2, s17
	s_nop 0
	v_subb_co_u32_e32 v11, vcc, v3, v11, vcc
	v_mov_b32_e32 v12, 0
	s_mov_b64 s[14:15], 0
.LBB62_127:                             ;   Parent Loop BB62_125 Depth=1
                                        ; =>  This Inner Loop Header: Depth=2
	ds_read_b32 v3, v2
	v_lshl_add_u64 v[10:11], v[10:11], 0, 1
	v_cmp_ge_i64_e32 vcc, v[10:11], v[4:5]
	v_add_u32_e32 v2, 4, v2
	s_or_b64 s[14:15], vcc, s[14:15]
	s_waitcnt lgkmcnt(0)
	v_add_f32_e32 v12, v12, v3
	s_andn2_b64 exec, exec, s[14:15]
	s_cbranch_execnz .LBB62_127
; %bb.128:                              ;   in Loop: Header=BB62_125 Depth=1
	s_or_b64 exec, exec, s[14:15]
	s_branch .LBB62_124
.LBB62_129:
	s_or_b64 exec, exec, s[0:1]
	s_mov_b64 s[0:1], 0
.LBB62_130:
	s_andn2_b64 vcc, exec, s[0:1]
	s_cbranch_vccnz .LBB62_147
; %bb.131:
	v_cvt_f32_u32_e32 v2, s3
	s_sub_i32 s12, 0, s3
	v_mov_b32_e32 v5, 0
	v_mov_b32_e32 v13, s9
	v_rcp_iflag_f32_e32 v2, v2
	s_nop 0
	v_mul_f32_e32 v2, 0x4f7ffffe, v2
	v_cvt_u32_f32_e32 v2, v2
	v_mul_lo_u32 v3, s12, v2
	v_mul_hi_u32 v3, v2, v3
	v_add_u32_e32 v2, v2, v3
	v_mul_hi_u32 v2, v0, v2
	v_mul_lo_u32 v3, v2, s3
	v_sub_u32_e32 v3, v0, v3
	v_add_u32_e32 v4, 1, v2
	v_cmp_le_u32_e32 vcc, s3, v3
	s_nop 1
	v_cndmask_b32_e32 v2, v2, v4, vcc
	v_subrev_u32_e32 v4, s3, v3
	v_cndmask_b32_e32 v3, v3, v4, vcc
	v_add_u32_e32 v4, 1, v2
	v_cmp_le_u32_e32 vcc, s3, v3
	s_nop 1
	v_cndmask_b32_e32 v4, v2, v4, vcc
	v_lshl_add_u64 v[2:3], v[4:5], 3, s[10:11]
	global_load_dwordx4 v[8:11], v[2:3], off
	v_mov_b32_e32 v3, s9
	s_waitcnt vmcnt(0)
	v_subrev_co_u32_e32 v2, vcc, s8, v8
	s_nop 1
	v_subb_co_u32_e32 v3, vcc, v9, v3, vcc
	v_subrev_co_u32_e32 v12, vcc, s8, v10
	v_mov_b32_e32 v10, v5
	s_nop 0
	v_subb_co_u32_e32 v13, vcc, v11, v13, vcc
	v_sub_co_u32_e32 v8, vcc, v12, v2
	s_nop 1
	v_subb_co_u32_e32 v9, vcc, v13, v3, vcc
	v_mov_b32_e32 v11, v9
	v_cmp_ne_u64_e32 vcc, 0, v[10:11]
                                        ; implicit-def: $vgpr10_vgpr11
	s_and_saveexec_b64 s[0:1], vcc
	s_xor_b64 s[4:5], exec, s[0:1]
	s_cbranch_execz .LBB62_133
; %bb.132:
	s_add_u32 s0, s3, 0
	s_addc_u32 s1, 0, 0
	s_xor_b64 s[6:7], s[0:1], 0
	v_cvt_f32_u32_e32 v10, s6
	v_cvt_f32_u32_e32 v11, s7
	s_sub_u32 s8, 0, s6
	s_subb_u32 s9, 0, s7
	v_ashrrev_i32_e32 v14, 31, v9
	v_fmamk_f32 v10, v11, 0x4f800000, v10
	v_rcp_f32_e32 v10, v10
	v_mov_b32_e32 v15, v14
	v_lshl_add_u64 v[8:9], v[8:9], 0, v[14:15]
	v_xor_b32_e32 v19, v8, v14
	v_mul_f32_e32 v10, 0x5f7ffffc, v10
	v_mul_f32_e32 v11, 0x2f800000, v10
	v_trunc_f32_e32 v11, v11
	v_fmamk_f32 v10, v11, 0xcf800000, v10
	v_cvt_u32_f32_e32 v11, v11
	v_cvt_u32_f32_e32 v10, v10
	v_xor_b32_e32 v15, v9, v14
	v_readfirstlane_b32 s10, v11
	v_readfirstlane_b32 s0, v10
	s_mul_i32 s1, s8, s10
	s_mul_hi_u32 s13, s8, s0
	s_mul_i32 s11, s9, s0
	s_add_i32 s1, s13, s1
	s_mul_i32 s14, s8, s0
	s_add_i32 s1, s1, s11
	s_mul_i32 s13, s0, s1
	s_mul_hi_u32 s15, s0, s14
	s_mul_hi_u32 s11, s0, s1
	s_add_u32 s13, s15, s13
	s_addc_u32 s11, 0, s11
	s_mul_hi_u32 s16, s10, s14
	s_mul_i32 s14, s10, s14
	s_add_u32 s13, s13, s14
	s_mul_hi_u32 s15, s10, s1
	s_addc_u32 s11, s11, s16
	s_addc_u32 s13, s15, 0
	s_mul_i32 s1, s10, s1
	s_add_u32 s1, s11, s1
	s_addc_u32 s11, 0, s13
	s_add_u32 s13, s0, s1
	s_cselect_b64 s[0:1], -1, 0
	s_cmp_lg_u64 s[0:1], 0
	s_addc_u32 s10, s10, s11
	s_mul_i32 s0, s8, s10
	s_mul_hi_u32 s1, s8, s13
	s_add_i32 s0, s1, s0
	s_mul_i32 s9, s9, s13
	s_add_i32 s0, s0, s9
	s_mul_i32 s8, s8, s13
	s_mul_hi_u32 s9, s10, s8
	s_mul_i32 s11, s10, s8
	s_mul_i32 s15, s13, s0
	s_mul_hi_u32 s8, s13, s8
	s_mul_hi_u32 s14, s13, s0
	s_add_u32 s8, s8, s15
	s_addc_u32 s14, 0, s14
	s_add_u32 s8, s8, s11
	s_mul_hi_u32 s1, s10, s0
	s_addc_u32 s8, s14, s9
	s_addc_u32 s1, s1, 0
	s_mul_i32 s0, s10, s0
	s_add_u32 s0, s8, s0
	s_addc_u32 s8, 0, s1
	s_add_u32 s9, s13, s0
	s_cselect_b64 s[0:1], -1, 0
	s_cmp_lg_u64 s[0:1], 0
	s_addc_u32 s8, s10, s8
	v_mad_u64_u32 v[8:9], s[0:1], v19, s8, 0
	v_mul_hi_u32 v10, v19, s9
	v_mov_b32_e32 v11, v5
	v_lshl_add_u64 v[8:9], v[10:11], 0, v[8:9]
	v_mad_u64_u32 v[16:17], s[0:1], v15, s9, 0
	v_add_co_u32_e32 v8, vcc, v8, v16
	v_mad_u64_u32 v[10:11], s[0:1], v15, s8, 0
	s_nop 0
	v_addc_co_u32_e32 v8, vcc, v9, v17, vcc
	v_mov_b32_e32 v9, v5
	s_nop 0
	v_addc_co_u32_e32 v11, vcc, 0, v11, vcc
	v_lshl_add_u64 v[8:9], v[8:9], 0, v[10:11]
	v_mul_lo_u32 v16, s7, v8
	v_mul_lo_u32 v17, s6, v9
	v_mad_u64_u32 v[10:11], s[0:1], s6, v8, 0
	v_add3_u32 v20, v11, v17, v16
	v_sub_u32_e32 v11, v15, v20
	v_mov_b32_e32 v16, s7
	v_sub_co_u32_e32 v19, vcc, v19, v10
	s_nop 1
	v_subb_co_u32_e64 v10, s[0:1], v11, v16, vcc
	v_subrev_co_u32_e64 v11, s[0:1], s6, v19
	v_subb_co_u32_e32 v15, vcc, v15, v20, vcc
	s_nop 0
	v_subbrev_co_u32_e64 v10, s[0:1], 0, v10, s[0:1]
	v_cmp_le_u32_e64 s[0:1], s7, v10
	v_cmp_le_u32_e32 vcc, s7, v15
	s_nop 0
	v_cndmask_b32_e64 v16, 0, -1, s[0:1]
	v_cmp_le_u32_e64 s[0:1], s6, v11
	s_nop 1
	v_cndmask_b32_e64 v11, 0, -1, s[0:1]
	v_cmp_eq_u32_e64 s[0:1], s7, v10
	s_nop 1
	v_cndmask_b32_e64 v21, v16, v11, s[0:1]
	v_lshl_add_u64 v[10:11], v[8:9], 0, 2
	v_lshl_add_u64 v[16:17], v[8:9], 0, 1
	v_cmp_ne_u32_e64 s[0:1], 0, v21
	s_nop 1
	v_cndmask_b32_e64 v11, v17, v11, s[0:1]
	v_cndmask_b32_e64 v17, 0, -1, vcc
	v_cmp_le_u32_e32 vcc, s6, v19
	v_cndmask_b32_e64 v10, v16, v10, s[0:1]
	s_nop 0
	v_cndmask_b32_e64 v19, 0, -1, vcc
	v_cmp_eq_u32_e32 vcc, s7, v15
	s_nop 1
	v_cndmask_b32_e32 v15, v17, v19, vcc
	v_cmp_ne_u32_e32 vcc, 0, v15
	s_nop 1
	v_cndmask_b32_e32 v8, v8, v10, vcc
	v_cndmask_b32_e32 v9, v9, v11, vcc
	v_xor_b32_e32 v8, v8, v14
	v_xor_b32_e32 v9, v9, v14
	v_sub_co_u32_e32 v10, vcc, v8, v14
                                        ; implicit-def: $vgpr8
	s_nop 1
	v_subb_co_u32_e32 v11, vcc, v9, v14, vcc
.LBB62_133:
	s_andn2_saveexec_b64 s[0:1], s[4:5]
	s_cbranch_execz .LBB62_135
; %bb.134:
	v_cvt_f32_u32_e32 v9, s3
	v_rcp_iflag_f32_e32 v9, v9
	s_nop 0
	v_mul_f32_e32 v9, 0x4f7ffffe, v9
	v_cvt_u32_f32_e32 v9, v9
	v_mul_lo_u32 v10, s12, v9
	v_mul_hi_u32 v10, v9, v10
	v_add_u32_e32 v9, v9, v10
	v_mul_hi_u32 v9, v8, v9
	v_mul_lo_u32 v10, v9, s3
	v_sub_u32_e32 v8, v8, v10
	v_add_u32_e32 v11, 1, v9
	v_subrev_u32_e32 v10, s3, v8
	v_cmp_le_u32_e32 vcc, s3, v8
	s_nop 1
	v_cndmask_b32_e32 v8, v8, v10, vcc
	v_cndmask_b32_e32 v9, v9, v11, vcc
	v_add_u32_e32 v10, 1, v9
	v_cmp_le_u32_e32 vcc, s3, v8
	v_mov_b32_e32 v11, 0
	s_nop 0
	v_cndmask_b32_e32 v10, v9, v10, vcc
.LBB62_135:
	s_or_b64 exec, exec, s[0:1]
	v_cmp_gt_i64_e32 vcc, s[26:27], v[4:5]
	v_mov_b32_e32 v14, 0
	s_and_saveexec_b64 s[0:1], vcc
	s_cbranch_execz .LBB62_143
; %bb.136:
	s_add_i32 s4, s3, -1
	v_and_b32_e32 v4, s4, v0
	s_mov_b64 s[4:5], 0
	v_cmp_lt_i64_e32 vcc, 0, v[10:11]
	v_mov_b32_e32 v14, 0
	v_lshlrev_b32_e32 v15, 2, v4
	s_and_saveexec_b64 s[6:7], vcc
	s_cbranch_execz .LBB62_140
; %bb.137:
	v_lshl_add_u32 v5, v2, 2, v15
	s_lshl_b32 s8, s3, 2
	v_mov_b32_e32 v14, 0
	v_mov_b64_e32 v[8:9], v[10:11]
.LBB62_138:                             ; =>This Inner Loop Header: Depth=1
	ds_read_b32 v16, v5
	v_lshl_add_u64 v[8:9], v[8:9], 0, -1
	v_cmp_eq_u64_e32 vcc, 0, v[8:9]
	v_add_u32_e32 v5, s8, v5
	s_or_b64 s[4:5], vcc, s[4:5]
	s_waitcnt lgkmcnt(0)
	v_add_f32_e32 v14, v14, v16
	s_andn2_b64 exec, exec, s[4:5]
	s_cbranch_execnz .LBB62_138
; %bb.139:
	s_or_b64 exec, exec, s[4:5]
.LBB62_140:
	s_or_b64 exec, exec, s[6:7]
	v_mad_u64_u32 v[2:3], s[4:5], v10, s3, v[2:3]
	v_mov_b32_e32 v8, v3
	v_mad_u64_u32 v[8:9], s[4:5], v11, s3, v[8:9]
	v_sub_co_u32_e32 v10, vcc, v12, v2
	v_mov_b32_e32 v5, 0
	s_nop 0
	v_subb_co_u32_e32 v11, vcc, v13, v8, vcc
	v_cmp_gt_i64_e32 vcc, v[10:11], v[4:5]
	s_and_saveexec_b64 s[4:5], vcc
	s_cbranch_execz .LBB62_142
; %bb.141:
	v_lshl_add_u32 v2, v2, 2, v15
	ds_read_b32 v2, v2
	s_waitcnt lgkmcnt(0)
	v_add_f32_e32 v14, v14, v2
.LBB62_142:
	s_or_b64 exec, exec, s[4:5]
.LBB62_143:
	s_or_b64 exec, exec, s[0:1]
	v_cmp_gt_i64_e32 vcc, s[26:27], v[0:1]
	s_barrier
	ds_write_b32 v18, v14
	s_waitcnt lgkmcnt(0)
	s_barrier
	s_and_saveexec_b64 s[0:1], vcc
	s_cbranch_execz .LBB62_147
; %bb.144:
	v_mul_lo_u32 v1, s3, v0
	v_lshlrev_b32_e32 v2, 2, v1
	v_mov_b32_e32 v1, 0
.LBB62_145:                             ; =>This Inner Loop Header: Depth=1
	ds_read_b32 v3, v2
	s_add_i32 s3, s3, -1
	v_add_u32_e32 v2, 4, v2
	s_cmp_eq_u32 s3, 0
	s_waitcnt lgkmcnt(0)
	v_add_f32_e32 v1, v1, v3
	s_cbranch_scc0 .LBB62_145
; %bb.146:
	s_lshl_b32 s0, s2, 2
	s_addk_i32 s0, 0x1000
	v_lshl_add_u32 v0, v0, 2, s0
	ds_read_b32 v0, v0
	s_waitcnt lgkmcnt(0)
	v_add_f32_e32 v2, v1, v0
	v_lshl_add_u64 v[0:1], v[6:7], 2, s[24:25]
	global_atomic_add_f32 v[0:1], v2, off
.LBB62_147:
	s_endpgm
	.section	.rodata,"a",@progbits
	.p2align	6, 0x0
	.amdhsa_kernel _ZN9rocsparseL27csrmvn_symm_adaptive_kernelIllaaffEEvbT_S1_PKS1_NS_24const_host_device_scalarIT4_EES3_PKT0_PKT1_PKT2_S6_PT3_21rocsparse_index_base_b
		.amdhsa_group_segment_fixed_size 4096
		.amdhsa_private_segment_fixed_size 0
		.amdhsa_kernarg_size 352
		.amdhsa_user_sgpr_count 2
		.amdhsa_user_sgpr_dispatch_ptr 0
		.amdhsa_user_sgpr_queue_ptr 0
		.amdhsa_user_sgpr_kernarg_segment_ptr 1
		.amdhsa_user_sgpr_dispatch_id 0
		.amdhsa_user_sgpr_kernarg_preload_length 0
		.amdhsa_user_sgpr_kernarg_preload_offset 0
		.amdhsa_user_sgpr_private_segment_size 0
		.amdhsa_uses_dynamic_stack 0
		.amdhsa_enable_private_segment 0
		.amdhsa_system_sgpr_workgroup_id_x 1
		.amdhsa_system_sgpr_workgroup_id_y 0
		.amdhsa_system_sgpr_workgroup_id_z 0
		.amdhsa_system_sgpr_workgroup_info 0
		.amdhsa_system_vgpr_workitem_id 0
		.amdhsa_next_free_vgpr 24
		.amdhsa_next_free_sgpr 52
		.amdhsa_accum_offset 24
		.amdhsa_reserve_vcc 1
		.amdhsa_float_round_mode_32 0
		.amdhsa_float_round_mode_16_64 0
		.amdhsa_float_denorm_mode_32 3
		.amdhsa_float_denorm_mode_16_64 3
		.amdhsa_dx10_clamp 1
		.amdhsa_ieee_mode 1
		.amdhsa_fp16_overflow 0
		.amdhsa_tg_split 0
		.amdhsa_exception_fp_ieee_invalid_op 0
		.amdhsa_exception_fp_denorm_src 0
		.amdhsa_exception_fp_ieee_div_zero 0
		.amdhsa_exception_fp_ieee_overflow 0
		.amdhsa_exception_fp_ieee_underflow 0
		.amdhsa_exception_fp_ieee_inexact 0
		.amdhsa_exception_int_div_zero 0
	.end_amdhsa_kernel
	.section	.text._ZN9rocsparseL27csrmvn_symm_adaptive_kernelIllaaffEEvbT_S1_PKS1_NS_24const_host_device_scalarIT4_EES3_PKT0_PKT1_PKT2_S6_PT3_21rocsparse_index_base_b,"axG",@progbits,_ZN9rocsparseL27csrmvn_symm_adaptive_kernelIllaaffEEvbT_S1_PKS1_NS_24const_host_device_scalarIT4_EES3_PKT0_PKT1_PKT2_S6_PT3_21rocsparse_index_base_b,comdat
.Lfunc_end62:
	.size	_ZN9rocsparseL27csrmvn_symm_adaptive_kernelIllaaffEEvbT_S1_PKS1_NS_24const_host_device_scalarIT4_EES3_PKT0_PKT1_PKT2_S6_PT3_21rocsparse_index_base_b, .Lfunc_end62-_ZN9rocsparseL27csrmvn_symm_adaptive_kernelIllaaffEEvbT_S1_PKS1_NS_24const_host_device_scalarIT4_EES3_PKT0_PKT1_PKT2_S6_PT3_21rocsparse_index_base_b
                                        ; -- End function
	.set _ZN9rocsparseL27csrmvn_symm_adaptive_kernelIllaaffEEvbT_S1_PKS1_NS_24const_host_device_scalarIT4_EES3_PKT0_PKT1_PKT2_S6_PT3_21rocsparse_index_base_b.num_vgpr, 24
	.set _ZN9rocsparseL27csrmvn_symm_adaptive_kernelIllaaffEEvbT_S1_PKS1_NS_24const_host_device_scalarIT4_EES3_PKT0_PKT1_PKT2_S6_PT3_21rocsparse_index_base_b.num_agpr, 0
	.set _ZN9rocsparseL27csrmvn_symm_adaptive_kernelIllaaffEEvbT_S1_PKS1_NS_24const_host_device_scalarIT4_EES3_PKT0_PKT1_PKT2_S6_PT3_21rocsparse_index_base_b.numbered_sgpr, 52
	.set _ZN9rocsparseL27csrmvn_symm_adaptive_kernelIllaaffEEvbT_S1_PKS1_NS_24const_host_device_scalarIT4_EES3_PKT0_PKT1_PKT2_S6_PT3_21rocsparse_index_base_b.num_named_barrier, 0
	.set _ZN9rocsparseL27csrmvn_symm_adaptive_kernelIllaaffEEvbT_S1_PKS1_NS_24const_host_device_scalarIT4_EES3_PKT0_PKT1_PKT2_S6_PT3_21rocsparse_index_base_b.private_seg_size, 0
	.set _ZN9rocsparseL27csrmvn_symm_adaptive_kernelIllaaffEEvbT_S1_PKS1_NS_24const_host_device_scalarIT4_EES3_PKT0_PKT1_PKT2_S6_PT3_21rocsparse_index_base_b.uses_vcc, 1
	.set _ZN9rocsparseL27csrmvn_symm_adaptive_kernelIllaaffEEvbT_S1_PKS1_NS_24const_host_device_scalarIT4_EES3_PKT0_PKT1_PKT2_S6_PT3_21rocsparse_index_base_b.uses_flat_scratch, 0
	.set _ZN9rocsparseL27csrmvn_symm_adaptive_kernelIllaaffEEvbT_S1_PKS1_NS_24const_host_device_scalarIT4_EES3_PKT0_PKT1_PKT2_S6_PT3_21rocsparse_index_base_b.has_dyn_sized_stack, 0
	.set _ZN9rocsparseL27csrmvn_symm_adaptive_kernelIllaaffEEvbT_S1_PKS1_NS_24const_host_device_scalarIT4_EES3_PKT0_PKT1_PKT2_S6_PT3_21rocsparse_index_base_b.has_recursion, 0
	.set _ZN9rocsparseL27csrmvn_symm_adaptive_kernelIllaaffEEvbT_S1_PKS1_NS_24const_host_device_scalarIT4_EES3_PKT0_PKT1_PKT2_S6_PT3_21rocsparse_index_base_b.has_indirect_call, 0
	.section	.AMDGPU.csdata,"",@progbits
; Kernel info:
; codeLenInByte = 7340
; TotalNumSgprs: 58
; NumVgprs: 24
; NumAgprs: 0
; TotalNumVgprs: 24
; ScratchSize: 0
; MemoryBound: 0
; FloatMode: 240
; IeeeMode: 1
; LDSByteSize: 4096 bytes/workgroup (compile time only)
; SGPRBlocks: 7
; VGPRBlocks: 2
; NumSGPRsForWavesPerEU: 58
; NumVGPRsForWavesPerEU: 24
; AccumOffset: 24
; Occupancy: 8
; WaveLimiterHint : 1
; COMPUTE_PGM_RSRC2:SCRATCH_EN: 0
; COMPUTE_PGM_RSRC2:USER_SGPR: 2
; COMPUTE_PGM_RSRC2:TRAP_HANDLER: 0
; COMPUTE_PGM_RSRC2:TGID_X_EN: 1
; COMPUTE_PGM_RSRC2:TGID_Y_EN: 0
; COMPUTE_PGM_RSRC2:TGID_Z_EN: 0
; COMPUTE_PGM_RSRC2:TIDIG_COMP_CNT: 0
; COMPUTE_PGM_RSRC3_GFX90A:ACCUM_OFFSET: 5
; COMPUTE_PGM_RSRC3_GFX90A:TG_SPLIT: 0
	.section	.text._ZL33csrmvn_symm_large_adaptive_kernelIllaaffEvbT_PKS0_N9rocsparse24const_host_device_scalarIT4_EES2_PKT0_PKT1_PKT2_S6_PT3_21rocsparse_index_base_b,"axG",@progbits,_ZL33csrmvn_symm_large_adaptive_kernelIllaaffEvbT_PKS0_N9rocsparse24const_host_device_scalarIT4_EES2_PKT0_PKT1_PKT2_S6_PT3_21rocsparse_index_base_b,comdat
	.globl	_ZL33csrmvn_symm_large_adaptive_kernelIllaaffEvbT_PKS0_N9rocsparse24const_host_device_scalarIT4_EES2_PKT0_PKT1_PKT2_S6_PT3_21rocsparse_index_base_b ; -- Begin function _ZL33csrmvn_symm_large_adaptive_kernelIllaaffEvbT_PKS0_N9rocsparse24const_host_device_scalarIT4_EES2_PKT0_PKT1_PKT2_S6_PT3_21rocsparse_index_base_b
	.p2align	8
	.type	_ZL33csrmvn_symm_large_adaptive_kernelIllaaffEvbT_PKS0_N9rocsparse24const_host_device_scalarIT4_EES2_PKT0_PKT1_PKT2_S6_PT3_21rocsparse_index_base_b,@function
_ZL33csrmvn_symm_large_adaptive_kernelIllaaffEvbT_PKS0_N9rocsparse24const_host_device_scalarIT4_EES2_PKT0_PKT1_PKT2_S6_PT3_21rocsparse_index_base_b: ; @_ZL33csrmvn_symm_large_adaptive_kernelIllaaffEvbT_PKS0_N9rocsparse24const_host_device_scalarIT4_EES2_PKT0_PKT1_PKT2_S6_PT3_21rocsparse_index_base_b
; %bb.0:
	s_load_dwordx2 s[10:11], s[0:1], 0x50
	s_load_dwordx2 s[24:25], s[0:1], 0x18
	;; [unrolled: 1-line block ×3, first 2 shown]
	s_waitcnt lgkmcnt(0)
	s_bitcmp1_b32 s11, 0
	s_cselect_b64 s[8:9], -1, 0
	s_xor_b64 s[6:7], s[8:9], -1
	s_and_b64 vcc, exec, s[8:9]
	s_cbranch_vccnz .LBB63_2
; %bb.1:
	s_load_dword s24, s[24:25], 0x0
.LBB63_2:
	s_andn2_b64 vcc, exec, s[6:7]
	s_cbranch_vccnz .LBB63_4
; %bb.3:
	s_load_dword s4, s[4:5], 0x0
.LBB63_4:
	s_waitcnt lgkmcnt(0)
	v_cmp_neq_f32_e64 s[6:7], s24, 0
	v_cmp_neq_f32_e64 s[4:5], s4, 1.0
	s_or_b64 s[4:5], s[6:7], s[4:5]
	s_andn2_b64 vcc, exec, s[4:5]
	s_cbranch_vccnz .LBB63_34
; %bb.5:
	s_load_dwordx2 s[4:5], s[0:1], 0x10
	s_ashr_i32 s3, s2, 31
	s_lshl_b64 s[2:3], s[2:3], 3
	v_lshlrev_b32_e32 v8, 2, v0
	v_mov_b32_e32 v9, 0
	s_waitcnt lgkmcnt(0)
	s_add_u32 s2, s4, s2
	s_addc_u32 s3, s5, s3
	ds_write2st64_b32 v8, v9, v9 offset1:4
	ds_write2st64_b32 v8, v9, v9 offset0:8 offset1:12
	s_waitcnt lgkmcnt(0)
	s_barrier
	s_load_dwordx4 s[20:23], s[2:3], 0x0
	s_load_dwordx8 s[12:19], s[0:1], 0x20
	s_load_dwordx2 s[26:27], s[0:1], 0x48
	s_waitcnt lgkmcnt(0)
	v_mov_b64_e32 v[2:3], s[22:23]
	v_cmp_ge_i64_e32 vcc, s[20:21], v[2:3]
	v_subrev_co_u32_e64 v2, s[0:1], s10, v0
	s_nop 1
	v_subb_co_u32_e64 v3, s[0:1], 0, 0, s[0:1]
	s_cbranch_vccnz .LBB63_25
; %bb.6:
	s_movk_i32 s0, 0x100
	v_cmp_gt_u32_e64 s[0:1], s0, v0
	v_cmp_gt_u32_e64 s[2:3], 64, v0
	;; [unrolled: 1-line block ×4, first 2 shown]
	v_cmp_eq_u32_e64 s[8:9], 0, v0
	s_mov_b64 s[28:29], 0x100
	s_mov_b64 s[30:31], 0x800
	v_mov_b64_e32 v[0:1], s[22:23]
	s_mov_b64 s[34:35], s[20:21]
	s_branch .LBB63_8
.LBB63_7:                               ;   in Loop: Header=BB63_8 Depth=1
	s_or_b64 exec, exec, s[36:37]
	s_add_u32 s34, s34, 1
	s_addc_u32 s35, s35, 0
	v_cmp_ge_i64_e32 vcc, s[34:35], v[0:1]
	s_cbranch_vccnz .LBB63_25
.LBB63_8:                               ; =>This Loop Header: Depth=1
                                        ;     Child Loop BB63_10 Depth 2
	s_lshl_b64 s[36:37], s[34:35], 3
	s_add_u32 s36, s12, s36
	s_addc_u32 s37, s13, s37
	s_load_dwordx4 s[40:43], s[36:37], 0x0
	v_mov_b32_e32 v10, 0
	s_waitcnt lgkmcnt(0)
	s_sub_u32 s36, s42, s10
	v_lshl_add_u64 v[4:5], s[40:41], 0, v[2:3]
	s_subb_u32 s37, s43, 0
	v_cmp_gt_i64_e32 vcc, s[36:37], v[4:5]
	s_and_saveexec_b64 s[38:39], vcc
	s_cbranch_execz .LBB63_12
; %bb.9:                                ;   in Loop: Header=BB63_8 Depth=1
	v_lshl_add_u64 v[6:7], v[4:5], 3, s[14:15]
	v_mov_b32_e32 v10, 0
	s_mov_b64 s[40:41], 0
.LBB63_10:                              ;   Parent Loop BB63_8 Depth=1
                                        ; =>  This Inner Loop Header: Depth=2
	global_load_dwordx2 v[12:13], v[6:7], off
	v_lshl_add_u64 v[14:15], s[16:17], 0, v[4:5]
	global_load_sbyte v11, v[14:15], off
	v_lshl_add_u64 v[4:5], v[4:5], 0, s[28:29]
	v_lshl_add_u64 v[6:7], v[6:7], 0, s[30:31]
	s_waitcnt vmcnt(1)
	v_subrev_co_u32_e32 v12, vcc, s10, v12
	s_nop 1
	v_subbrev_co_u32_e32 v13, vcc, 0, v13, vcc
	v_lshl_add_u64 v[12:13], s[18:19], 0, v[12:13]
	global_load_sbyte v12, v[12:13], off
	s_waitcnt vmcnt(1)
	v_cvt_f32_i32_e32 v11, v11
	v_cmp_le_i64_e32 vcc, s[36:37], v[4:5]
	s_or_b64 s[40:41], vcc, s[40:41]
	s_waitcnt vmcnt(0)
	v_cvt_f32_i32_e32 v12, v12
	v_fmac_f32_e32 v10, v11, v12
	s_andn2_b64 exec, exec, s[40:41]
	s_cbranch_execnz .LBB63_10
; %bb.11:                               ;   in Loop: Header=BB63_8 Depth=1
	s_or_b64 exec, exec, s[40:41]
.LBB63_12:                              ;   in Loop: Header=BB63_8 Depth=1
	s_or_b64 exec, exec, s[38:39]
	ds_write_b32 v8, v10
	s_waitcnt lgkmcnt(0)
	s_barrier
	s_and_saveexec_b64 s[36:37], s[0:1]
	s_cbranch_execz .LBB63_14
; %bb.13:                               ;   in Loop: Header=BB63_8 Depth=1
	ds_read2st64_b32 v[4:5], v8 offset1:4
	ds_read2st64_b32 v[6:7], v8 offset0:8 offset1:12
	s_waitcnt lgkmcnt(0)
	v_add_f32_e32 v5, v5, v6
	v_add_f32_e32 v5, v5, v7
	;; [unrolled: 1-line block ×3, first 2 shown]
	ds_write_b32 v8, v4
.LBB63_14:                              ;   in Loop: Header=BB63_8 Depth=1
	s_or_b64 exec, exec, s[36:37]
	s_waitcnt lgkmcnt(0)
	s_barrier
	s_and_saveexec_b64 s[36:37], s[2:3]
	s_cbranch_execz .LBB63_16
; %bb.15:                               ;   in Loop: Header=BB63_8 Depth=1
	ds_read2st64_b32 v[4:5], v8 offset1:1
	ds_read2st64_b32 v[6:7], v8 offset0:2 offset1:3
	s_waitcnt lgkmcnt(0)
	v_add_f32_e32 v5, v5, v6
	v_add_f32_e32 v5, v5, v7
	;; [unrolled: 1-line block ×3, first 2 shown]
	ds_write_b32 v8, v4
.LBB63_16:                              ;   in Loop: Header=BB63_8 Depth=1
	s_or_b64 exec, exec, s[36:37]
	s_waitcnt lgkmcnt(0)
	s_barrier
	s_and_saveexec_b64 s[36:37], s[4:5]
	s_cbranch_execz .LBB63_18
; %bb.17:                               ;   in Loop: Header=BB63_8 Depth=1
	ds_read2_b32 v[4:5], v8 offset1:16
	ds_read2_b32 v[6:7], v8 offset0:32 offset1:48
	s_waitcnt lgkmcnt(0)
	v_add_f32_e32 v5, v5, v6
	v_add_f32_e32 v5, v5, v7
	;; [unrolled: 1-line block ×3, first 2 shown]
	ds_write_b32 v8, v4
.LBB63_18:                              ;   in Loop: Header=BB63_8 Depth=1
	s_or_b64 exec, exec, s[36:37]
	s_waitcnt lgkmcnt(0)
	s_barrier
	s_and_saveexec_b64 s[36:37], s[6:7]
	s_cbranch_execz .LBB63_20
; %bb.19:                               ;   in Loop: Header=BB63_8 Depth=1
	ds_read2_b32 v[4:5], v8 offset1:4
	ds_read2_b32 v[6:7], v8 offset0:8 offset1:12
	s_waitcnt lgkmcnt(0)
	v_add_f32_e32 v5, v5, v6
	v_add_f32_e32 v5, v5, v7
	;; [unrolled: 1-line block ×3, first 2 shown]
	ds_write_b32 v8, v4
.LBB63_20:                              ;   in Loop: Header=BB63_8 Depth=1
	s_or_b64 exec, exec, s[36:37]
	s_waitcnt lgkmcnt(0)
	s_barrier
	s_and_saveexec_b64 s[36:37], s[8:9]
	s_cbranch_execz .LBB63_22
; %bb.21:                               ;   in Loop: Header=BB63_8 Depth=1
	ds_read2_b32 v[4:5], v9 offset0:1 offset1:2
	ds_read_b32 v6, v9 offset:12
	ds_read_b32 v7, v8
	s_waitcnt lgkmcnt(2)
	v_add_f32_e32 v4, v4, v5
	s_waitcnt lgkmcnt(1)
	v_add_f32_e32 v4, v4, v6
	;; [unrolled: 2-line block ×3, first 2 shown]
	ds_write_b32 v8, v4
.LBB63_22:                              ;   in Loop: Header=BB63_8 Depth=1
	s_or_b64 exec, exec, s[36:37]
	s_waitcnt lgkmcnt(0)
	s_barrier
	s_and_saveexec_b64 s[36:37], s[8:9]
	s_cbranch_execz .LBB63_7
; %bb.23:                               ;   in Loop: Header=BB63_8 Depth=1
	s_mov_b64 s[38:39], exec
	v_mbcnt_lo_u32_b32 v4, s38, 0
	v_mbcnt_hi_u32_b32 v4, s39, v4
	v_cmp_eq_u32_e32 vcc, 0, v4
	s_and_b64 s[40:41], exec, vcc
	s_mov_b64 exec, s[40:41]
	s_cbranch_execz .LBB63_7
; %bb.24:                               ;   in Loop: Header=BB63_8 Depth=1
	ds_read_b32 v4, v9
	s_lshl_b64 s[40:41], s[34:35], 2
	s_add_u32 s40, s26, s40
	s_addc_u32 s41, s27, s41
	s_bcnt1_i32_b64 s11, s[38:39]
	s_waitcnt lgkmcnt(0)
	v_mul_f32_e32 v4, s24, v4
	v_cvt_f32_ubyte0_e32 v5, s11
	v_mul_f32_e32 v4, v4, v5
	global_atomic_add_f32 v9, v4, s[40:41]
	s_branch .LBB63_7
.LBB63_25:
	s_lshl_b64 s[0:1], s[20:21], 3
	s_add_u32 s0, s12, s0
	s_addc_u32 s1, s13, s1
	s_lshl_b64 s[2:3], s[22:23], 3
	s_add_u32 s2, s12, s2
	s_addc_u32 s3, s13, s3
	s_load_dwordx2 s[4:5], s[2:3], 0x0
	s_load_dwordx2 s[6:7], s[0:1], 0x0
	s_waitcnt lgkmcnt(0)
	s_sub_u32 s4, s4, s10
	s_subb_u32 s5, s5, 0
	v_lshl_add_u64 v[0:1], s[6:7], 0, v[2:3]
	v_cmp_gt_i64_e32 vcc, s[4:5], v[0:1]
	s_and_saveexec_b64 s[0:1], vcc
	s_cbranch_execz .LBB63_34
; %bb.26:
	s_add_u32 s6, s22, -1
	s_addc_u32 s7, s23, -1
	s_add_u32 s0, s22, -2
	s_addc_u32 s1, s23, -1
	v_mov_b64_e32 v[2:3], s[6:7]
	s_cmp_lg_u64 s[20:21], s[0:1]
	v_cmp_lt_i64_e32 vcc, s[20:21], v[2:3]
	s_cselect_b64 s[0:1], -1, 0
	s_and_b64 s[0:1], vcc, s[0:1]
	v_cndmask_b32_e64 v2, 0, 1, s[0:1]
	s_mov_b64 s[8:9], 0
	v_cmp_ne_u32_e64 s[0:1], 1, v2
	v_mov_b32_e32 v3, 0
	s_mov_b64 s[22:23], 0x100
	s_branch .LBB63_28
.LBB63_27:                              ;   in Loop: Header=BB63_28 Depth=1
	s_or_b64 exec, exec, s[2:3]
	v_lshl_add_u64 v[0:1], v[0:1], 0, s[22:23]
	v_cmp_le_i64_e32 vcc, s[4:5], v[0:1]
	s_or_b64 s[8:9], vcc, s[8:9]
	s_andn2_b64 exec, exec, s[8:9]
	s_cbranch_execz .LBB63_34
.LBB63_28:                              ; =>This Loop Header: Depth=1
                                        ;     Child Loop BB63_30 Depth 2
	s_and_b64 vcc, exec, s[0:1]
	v_mov_b64_e32 v[4:5], s[20:21]
	v_mov_b64_e32 v[6:7], s[6:7]
	s_cbranch_vccnz .LBB63_32
; %bb.29:                               ;   in Loop: Header=BB63_28 Depth=1
	s_mov_b64 s[28:29], 0
	v_mov_b64_e32 v[4:5], s[20:21]
	v_mov_b64_e32 v[6:7], s[6:7]
.LBB63_30:                              ;   Parent Loop BB63_28 Depth=1
                                        ; =>  This Inner Loop Header: Depth=2
	v_lshl_add_u64 v[8:9], v[6:7], 0, v[4:5]
	v_lshrrev_b32_e32 v2, 31, v9
	v_lshl_add_u64 v[8:9], v[8:9], 0, v[2:3]
	v_ashrrev_i64 v[8:9], 1, v[8:9]
	v_lshl_add_u64 v[10:11], v[8:9], 3, s[12:13]
	global_load_dwordx2 v[10:11], v[10:11], off
	s_waitcnt vmcnt(0)
	v_subrev_co_u32_e32 v10, vcc, s10, v10
	s_nop 1
	v_subbrev_co_u32_e32 v11, vcc, 0, v11, vcc
	v_cmp_lt_i64_e32 vcc, v[0:1], v[10:11]
	s_nop 1
	v_cndmask_b32_e32 v7, v7, v9, vcc
	v_cndmask_b32_e32 v6, v6, v8, vcc
	;; [unrolled: 1-line block ×4, first 2 shown]
	v_lshl_add_u64 v[8:9], v[6:7], 0, -1
	v_cmp_ge_i64_e32 vcc, v[4:5], v[6:7]
	v_cmp_eq_u64_e64 s[2:3], v[4:5], v[8:9]
	s_or_b64 s[2:3], vcc, s[2:3]
	s_and_b64 s[2:3], exec, s[2:3]
	s_or_b64 s[28:29], s[2:3], s[28:29]
	s_andn2_b64 exec, exec, s[28:29]
	s_cbranch_execnz .LBB63_30
; %bb.31:                               ;   in Loop: Header=BB63_28 Depth=1
	s_or_b64 exec, exec, s[28:29]
.LBB63_32:                              ;   in Loop: Header=BB63_28 Depth=1
	v_lshl_add_u64 v[8:9], v[6:7], 3, s[12:13]
	global_load_dwordx2 v[8:9], v[8:9], off
	v_lshl_add_u64 v[10:11], v[0:1], 3, s[14:15]
	global_load_dwordx2 v[10:11], v[10:11], off
	s_waitcnt vmcnt(1)
	v_subrev_co_u32_e32 v8, vcc, s10, v8
	s_nop 1
	v_subbrev_co_u32_e32 v9, vcc, 0, v9, vcc
	v_cmp_lt_i64_e32 vcc, v[0:1], v[8:9]
	s_nop 1
	v_cndmask_b32_e32 v7, v7, v5, vcc
	v_cndmask_b32_e32 v6, v6, v4, vcc
	s_waitcnt vmcnt(0)
	v_subrev_co_u32_e32 v4, vcc, s10, v10
	s_nop 1
	v_subbrev_co_u32_e32 v5, vcc, 0, v11, vcc
	v_cmp_ne_u64_e32 vcc, v[4:5], v[6:7]
	s_and_saveexec_b64 s[2:3], vcc
	s_cbranch_execz .LBB63_27
; %bb.33:                               ;   in Loop: Header=BB63_28 Depth=1
	v_lshl_add_u64 v[8:9], s[16:17], 0, v[0:1]
	global_load_sbyte v2, v[8:9], off
	v_lshl_add_u64 v[6:7], s[18:19], 0, v[6:7]
	global_load_sbyte v6, v[6:7], off
	v_lshl_add_u64 v[4:5], v[4:5], 2, s[26:27]
	s_waitcnt vmcnt(1)
	v_cvt_f32_i32_e32 v2, v2
	s_waitcnt vmcnt(0)
	v_cvt_f32_i32_e32 v6, v6
	v_mul_f32_e32 v2, s24, v2
	v_mul_f32_e32 v2, v2, v6
	global_atomic_add_f32 v[4:5], v2, off
	s_branch .LBB63_27
.LBB63_34:
	s_endpgm
	.section	.rodata,"a",@progbits
	.p2align	6, 0x0
	.amdhsa_kernel _ZL33csrmvn_symm_large_adaptive_kernelIllaaffEvbT_PKS0_N9rocsparse24const_host_device_scalarIT4_EES2_PKT0_PKT1_PKT2_S6_PT3_21rocsparse_index_base_b
		.amdhsa_group_segment_fixed_size 4096
		.amdhsa_private_segment_fixed_size 0
		.amdhsa_kernarg_size 88
		.amdhsa_user_sgpr_count 2
		.amdhsa_user_sgpr_dispatch_ptr 0
		.amdhsa_user_sgpr_queue_ptr 0
		.amdhsa_user_sgpr_kernarg_segment_ptr 1
		.amdhsa_user_sgpr_dispatch_id 0
		.amdhsa_user_sgpr_kernarg_preload_length 0
		.amdhsa_user_sgpr_kernarg_preload_offset 0
		.amdhsa_user_sgpr_private_segment_size 0
		.amdhsa_uses_dynamic_stack 0
		.amdhsa_enable_private_segment 0
		.amdhsa_system_sgpr_workgroup_id_x 1
		.amdhsa_system_sgpr_workgroup_id_y 0
		.amdhsa_system_sgpr_workgroup_id_z 0
		.amdhsa_system_sgpr_workgroup_info 0
		.amdhsa_system_vgpr_workitem_id 0
		.amdhsa_next_free_vgpr 16
		.amdhsa_next_free_sgpr 44
		.amdhsa_accum_offset 16
		.amdhsa_reserve_vcc 1
		.amdhsa_float_round_mode_32 0
		.amdhsa_float_round_mode_16_64 0
		.amdhsa_float_denorm_mode_32 3
		.amdhsa_float_denorm_mode_16_64 3
		.amdhsa_dx10_clamp 1
		.amdhsa_ieee_mode 1
		.amdhsa_fp16_overflow 0
		.amdhsa_tg_split 0
		.amdhsa_exception_fp_ieee_invalid_op 0
		.amdhsa_exception_fp_denorm_src 0
		.amdhsa_exception_fp_ieee_div_zero 0
		.amdhsa_exception_fp_ieee_overflow 0
		.amdhsa_exception_fp_ieee_underflow 0
		.amdhsa_exception_fp_ieee_inexact 0
		.amdhsa_exception_int_div_zero 0
	.end_amdhsa_kernel
	.section	.text._ZL33csrmvn_symm_large_adaptive_kernelIllaaffEvbT_PKS0_N9rocsparse24const_host_device_scalarIT4_EES2_PKT0_PKT1_PKT2_S6_PT3_21rocsparse_index_base_b,"axG",@progbits,_ZL33csrmvn_symm_large_adaptive_kernelIllaaffEvbT_PKS0_N9rocsparse24const_host_device_scalarIT4_EES2_PKT0_PKT1_PKT2_S6_PT3_21rocsparse_index_base_b,comdat
.Lfunc_end63:
	.size	_ZL33csrmvn_symm_large_adaptive_kernelIllaaffEvbT_PKS0_N9rocsparse24const_host_device_scalarIT4_EES2_PKT0_PKT1_PKT2_S6_PT3_21rocsparse_index_base_b, .Lfunc_end63-_ZL33csrmvn_symm_large_adaptive_kernelIllaaffEvbT_PKS0_N9rocsparse24const_host_device_scalarIT4_EES2_PKT0_PKT1_PKT2_S6_PT3_21rocsparse_index_base_b
                                        ; -- End function
	.set _ZL33csrmvn_symm_large_adaptive_kernelIllaaffEvbT_PKS0_N9rocsparse24const_host_device_scalarIT4_EES2_PKT0_PKT1_PKT2_S6_PT3_21rocsparse_index_base_b.num_vgpr, 16
	.set _ZL33csrmvn_symm_large_adaptive_kernelIllaaffEvbT_PKS0_N9rocsparse24const_host_device_scalarIT4_EES2_PKT0_PKT1_PKT2_S6_PT3_21rocsparse_index_base_b.num_agpr, 0
	.set _ZL33csrmvn_symm_large_adaptive_kernelIllaaffEvbT_PKS0_N9rocsparse24const_host_device_scalarIT4_EES2_PKT0_PKT1_PKT2_S6_PT3_21rocsparse_index_base_b.numbered_sgpr, 44
	.set _ZL33csrmvn_symm_large_adaptive_kernelIllaaffEvbT_PKS0_N9rocsparse24const_host_device_scalarIT4_EES2_PKT0_PKT1_PKT2_S6_PT3_21rocsparse_index_base_b.num_named_barrier, 0
	.set _ZL33csrmvn_symm_large_adaptive_kernelIllaaffEvbT_PKS0_N9rocsparse24const_host_device_scalarIT4_EES2_PKT0_PKT1_PKT2_S6_PT3_21rocsparse_index_base_b.private_seg_size, 0
	.set _ZL33csrmvn_symm_large_adaptive_kernelIllaaffEvbT_PKS0_N9rocsparse24const_host_device_scalarIT4_EES2_PKT0_PKT1_PKT2_S6_PT3_21rocsparse_index_base_b.uses_vcc, 1
	.set _ZL33csrmvn_symm_large_adaptive_kernelIllaaffEvbT_PKS0_N9rocsparse24const_host_device_scalarIT4_EES2_PKT0_PKT1_PKT2_S6_PT3_21rocsparse_index_base_b.uses_flat_scratch, 0
	.set _ZL33csrmvn_symm_large_adaptive_kernelIllaaffEvbT_PKS0_N9rocsparse24const_host_device_scalarIT4_EES2_PKT0_PKT1_PKT2_S6_PT3_21rocsparse_index_base_b.has_dyn_sized_stack, 0
	.set _ZL33csrmvn_symm_large_adaptive_kernelIllaaffEvbT_PKS0_N9rocsparse24const_host_device_scalarIT4_EES2_PKT0_PKT1_PKT2_S6_PT3_21rocsparse_index_base_b.has_recursion, 0
	.set _ZL33csrmvn_symm_large_adaptive_kernelIllaaffEvbT_PKS0_N9rocsparse24const_host_device_scalarIT4_EES2_PKT0_PKT1_PKT2_S6_PT3_21rocsparse_index_base_b.has_indirect_call, 0
	.section	.AMDGPU.csdata,"",@progbits
; Kernel info:
; codeLenInByte = 1432
; TotalNumSgprs: 50
; NumVgprs: 16
; NumAgprs: 0
; TotalNumVgprs: 16
; ScratchSize: 0
; MemoryBound: 0
; FloatMode: 240
; IeeeMode: 1
; LDSByteSize: 4096 bytes/workgroup (compile time only)
; SGPRBlocks: 6
; VGPRBlocks: 1
; NumSGPRsForWavesPerEU: 50
; NumVGPRsForWavesPerEU: 16
; AccumOffset: 16
; Occupancy: 8
; WaveLimiterHint : 1
; COMPUTE_PGM_RSRC2:SCRATCH_EN: 0
; COMPUTE_PGM_RSRC2:USER_SGPR: 2
; COMPUTE_PGM_RSRC2:TRAP_HANDLER: 0
; COMPUTE_PGM_RSRC2:TGID_X_EN: 1
; COMPUTE_PGM_RSRC2:TGID_Y_EN: 0
; COMPUTE_PGM_RSRC2:TGID_Z_EN: 0
; COMPUTE_PGM_RSRC2:TIDIG_COMP_CNT: 0
; COMPUTE_PGM_RSRC3_GFX90A:ACCUM_OFFSET: 3
; COMPUTE_PGM_RSRC3_GFX90A:TG_SPLIT: 0
	.section	.text._ZN9rocsparseL22csrmvn_adaptive_kernelIiiDF16_DF16_ffEEvbT_PKS1_PjPKT0_NS_24const_host_device_scalarIT4_EES3_S7_PKT1_PKT2_SA_PT3_21rocsparse_index_base_b,"axG",@progbits,_ZN9rocsparseL22csrmvn_adaptive_kernelIiiDF16_DF16_ffEEvbT_PKS1_PjPKT0_NS_24const_host_device_scalarIT4_EES3_S7_PKT1_PKT2_SA_PT3_21rocsparse_index_base_b,comdat
	.globl	_ZN9rocsparseL22csrmvn_adaptive_kernelIiiDF16_DF16_ffEEvbT_PKS1_PjPKT0_NS_24const_host_device_scalarIT4_EES3_S7_PKT1_PKT2_SA_PT3_21rocsparse_index_base_b ; -- Begin function _ZN9rocsparseL22csrmvn_adaptive_kernelIiiDF16_DF16_ffEEvbT_PKS1_PjPKT0_NS_24const_host_device_scalarIT4_EES3_S7_PKT1_PKT2_SA_PT3_21rocsparse_index_base_b
	.p2align	8
	.type	_ZN9rocsparseL22csrmvn_adaptive_kernelIiiDF16_DF16_ffEEvbT_PKS1_PjPKT0_NS_24const_host_device_scalarIT4_EES3_S7_PKT1_PKT2_SA_PT3_21rocsparse_index_base_b,@function
_ZN9rocsparseL22csrmvn_adaptive_kernelIiiDF16_DF16_ffEEvbT_PKS1_PjPKT0_NS_24const_host_device_scalarIT4_EES3_S7_PKT1_PKT2_SA_PT3_21rocsparse_index_base_b: ; @_ZN9rocsparseL22csrmvn_adaptive_kernelIiiDF16_DF16_ffEEvbT_PKS1_PjPKT0_NS_24const_host_device_scalarIT4_EES3_S7_PKT1_PKT2_SA_PT3_21rocsparse_index_base_b
; %bb.0:
	s_load_dwordx2 s[42:43], s[0:1], 0x58
	s_load_dwordx2 s[40:41], s[0:1], 0x20
	s_load_dwordx2 s[22:23], s[0:1], 0x48
	s_waitcnt lgkmcnt(0)
	s_bitcmp1_b32 s43, 0
	s_cselect_b64 s[6:7], -1, 0
	s_xor_b64 s[4:5], s[6:7], -1
	s_and_b64 vcc, exec, s[6:7]
	s_cbranch_vccnz .LBB64_2
; %bb.1:
	s_load_dword s40, s[40:41], 0x0
.LBB64_2:
	s_andn2_b64 vcc, exec, s[4:5]
	s_cbranch_vccnz .LBB64_4
; %bb.3:
	s_load_dword s22, s[22:23], 0x0
.LBB64_4:
	s_waitcnt lgkmcnt(0)
	v_cmp_neq_f32_e64 s[4:5], s40, 0
	v_cmp_neq_f32_e64 s[6:7], s22, 1.0
	s_or_b64 s[4:5], s[4:5], s[6:7]
	s_andn2_b64 vcc, exec, s[4:5]
	s_cbranch_vccnz .LBB64_121
; %bb.5:
	s_load_dwordx2 s[4:5], s[0:1], 0x8
	s_load_dwordx2 s[6:7], s[0:1], 0x18
	s_ashr_i32 s3, s2, 31
	s_lshl_b64 s[46:47], s[2:3], 2
	s_waitcnt lgkmcnt(0)
	s_add_u32 s4, s4, s46
	s_addc_u32 s5, s5, s47
	s_load_dwordx2 s[36:37], s[4:5], 0x0
	s_load_dwordx2 s[34:35], s[0:1], 0x50
	s_load_dwordx8 s[24:31], s[0:1], 0x28
	s_waitcnt lgkmcnt(0)
	s_sub_i32 s3, s37, s36
	s_add_u32 s6, s6, s46
	s_mov_b32 s4, s36
	s_addc_u32 s7, s7, s47
	s_ashr_i32 s5, s36, 31
	s_lshl_b64 s[44:45], s[4:5], 2
	s_add_u32 s38, s24, s44
	s_addc_u32 s39, s25, s45
	s_load_dword s23, s[6:7], 0x0
	s_load_dword s33, s[38:39], 0x0
	s_cmp_lt_i32 s3, 2
	s_mov_b64 s[4:5], -1
	s_cbranch_scc0 .LBB64_70
; %bb.6:
	s_cmp_lg_u32 s3, 1
	s_cselect_b64 s[4:5], -1, 0
	s_waitcnt lgkmcnt(0)
	s_cmp_lg_u32 s23, 0
	s_cselect_b64 s[6:7], -1, 0
	s_or_b64 s[4:5], s[4:5], s[6:7]
	s_mov_b64 s[18:19], -1
	s_and_b64 vcc, exec, s[4:5]
	v_cmp_gt_u32_e64 s[4:5], 64, v0
	v_cmp_gt_u32_e64 s[6:7], 32, v0
	;; [unrolled: 1-line block ×6, first 2 shown]
	v_cmp_eq_u32_e64 s[16:17], 0, v0
	s_cbranch_vccnz .LBB64_34
; %bb.7:
	v_cmp_neq_f32_e64 s[20:21], s22, 0
	s_movk_i32 s3, 0x80
	v_subrev_u32_e32 v1, s42, v0
	v_cndmask_b32_e64 v2, 0, 1, s[20:21]
	v_lshlrev_b32_e32 v8, 2, v0
	v_cmp_gt_u32_e64 s[18:19], s3, v0
	s_mov_b64 s[48:49], 0x200
	s_mov_b64 s[50:51], 0x400
	v_mov_b32_e32 v9, 0
	v_cmp_ne_u32_e64 s[20:21], 1, v2
	s_mov_b32 s52, s36
	s_branch .LBB64_10
.LBB64_8:                               ;   in Loop: Header=BB64_10 Depth=1
	s_add_u32 s54, s34, s54
	s_addc_u32 s55, s35, s55
	s_waitcnt lgkmcnt(0)
	global_store_dword v9, v2, s[54:55]
.LBB64_9:                               ;   in Loop: Header=BB64_10 Depth=1
	s_or_b64 exec, exec, s[56:57]
	s_add_i32 s52, s52, 1
	s_cmp_ge_i32 s52, s37
	s_cbranch_scc1 .LBB64_33
.LBB64_10:                              ; =>This Loop Header: Depth=1
                                        ;     Child Loop BB64_12 Depth 2
	s_ashr_i32 s53, s52, 31
	s_lshl_b64 s[54:55], s[52:53], 2
	s_add_u32 s56, s24, s54
	s_addc_u32 s57, s25, s55
	s_load_dwordx2 s[58:59], s[56:57], 0x0
	v_mov_b32_e32 v3, 0
	s_waitcnt lgkmcnt(0)
	s_sub_i32 s3, s59, s42
	v_add_u32_e32 v2, s58, v1
	v_cmp_gt_i32_e32 vcc, s3, v2
	s_and_saveexec_b64 s[56:57], vcc
	s_cbranch_execz .LBB64_14
; %bb.11:                               ;   in Loop: Header=BB64_10 Depth=1
	v_ashrrev_i32_e32 v3, 31, v2
	v_lshl_add_u64 v[4:5], v[2:3], 1, s[28:29]
	v_lshl_add_u64 v[6:7], v[2:3], 2, s[26:27]
	v_mov_b32_e32 v3, 0
	s_mov_b64 s[58:59], 0
.LBB64_12:                              ;   Parent Loop BB64_10 Depth=1
                                        ; =>  This Inner Loop Header: Depth=2
	global_load_dword v10, v[6:7], off
	global_load_ushort v12, v[4:5], off
	v_add_u32_e32 v2, 0x100, v2
	v_cmp_le_i32_e32 vcc, s3, v2
	v_lshl_add_u64 v[4:5], v[4:5], 0, s[48:49]
	v_lshl_add_u64 v[6:7], v[6:7], 0, s[50:51]
	s_or_b64 s[58:59], vcc, s[58:59]
	s_waitcnt vmcnt(1)
	v_subrev_u32_e32 v10, s42, v10
	v_ashrrev_i32_e32 v11, 31, v10
	v_lshl_add_u64 v[10:11], v[10:11], 1, s[30:31]
	global_load_ushort v10, v[10:11], off
	s_waitcnt vmcnt(1)
	v_cvt_f32_f16_e32 v11, v12
	v_mul_f32_e32 v11, s40, v11
	s_waitcnt vmcnt(0)
	v_fma_mix_f32 v3, v11, v10, v3 op_sel_hi:[0,1,0]
	s_andn2_b64 exec, exec, s[58:59]
	s_cbranch_execnz .LBB64_12
; %bb.13:                               ;   in Loop: Header=BB64_10 Depth=1
	s_or_b64 exec, exec, s[58:59]
.LBB64_14:                              ;   in Loop: Header=BB64_10 Depth=1
	s_or_b64 exec, exec, s[56:57]
	ds_write_b32 v8, v3
	s_waitcnt lgkmcnt(0)
	s_barrier
	s_and_saveexec_b64 s[56:57], s[18:19]
	s_cbranch_execz .LBB64_16
; %bb.15:                               ;   in Loop: Header=BB64_10 Depth=1
	ds_read2st64_b32 v[2:3], v8 offset1:2
	s_waitcnt lgkmcnt(0)
	v_add_f32_e32 v2, v2, v3
	ds_write_b32 v8, v2
.LBB64_16:                              ;   in Loop: Header=BB64_10 Depth=1
	s_or_b64 exec, exec, s[56:57]
	s_waitcnt lgkmcnt(0)
	s_barrier
	s_and_saveexec_b64 s[56:57], s[4:5]
	s_cbranch_execz .LBB64_18
; %bb.17:                               ;   in Loop: Header=BB64_10 Depth=1
	ds_read2st64_b32 v[2:3], v8 offset1:1
	s_waitcnt lgkmcnt(0)
	v_add_f32_e32 v2, v2, v3
	ds_write_b32 v8, v2
.LBB64_18:                              ;   in Loop: Header=BB64_10 Depth=1
	s_or_b64 exec, exec, s[56:57]
	s_waitcnt lgkmcnt(0)
	s_barrier
	s_and_saveexec_b64 s[56:57], s[6:7]
	s_cbranch_execz .LBB64_20
; %bb.19:                               ;   in Loop: Header=BB64_10 Depth=1
	ds_read2_b32 v[2:3], v8 offset1:32
	s_waitcnt lgkmcnt(0)
	v_add_f32_e32 v2, v2, v3
	ds_write_b32 v8, v2
.LBB64_20:                              ;   in Loop: Header=BB64_10 Depth=1
	s_or_b64 exec, exec, s[56:57]
	s_waitcnt lgkmcnt(0)
	s_barrier
	s_and_saveexec_b64 s[56:57], s[8:9]
	s_cbranch_execz .LBB64_22
; %bb.21:                               ;   in Loop: Header=BB64_10 Depth=1
	ds_read2_b32 v[2:3], v8 offset1:16
	s_waitcnt lgkmcnt(0)
	v_add_f32_e32 v2, v2, v3
	ds_write_b32 v8, v2
.LBB64_22:                              ;   in Loop: Header=BB64_10 Depth=1
	;; [unrolled: 11-line block ×5, first 2 shown]
	s_or_b64 exec, exec, s[56:57]
	s_waitcnt lgkmcnt(0)
	s_barrier
	s_and_saveexec_b64 s[56:57], s[16:17]
	s_cbranch_execz .LBB64_30
; %bb.29:                               ;   in Loop: Header=BB64_10 Depth=1
	ds_read_b64 v[2:3], v9
	s_waitcnt lgkmcnt(0)
	v_add_f32_e32 v2, v2, v3
	ds_write_b32 v9, v2
.LBB64_30:                              ;   in Loop: Header=BB64_10 Depth=1
	s_or_b64 exec, exec, s[56:57]
	s_waitcnt lgkmcnt(0)
	s_barrier
	s_and_saveexec_b64 s[56:57], s[16:17]
	s_cbranch_execz .LBB64_9
; %bb.31:                               ;   in Loop: Header=BB64_10 Depth=1
	ds_read_b32 v2, v9
	s_and_b64 vcc, exec, s[20:21]
	s_cbranch_vccnz .LBB64_8
; %bb.32:                               ;   in Loop: Header=BB64_10 Depth=1
	s_add_u32 s58, s34, s54
	s_addc_u32 s59, s35, s55
	global_load_dword v3, v9, s[58:59]
	s_waitcnt vmcnt(0) lgkmcnt(0)
	v_fmac_f32_e32 v2, s22, v3
	s_branch .LBB64_8
.LBB64_33:
	s_mov_b64 s[18:19], 0
.LBB64_34:
	s_and_b64 vcc, exec, s[18:19]
	s_cbranch_vccz .LBB64_69
; %bb.35:
	s_load_dwordx2 s[4:5], s[0:1], 0x10
	s_sub_i32 s6, s2, s23
	v_mov_b32_e32 v8, 0
	v_or_b32_e32 v2, s23, v0
	v_cmp_eq_u32_e32 vcc, 0, v2
	s_waitcnt lgkmcnt(0)
	s_add_u32 s2, s4, s46
	s_addc_u32 s3, s5, s47
	global_load_dword v1, v8, s[2:3]
	s_and_saveexec_b64 s[8:9], vcc
	s_cbranch_execz .LBB64_39
; %bb.36:
	s_add_u32 s12, s34, s44
	s_addc_u32 s13, s35, s45
	v_mov_b32_e32 v4, 0
	global_load_dword v2, v4, s[12:13]
	s_mov_b64 s[10:11], exec
	v_mbcnt_lo_u32_b32 v5, s10, 0
	v_mbcnt_hi_u32_b32 v5, s11, v5
	v_add_f32_e64 v3, s22, -1.0
	v_cmp_eq_u32_e32 vcc, 0, v5
	s_waitcnt vmcnt(0) expcnt(0) lgkmcnt(0)
	s_and_saveexec_b64 s[12:13], vcc
	s_cbranch_execz .LBB64_38
; %bb.37:
	s_ashr_i32 s7, s6, 31
	s_lshl_b64 s[14:15], s[6:7], 2
	s_add_u32 s14, s4, s14
	s_addc_u32 s15, s5, s15
	s_bcnt1_i32_b64 s7, s[10:11]
	s_and_b32 s7, s7, 1
	v_mov_b32_e32 v5, s7
	global_atomic_xor v4, v5, s[14:15]
.LBB64_38:
	s_or_b64 exec, exec, s[12:13]
	v_mul_f32_e32 v8, v3, v2
.LBB64_39:
	s_or_b64 exec, exec, s[8:9]
	s_load_dword s8, s[38:39], 0x4
	s_mul_i32 s7, s23, 0xc00
	s_sub_i32 s9, s33, s42
	s_add_i32 s7, s9, s7
	v_add_u32_e32 v2, s7, v0
	s_waitcnt lgkmcnt(0)
	s_sub_i32 s10, s8, s42
	v_cmp_gt_i32_e32 vcc, s10, v2
	s_and_saveexec_b64 s[8:9], vcc
	s_cbranch_execz .LBB64_43
; %bb.40:
	s_addk_i32 s7, 0xc00
	v_ashrrev_i32_e32 v3, 31, v2
	s_min_i32 s7, s7, s10
	v_lshl_add_u64 v[4:5], v[2:3], 1, s[28:29]
	v_lshl_add_u64 v[6:7], v[2:3], 2, s[26:27]
	s_mov_b64 s[10:11], 0
	s_mov_b64 s[12:13], 0x200
	;; [unrolled: 1-line block ×3, first 2 shown]
.LBB64_41:                              ; =>This Inner Loop Header: Depth=1
	global_load_dword v3, v[6:7], off
	global_load_ushort v9, v[4:5], off
	v_add_u32_e32 v2, 0x100, v2
	v_cmp_le_i32_e32 vcc, s7, v2
	v_lshl_add_u64 v[4:5], v[4:5], 0, s[12:13]
	v_lshl_add_u64 v[6:7], v[6:7], 0, s[14:15]
	s_or_b64 s[10:11], vcc, s[10:11]
	s_waitcnt vmcnt(1)
	v_subrev_u32_e32 v10, s42, v3
	v_ashrrev_i32_e32 v11, 31, v10
	v_lshl_add_u64 v[10:11], v[10:11], 1, s[30:31]
	global_load_ushort v3, v[10:11], off
	s_waitcnt vmcnt(1)
	v_cvt_f32_f16_e32 v9, v9
	v_mul_f32_e32 v9, s40, v9
	s_waitcnt vmcnt(0)
	v_fma_mix_f32 v8, v9, v3, v8 op_sel_hi:[0,1,0]
	s_andn2_b64 exec, exec, s[10:11]
	s_cbranch_execnz .LBB64_41
; %bb.42:
	s_or_b64 exec, exec, s[10:11]
.LBB64_43:
	s_or_b64 exec, exec, s[8:9]
	s_movk_i32 s7, 0x80
	v_lshlrev_b32_e32 v2, 2, v0
	v_cmp_gt_u32_e32 vcc, s7, v0
	ds_write_b32 v2, v8
	s_waitcnt lgkmcnt(0)
	s_barrier
	s_and_saveexec_b64 s[8:9], vcc
	s_cbranch_execz .LBB64_45
; %bb.44:
	ds_read2st64_b32 v[4:5], v2 offset1:2
	s_waitcnt lgkmcnt(0)
	v_add_f32_e32 v3, v4, v5
	ds_write_b32 v2, v3
.LBB64_45:
	s_or_b64 exec, exec, s[8:9]
	v_cmp_gt_u32_e32 vcc, 64, v0
	s_waitcnt lgkmcnt(0)
	s_barrier
	s_and_saveexec_b64 s[8:9], vcc
	s_cbranch_execz .LBB64_47
; %bb.46:
	ds_read2st64_b32 v[4:5], v2 offset1:1
	s_waitcnt lgkmcnt(0)
	v_add_f32_e32 v3, v4, v5
	ds_write_b32 v2, v3
.LBB64_47:
	s_or_b64 exec, exec, s[8:9]
	v_cmp_gt_u32_e32 vcc, 32, v0
	s_waitcnt lgkmcnt(0)
	s_barrier
	s_and_saveexec_b64 s[8:9], vcc
	s_cbranch_execz .LBB64_49
; %bb.48:
	ds_read2_b32 v[4:5], v2 offset1:32
	s_waitcnt lgkmcnt(0)
	v_add_f32_e32 v3, v4, v5
	ds_write_b32 v2, v3
.LBB64_49:
	s_or_b64 exec, exec, s[8:9]
	v_cmp_gt_u32_e32 vcc, 16, v0
	s_waitcnt lgkmcnt(0)
	s_barrier
	s_and_saveexec_b64 s[8:9], vcc
	s_cbranch_execz .LBB64_51
; %bb.50:
	ds_read2_b32 v[4:5], v2 offset1:16
	s_waitcnt lgkmcnt(0)
	v_add_f32_e32 v3, v4, v5
	ds_write_b32 v2, v3
.LBB64_51:
	;; [unrolled: 12-line block ×5, first 2 shown]
	s_or_b64 exec, exec, s[8:9]
	v_cmp_eq_u32_e32 vcc, 0, v0
	s_waitcnt lgkmcnt(0)
	s_barrier
	s_and_saveexec_b64 s[8:9], vcc
	s_cbranch_execz .LBB64_59
; %bb.58:
	v_mov_b32_e32 v4, 0
	ds_read_b64 v[2:3], v4
	s_waitcnt lgkmcnt(0)
	v_add_f32_e32 v2, v2, v3
	ds_write_b32 v4, v2
.LBB64_59:
	s_or_b64 exec, exec, s[8:9]
	s_waitcnt lgkmcnt(0)
	s_barrier
	s_and_saveexec_b64 s[8:9], vcc
	s_cbranch_execz .LBB64_68
; %bb.60:
	s_cmp_eq_u32 s23, 0
	s_cbranch_scc1 .LBB64_66
; %bb.61:
	s_ashr_i32 s7, s6, 31
	s_lshl_b64 s[6:7], s[6:7], 2
	s_add_u32 s4, s4, s6
	s_addc_u32 s5, s5, s7
	v_mov_b32_e32 v2, 0
	s_branch .LBB64_63
.LBB64_62:                              ;   in Loop: Header=BB64_63 Depth=1
	s_or_b64 exec, exec, s[6:7]
	s_waitcnt vmcnt(0)
	v_readfirstlane_b32 s6, v3
	s_nop 1
	v_cmp_eq_u32_e32 vcc, s6, v1
	s_cbranch_vccz .LBB64_65
.LBB64_63:                              ; =>This Inner Loop Header: Depth=1
	v_mbcnt_lo_u32_b32 v3, exec_lo, 0
	v_mbcnt_hi_u32_b32 v3, exec_hi, v3
	v_cmp_eq_u32_e32 vcc, 0, v3
                                        ; implicit-def: $vgpr3
	s_and_saveexec_b64 s[6:7], vcc
	s_cbranch_execz .LBB64_62
; %bb.64:                               ;   in Loop: Header=BB64_63 Depth=1
	global_load_dword v3, v2, s[4:5] sc1
	s_branch .LBB64_62
.LBB64_65:
	v_mov_b32_e32 v1, 0
	global_load_ushort v2, v1, s[2:3]
	s_waitcnt vmcnt(0)
	v_xor_b32_e32 v2, 1, v2
	global_store_short v1, v2, s[2:3]
.LBB64_66:
	s_mov_b64 s[2:3], exec
	s_waitcnt vmcnt(0)
	v_mbcnt_lo_u32_b32 v1, s2, 0
	v_mbcnt_hi_u32_b32 v1, s3, v1
	v_cmp_eq_u32_e32 vcc, 0, v1
	s_and_b64 s[4:5], exec, vcc
	s_mov_b64 exec, s[4:5]
	s_cbranch_execz .LBB64_68
; %bb.67:
	v_mov_b32_e32 v1, 0
	ds_read_b32 v2, v1
	s_add_u32 s4, s34, s44
	s_addc_u32 s5, s35, s45
	s_bcnt1_i32_b64 s2, s[2:3]
	v_cvt_f32_ubyte0_e32 v3, s2
	s_waitcnt lgkmcnt(0)
	v_mul_f32_e32 v2, v2, v3
	global_atomic_add_f32 v1, v2, s[4:5]
.LBB64_68:
	s_or_b64 exec, exec, s[8:9]
.LBB64_69:
	s_mov_b64 s[4:5], 0
.LBB64_70:
	s_andn2_b64 vcc, exec, s[4:5]
	s_cbranch_vccnz .LBB64_121
; %bb.71:
	s_load_dword s0, s[0:1], 0x4
	s_waitcnt vmcnt(0)
	v_subrev_u32_e32 v1, s42, v0
	s_waitcnt lgkmcnt(0)
	v_add_u32_e32 v2, s33, v1
	v_add_u32_e32 v1, 0x300, v2
	v_cmp_le_i32_e32 vcc, s0, v1
	s_and_saveexec_b64 s[0:1], vcc
	s_xor_b64 s[0:1], exec, s[0:1]
	s_cbranch_execz .LBB64_83
; %bb.72:
	s_ashr_i32 s3, s37, 31
	s_mov_b32 s2, s37
	s_lshl_b64 s[2:3], s[2:3], 2
	s_add_u32 s2, s24, s2
	s_addc_u32 s3, s25, s3
	s_load_dword s2, s[2:3], 0x0
	s_waitcnt lgkmcnt(0)
	s_sub_i32 s12, s2, s42
	v_cmp_gt_i32_e32 vcc, s12, v2
	s_and_saveexec_b64 s[2:3], vcc
	s_cbranch_execz .LBB64_82
; %bb.73:
	v_add_u32_e32 v1, s33, v0
	v_subrev_u32_e32 v1, s42, v1
	v_add_u32_e32 v1, 0x100, v1
	v_max_i32_e32 v1, s12, v1
	v_not_b32_e32 v3, v0
	v_add3_u32 v1, s42, v1, v3
	v_subrev_u32_e32 v3, s33, v1
	s_movk_i32 s4, 0xf00
	s_movk_i32 s6, 0xeff
	v_cmp_gt_u32_e64 s[4:5], s4, v3
	v_cmp_lt_u32_e32 vcc, s6, v3
	v_mov_b32_e32 v1, 0
	s_and_saveexec_b64 s[6:7], vcc
	s_cbranch_execz .LBB64_79
; %bb.74:
	v_and_b32_e32 v1, 0xffffff00, v3
	v_add_u32_e32 v1, v2, v1
	v_cmp_ge_i32_e32 vcc, v1, v2
	s_mov_b64 s[10:11], -1
	v_mov_b32_e32 v1, 0
	s_and_saveexec_b64 s[8:9], vcc
	s_cbranch_execz .LBB64_78
; %bb.75:
	v_lshrrev_b32_e32 v1, 8, v3
	v_add_u32_e32 v3, 1, v1
	v_and_b32_e32 v4, 0x1fffffe, v3
	v_lshlrev_b32_e32 v5, 2, v0
	v_mov_b32_e32 v1, v2
	s_mov_b32 s41, s40
	s_mov_b32 s13, s42
	s_movk_i32 s14, 0x100
	s_mov_b32 s15, 0
	s_mov_b64 s[10:11], 0
	v_mov_b32_e32 v6, v4
.LBB64_76:                              ; =>This Inner Loop Header: Depth=1
	v_add_u32_e32 v8, s15, v2
	v_add_u32_e32 v10, s14, v1
	v_ashrrev_i32_e32 v9, 31, v8
	v_ashrrev_i32_e32 v11, 31, v10
	v_lshl_add_u64 v[12:13], v[8:9], 2, s[26:27]
	v_lshl_add_u64 v[14:15], v[10:11], 2, s[26:27]
	global_load_dword v7, v[12:13], off
	global_load_dword v16, v[14:15], off
	v_lshl_add_u64 v[8:9], v[8:9], 1, s[28:29]
	v_lshl_add_u64 v[10:11], v[10:11], 1, s[28:29]
	global_load_ushort v12, v[8:9], off
	global_load_ushort v13, v[10:11], off
	v_add_u32_e32 v6, -2, v6
	s_addk_i32 s15, 0x200
	s_addk_i32 s14, 0x200
	v_cmp_eq_u32_e32 vcc, 0, v6
	s_or_b64 s[10:11], vcc, s[10:11]
	s_waitcnt vmcnt(3)
	v_subrev_u32_e32 v8, s42, v7
	s_waitcnt vmcnt(2)
	v_subrev_u32_e32 v10, s13, v16
	v_ashrrev_i32_e32 v11, 31, v10
	v_ashrrev_i32_e32 v9, 31, v8
	v_lshl_add_u64 v[10:11], v[10:11], 1, s[30:31]
	v_lshl_add_u64 v[8:9], v[8:9], 1, s[30:31]
	global_load_ushort v7, v[10:11], off
	global_load_ushort v14, v[8:9], off
	s_waitcnt vmcnt(2)
	v_cvt_f32_f16_e32 v9, v13
	v_cvt_f32_f16_e32 v8, v12
	v_pk_mul_f32 v[8:9], s[40:41], v[8:9]
	s_waitcnt vmcnt(1)
	v_cvt_f32_f16_e32 v11, v7
	s_waitcnt vmcnt(0)
	v_cvt_f32_f16_e32 v10, v14
	v_pk_mul_f32 v[8:9], v[8:9], v[10:11]
	ds_write2st64_b32 v5, v8, v9 offset1:4
	v_add_u32_e32 v5, 0x800, v5
	s_andn2_b64 exec, exec, s[10:11]
	s_cbranch_execnz .LBB64_76
; %bb.77:
	s_or_b64 exec, exec, s[10:11]
	v_cmp_ne_u32_e32 vcc, v3, v4
	v_lshlrev_b32_e32 v1, 8, v4
	s_orn2_b64 s[10:11], vcc, exec
.LBB64_78:
	s_or_b64 exec, exec, s[8:9]
	s_andn2_b64 s[4:5], s[4:5], exec
	s_and_b64 s[8:9], s[10:11], exec
	s_or_b64 s[4:5], s[4:5], s[8:9]
.LBB64_79:
	s_or_b64 exec, exec, s[6:7]
	s_and_b64 exec, exec, s[4:5]
	s_cbranch_execz .LBB64_82
; %bb.80:
	v_add3_u32 v2, v0, v1, s33
	v_lshlrev_b32_e32 v1, 2, v1
	v_subrev_u32_e32 v2, s42, v2
	v_lshl_add_u32 v1, v0, 2, v1
	s_mov_b64 s[4:5], 0
.LBB64_81:                              ; =>This Inner Loop Header: Depth=1
	v_ashrrev_i32_e32 v3, 31, v2
	v_lshl_add_u64 v[4:5], v[2:3], 2, s[26:27]
	global_load_dword v6, v[4:5], off
	v_lshl_add_u64 v[4:5], v[2:3], 1, s[28:29]
	global_load_ushort v3, v[4:5], off
	v_add_u32_e32 v2, 0x100, v2
	v_cmp_le_i32_e32 vcc, s12, v2
	s_or_b64 s[4:5], vcc, s[4:5]
	s_waitcnt vmcnt(1)
	v_subrev_u32_e32 v4, s42, v6
	v_ashrrev_i32_e32 v5, 31, v4
	v_lshl_add_u64 v[4:5], v[4:5], 1, s[30:31]
	global_load_ushort v4, v[4:5], off
	s_waitcnt vmcnt(1)
	v_cvt_f32_f16_e32 v3, v3
	v_mul_f32_e32 v3, s40, v3
	s_waitcnt vmcnt(0)
	v_cvt_f32_f16_e32 v4, v4
	v_mul_f32_e32 v3, v3, v4
	ds_write_b32 v1, v3
	v_add_u32_e32 v1, 0x400, v1
	s_andn2_b64 exec, exec, s[4:5]
	s_cbranch_execnz .LBB64_81
.LBB64_82:
	s_or_b64 exec, exec, s[2:3]
                                        ; implicit-def: $vgpr2
.LBB64_83:
	s_or_saveexec_b64 s[0:1], s[0:1]
	v_lshlrev_b32_e32 v1, 2, v0
	s_xor_b64 exec, exec, s[0:1]
	s_cbranch_execz .LBB64_85
; %bb.84:
	v_ashrrev_i32_e32 v3, 31, v2
	v_lshl_add_u64 v[4:5], v[2:3], 2, s[26:27]
	global_load_dword v6, v[4:5], off
	global_load_dword v7, v[4:5], off offset:1024
	global_load_dword v8, v[4:5], off offset:2048
	;; [unrolled: 1-line block ×3, first 2 shown]
	v_lshl_add_u64 v[2:3], v[2:3], 1, s[28:29]
	global_load_ushort v10, v[2:3], off
	global_load_ushort v11, v[2:3], off offset:512
	global_load_ushort v12, v[2:3], off offset:1024
	;; [unrolled: 1-line block ×3, first 2 shown]
	s_waitcnt vmcnt(7)
	v_subrev_u32_e32 v2, s42, v6
	s_waitcnt vmcnt(6)
	v_subrev_u32_e32 v4, s42, v7
	;; [unrolled: 2-line block ×4, first 2 shown]
	v_ashrrev_i32_e32 v3, 31, v2
	v_ashrrev_i32_e32 v5, 31, v4
	;; [unrolled: 1-line block ×4, first 2 shown]
	v_lshl_add_u64 v[2:3], v[2:3], 1, s[30:31]
	v_lshl_add_u64 v[4:5], v[4:5], 1, s[30:31]
	;; [unrolled: 1-line block ×4, first 2 shown]
	global_load_ushort v14, v[2:3], off
	global_load_ushort v15, v[4:5], off
	;; [unrolled: 1-line block ×4, first 2 shown]
	s_waitcnt vmcnt(7)
	v_cvt_f32_f16_e32 v2, v10
	s_waitcnt vmcnt(6)
	v_cvt_f32_f16_e32 v3, v11
	;; [unrolled: 2-line block ×4, first 2 shown]
	v_mul_f32_e32 v2, s40, v2
	v_mul_f32_e32 v3, s40, v3
	;; [unrolled: 1-line block ×4, first 2 shown]
	s_waitcnt vmcnt(3)
	v_cvt_f32_f16_e32 v6, v14
	s_waitcnt vmcnt(2)
	v_cvt_f32_f16_e32 v7, v15
	;; [unrolled: 2-line block ×4, first 2 shown]
	v_mul_f32_e32 v2, v2, v6
	v_mul_f32_e32 v3, v3, v7
	;; [unrolled: 1-line block ×4, first 2 shown]
	ds_write2st64_b32 v1, v2, v3 offset1:4
	ds_write2st64_b32 v1, v4, v5 offset0:8 offset1:12
.LBB64_85:
	s_or_b64 exec, exec, s[0:1]
	s_cmp_lt_i32 s23, 2
	s_mov_b64 s[0:1], -1
	s_waitcnt lgkmcnt(0)
	s_barrier
	s_cbranch_scc0 .LBB64_96
; %bb.86:
	v_add_u32_e32 v2, s36, v0
	v_cmp_gt_i32_e32 vcc, s37, v2
	s_and_saveexec_b64 s[0:1], vcc
	s_cbranch_execz .LBB64_95
; %bb.87:
	s_lshl_b32 s4, s33, 2
	v_cmp_neq_f32_e64 s[2:3], s22, 0
	s_sub_i32 s10, 0, s4
	s_mov_b64 s[4:5], 0
	s_branch .LBB64_89
.LBB64_88:                              ;   in Loop: Header=BB64_89 Depth=1
	v_add_u32_e32 v2, 0x100, v2
	v_cmp_le_i32_e32 vcc, s37, v2
	s_or_b64 s[4:5], vcc, s[4:5]
	global_store_dword v[4:5], v6, off
	s_andn2_b64 exec, exec, s[4:5]
	s_cbranch_execz .LBB64_95
.LBB64_89:                              ; =>This Loop Header: Depth=1
                                        ;     Child Loop BB64_91 Depth 2
	v_ashrrev_i32_e32 v3, 31, v2
	v_lshl_add_u64 v[4:5], v[2:3], 2, s[24:25]
	global_load_dwordx2 v[4:5], v[4:5], off
	v_mov_b32_e32 v6, 0
	s_waitcnt vmcnt(0)
	v_cmp_lt_i32_e32 vcc, v4, v5
	s_and_saveexec_b64 s[6:7], vcc
	s_cbranch_execz .LBB64_93
; %bb.90:                               ;   in Loop: Header=BB64_89 Depth=1
	v_subrev_u32_e32 v5, s33, v5
	v_subrev_u32_e32 v7, s33, v4
	v_lshl_add_u32 v4, v4, 2, s10
	v_mov_b32_e32 v6, 0
	s_mov_b64 s[8:9], 0
.LBB64_91:                              ;   Parent Loop BB64_89 Depth=1
                                        ; =>  This Inner Loop Header: Depth=2
	ds_read_b32 v8, v4
	v_add_u32_e32 v7, 1, v7
	v_cmp_ge_i32_e32 vcc, v7, v5
	v_add_u32_e32 v4, 4, v4
	s_or_b64 s[8:9], vcc, s[8:9]
	s_waitcnt lgkmcnt(0)
	v_add_f32_e32 v6, v6, v8
	s_andn2_b64 exec, exec, s[8:9]
	s_cbranch_execnz .LBB64_91
; %bb.92:                               ;   in Loop: Header=BB64_89 Depth=1
	s_or_b64 exec, exec, s[8:9]
.LBB64_93:                              ;   in Loop: Header=BB64_89 Depth=1
	s_or_b64 exec, exec, s[6:7]
	s_and_b64 vcc, exec, s[2:3]
	v_lshl_add_u64 v[4:5], v[2:3], 2, s[34:35]
	s_cbranch_vccz .LBB64_88
; %bb.94:                               ;   in Loop: Header=BB64_89 Depth=1
	global_load_dword v3, v[4:5], off
	s_waitcnt vmcnt(0)
	v_fmac_f32_e32 v6, s22, v3
	s_branch .LBB64_88
.LBB64_95:
	s_or_b64 exec, exec, s[0:1]
	s_mov_b64 s[0:1], 0
.LBB64_96:
	s_andn2_b64 vcc, exec, s[0:1]
	s_cbranch_vccnz .LBB64_121
; %bb.97:
	s_flbit_i32_b32 s0, s23
	s_xor_b32 s0, s0, 31
	v_lshrrev_b32_e32 v4, s0, v0
	v_add_u32_e32 v2, s36, v4
	s_add_i32 s0, s23, -1
	v_and_b32_e32 v0, s0, v0
	v_cmp_le_i32_e32 vcc, s37, v2
	v_cmp_gt_i32_e64 s[0:1], s37, v2
	v_mov_b32_e32 v3, 0
	s_and_saveexec_b64 s[2:3], s[0:1]
	s_cbranch_execz .LBB64_103
; %bb.98:
	v_lshlrev_b32_e32 v3, 2, v4
	global_load_dwordx2 v[6:7], v3, s[38:39]
	v_subrev_u32_e32 v3, s33, v0
	s_waitcnt vmcnt(0)
	v_subrev_u32_e32 v4, s33, v7
	v_add_u32_e32 v5, v6, v3
	v_cmp_lt_i32_e64 s[0:1], v5, v4
	v_mov_b32_e32 v3, 0
	s_and_saveexec_b64 s[4:5], s[0:1]
	s_cbranch_execz .LBB64_102
; %bb.99:
	v_lshlrev_b32_e32 v6, 2, v5
	s_lshl_b32 s8, s23, 2
	v_mov_b32_e32 v3, 0
	s_mov_b64 s[6:7], 0
.LBB64_100:                             ; =>This Inner Loop Header: Depth=1
	ds_read_b32 v7, v6
	v_add_u32_e32 v5, s23, v5
	v_cmp_ge_i32_e64 s[0:1], v5, v4
	v_add_u32_e32 v6, s8, v6
	s_or_b64 s[6:7], s[0:1], s[6:7]
	s_waitcnt lgkmcnt(0)
	v_add_f32_e32 v3, v3, v7
	s_andn2_b64 exec, exec, s[6:7]
	s_cbranch_execnz .LBB64_100
; %bb.101:
	s_or_b64 exec, exec, s[6:7]
.LBB64_102:
	s_or_b64 exec, exec, s[4:5]
.LBB64_103:
	s_or_b64 exec, exec, s[2:3]
	s_cmpk_lt_u32 s23, 0x81
	s_barrier
	ds_write_b32 v1, v3
	s_waitcnt lgkmcnt(0)
	s_barrier
	s_cbranch_scc1 .LBB64_105
; %bb.104:
	ds_read_b32 v4, v1 offset:512
	s_waitcnt lgkmcnt(0)
	s_barrier
	v_add_f32_e32 v3, v3, v4
	ds_write_b32 v1, v3
.LBB64_105:
	s_cmpk_lt_u32 s23, 0x41
	s_waitcnt lgkmcnt(0)
	s_barrier
	s_cbranch_scc1 .LBB64_107
; %bb.106:
	ds_read_b32 v4, v1 offset:256
	s_waitcnt lgkmcnt(0)
	s_barrier
	v_add_f32_e32 v3, v3, v4
	ds_write_b32 v1, v3
.LBB64_107:
	s_cmp_lt_u32 s23, 33
	s_waitcnt lgkmcnt(0)
	s_barrier
	s_cbranch_scc1 .LBB64_109
; %bb.108:
	ds_read_b32 v4, v1 offset:128
	s_waitcnt lgkmcnt(0)
	s_barrier
	v_add_f32_e32 v3, v3, v4
	ds_write_b32 v1, v3
.LBB64_109:
	s_cmp_lt_u32 s23, 17
	;; [unrolled: 11-line block ×4, first 2 shown]
	s_waitcnt lgkmcnt(0)
	s_barrier
	s_cbranch_scc1 .LBB64_115
; %bb.114:
	ds_read_b32 v4, v1 offset:16
	s_waitcnt lgkmcnt(0)
	s_barrier
	v_add_f32_e32 v3, v3, v4
	ds_write_b32 v1, v3
.LBB64_115:
	s_cmp_eq_u32 s23, 2
	s_waitcnt lgkmcnt(0)
	s_barrier
	s_cbranch_scc1 .LBB64_117
; %bb.116:
	ds_read_b32 v4, v1 offset:8
	s_waitcnt lgkmcnt(0)
	s_barrier
	v_add_f32_e32 v3, v3, v4
	ds_write_b32 v1, v3
.LBB64_117:
	s_waitcnt lgkmcnt(0)
	s_barrier
	ds_read_b32 v4, v1 offset:4
	v_cmp_eq_u32_e64 s[0:1], 0, v0
	s_xor_b64 s[2:3], vcc, -1
	s_and_b64 s[0:1], s[0:1], s[2:3]
	s_waitcnt lgkmcnt(0)
	v_add_f32_e32 v4, v3, v4
	s_barrier
	ds_write_b32 v1, v4
	s_and_saveexec_b64 s[2:3], s[0:1]
	s_cbranch_execz .LBB64_121
; %bb.118:
	v_ashrrev_i32_e32 v3, 31, v2
	v_cmp_eq_f32_e64 s[0:1], s22, 0
	s_and_b64 vcc, exec, s[0:1]
	v_lshl_add_u64 v[0:1], v[2:3], 2, s[34:35]
	s_cbranch_vccnz .LBB64_120
; %bb.119:
	global_load_dword v2, v[0:1], off
	s_waitcnt vmcnt(0)
	v_fmac_f32_e32 v4, s22, v2
.LBB64_120:
	global_store_dword v[0:1], v4, off
.LBB64_121:
	s_endpgm
	.section	.rodata,"a",@progbits
	.p2align	6, 0x0
	.amdhsa_kernel _ZN9rocsparseL22csrmvn_adaptive_kernelIiiDF16_DF16_ffEEvbT_PKS1_PjPKT0_NS_24const_host_device_scalarIT4_EES3_S7_PKT1_PKT2_SA_PT3_21rocsparse_index_base_b
		.amdhsa_group_segment_fixed_size 4096
		.amdhsa_private_segment_fixed_size 0
		.amdhsa_kernarg_size 96
		.amdhsa_user_sgpr_count 2
		.amdhsa_user_sgpr_dispatch_ptr 0
		.amdhsa_user_sgpr_queue_ptr 0
		.amdhsa_user_sgpr_kernarg_segment_ptr 1
		.amdhsa_user_sgpr_dispatch_id 0
		.amdhsa_user_sgpr_kernarg_preload_length 0
		.amdhsa_user_sgpr_kernarg_preload_offset 0
		.amdhsa_user_sgpr_private_segment_size 0
		.amdhsa_uses_dynamic_stack 0
		.amdhsa_enable_private_segment 0
		.amdhsa_system_sgpr_workgroup_id_x 1
		.amdhsa_system_sgpr_workgroup_id_y 0
		.amdhsa_system_sgpr_workgroup_id_z 0
		.amdhsa_system_sgpr_workgroup_info 0
		.amdhsa_system_vgpr_workitem_id 0
		.amdhsa_next_free_vgpr 18
		.amdhsa_next_free_sgpr 60
		.amdhsa_accum_offset 20
		.amdhsa_reserve_vcc 1
		.amdhsa_float_round_mode_32 0
		.amdhsa_float_round_mode_16_64 0
		.amdhsa_float_denorm_mode_32 3
		.amdhsa_float_denorm_mode_16_64 3
		.amdhsa_dx10_clamp 1
		.amdhsa_ieee_mode 1
		.amdhsa_fp16_overflow 0
		.amdhsa_tg_split 0
		.amdhsa_exception_fp_ieee_invalid_op 0
		.amdhsa_exception_fp_denorm_src 0
		.amdhsa_exception_fp_ieee_div_zero 0
		.amdhsa_exception_fp_ieee_overflow 0
		.amdhsa_exception_fp_ieee_underflow 0
		.amdhsa_exception_fp_ieee_inexact 0
		.amdhsa_exception_int_div_zero 0
	.end_amdhsa_kernel
	.section	.text._ZN9rocsparseL22csrmvn_adaptive_kernelIiiDF16_DF16_ffEEvbT_PKS1_PjPKT0_NS_24const_host_device_scalarIT4_EES3_S7_PKT1_PKT2_SA_PT3_21rocsparse_index_base_b,"axG",@progbits,_ZN9rocsparseL22csrmvn_adaptive_kernelIiiDF16_DF16_ffEEvbT_PKS1_PjPKT0_NS_24const_host_device_scalarIT4_EES3_S7_PKT1_PKT2_SA_PT3_21rocsparse_index_base_b,comdat
.Lfunc_end64:
	.size	_ZN9rocsparseL22csrmvn_adaptive_kernelIiiDF16_DF16_ffEEvbT_PKS1_PjPKT0_NS_24const_host_device_scalarIT4_EES3_S7_PKT1_PKT2_SA_PT3_21rocsparse_index_base_b, .Lfunc_end64-_ZN9rocsparseL22csrmvn_adaptive_kernelIiiDF16_DF16_ffEEvbT_PKS1_PjPKT0_NS_24const_host_device_scalarIT4_EES3_S7_PKT1_PKT2_SA_PT3_21rocsparse_index_base_b
                                        ; -- End function
	.set _ZN9rocsparseL22csrmvn_adaptive_kernelIiiDF16_DF16_ffEEvbT_PKS1_PjPKT0_NS_24const_host_device_scalarIT4_EES3_S7_PKT1_PKT2_SA_PT3_21rocsparse_index_base_b.num_vgpr, 18
	.set _ZN9rocsparseL22csrmvn_adaptive_kernelIiiDF16_DF16_ffEEvbT_PKS1_PjPKT0_NS_24const_host_device_scalarIT4_EES3_S7_PKT1_PKT2_SA_PT3_21rocsparse_index_base_b.num_agpr, 0
	.set _ZN9rocsparseL22csrmvn_adaptive_kernelIiiDF16_DF16_ffEEvbT_PKS1_PjPKT0_NS_24const_host_device_scalarIT4_EES3_S7_PKT1_PKT2_SA_PT3_21rocsparse_index_base_b.numbered_sgpr, 60
	.set _ZN9rocsparseL22csrmvn_adaptive_kernelIiiDF16_DF16_ffEEvbT_PKS1_PjPKT0_NS_24const_host_device_scalarIT4_EES3_S7_PKT1_PKT2_SA_PT3_21rocsparse_index_base_b.num_named_barrier, 0
	.set _ZN9rocsparseL22csrmvn_adaptive_kernelIiiDF16_DF16_ffEEvbT_PKS1_PjPKT0_NS_24const_host_device_scalarIT4_EES3_S7_PKT1_PKT2_SA_PT3_21rocsparse_index_base_b.private_seg_size, 0
	.set _ZN9rocsparseL22csrmvn_adaptive_kernelIiiDF16_DF16_ffEEvbT_PKS1_PjPKT0_NS_24const_host_device_scalarIT4_EES3_S7_PKT1_PKT2_SA_PT3_21rocsparse_index_base_b.uses_vcc, 1
	.set _ZN9rocsparseL22csrmvn_adaptive_kernelIiiDF16_DF16_ffEEvbT_PKS1_PjPKT0_NS_24const_host_device_scalarIT4_EES3_S7_PKT1_PKT2_SA_PT3_21rocsparse_index_base_b.uses_flat_scratch, 0
	.set _ZN9rocsparseL22csrmvn_adaptive_kernelIiiDF16_DF16_ffEEvbT_PKS1_PjPKT0_NS_24const_host_device_scalarIT4_EES3_S7_PKT1_PKT2_SA_PT3_21rocsparse_index_base_b.has_dyn_sized_stack, 0
	.set _ZN9rocsparseL22csrmvn_adaptive_kernelIiiDF16_DF16_ffEEvbT_PKS1_PjPKT0_NS_24const_host_device_scalarIT4_EES3_S7_PKT1_PKT2_SA_PT3_21rocsparse_index_base_b.has_recursion, 0
	.set _ZN9rocsparseL22csrmvn_adaptive_kernelIiiDF16_DF16_ffEEvbT_PKS1_PjPKT0_NS_24const_host_device_scalarIT4_EES3_S7_PKT1_PKT2_SA_PT3_21rocsparse_index_base_b.has_indirect_call, 0
	.section	.AMDGPU.csdata,"",@progbits
; Kernel info:
; codeLenInByte = 3936
; TotalNumSgprs: 66
; NumVgprs: 18
; NumAgprs: 0
; TotalNumVgprs: 18
; ScratchSize: 0
; MemoryBound: 0
; FloatMode: 240
; IeeeMode: 1
; LDSByteSize: 4096 bytes/workgroup (compile time only)
; SGPRBlocks: 8
; VGPRBlocks: 2
; NumSGPRsForWavesPerEU: 66
; NumVGPRsForWavesPerEU: 18
; AccumOffset: 20
; Occupancy: 8
; WaveLimiterHint : 1
; COMPUTE_PGM_RSRC2:SCRATCH_EN: 0
; COMPUTE_PGM_RSRC2:USER_SGPR: 2
; COMPUTE_PGM_RSRC2:TRAP_HANDLER: 0
; COMPUTE_PGM_RSRC2:TGID_X_EN: 1
; COMPUTE_PGM_RSRC2:TGID_Y_EN: 0
; COMPUTE_PGM_RSRC2:TGID_Z_EN: 0
; COMPUTE_PGM_RSRC2:TIDIG_COMP_CNT: 0
; COMPUTE_PGM_RSRC3_GFX90A:ACCUM_OFFSET: 4
; COMPUTE_PGM_RSRC3_GFX90A:TG_SPLIT: 0
	.section	.text._ZN9rocsparseL27csrmvn_symm_adaptive_kernelIiiDF16_DF16_ffEEvbT_S1_PKS1_NS_24const_host_device_scalarIT4_EES3_PKT0_PKT1_PKT2_S6_PT3_21rocsparse_index_base_b,"axG",@progbits,_ZN9rocsparseL27csrmvn_symm_adaptive_kernelIiiDF16_DF16_ffEEvbT_S1_PKS1_NS_24const_host_device_scalarIT4_EES3_PKT0_PKT1_PKT2_S6_PT3_21rocsparse_index_base_b,comdat
	.globl	_ZN9rocsparseL27csrmvn_symm_adaptive_kernelIiiDF16_DF16_ffEEvbT_S1_PKS1_NS_24const_host_device_scalarIT4_EES3_PKT0_PKT1_PKT2_S6_PT3_21rocsparse_index_base_b ; -- Begin function _ZN9rocsparseL27csrmvn_symm_adaptive_kernelIiiDF16_DF16_ffEEvbT_S1_PKS1_NS_24const_host_device_scalarIT4_EES3_PKT0_PKT1_PKT2_S6_PT3_21rocsparse_index_base_b
	.p2align	8
	.type	_ZN9rocsparseL27csrmvn_symm_adaptive_kernelIiiDF16_DF16_ffEEvbT_S1_PKS1_NS_24const_host_device_scalarIT4_EES3_PKT0_PKT1_PKT2_S6_PT3_21rocsparse_index_base_b,@function
_ZN9rocsparseL27csrmvn_symm_adaptive_kernelIiiDF16_DF16_ffEEvbT_S1_PKS1_NS_24const_host_device_scalarIT4_EES3_PKT0_PKT1_PKT2_S6_PT3_21rocsparse_index_base_b: ; @_ZN9rocsparseL27csrmvn_symm_adaptive_kernelIiiDF16_DF16_ffEEvbT_S1_PKS1_NS_24const_host_device_scalarIT4_EES3_PKT0_PKT1_PKT2_S6_PT3_21rocsparse_index_base_b
; %bb.0:
	s_load_dwordx2 s[22:23], s[0:1], 0x50
	s_load_dwordx2 s[24:25], s[0:1], 0x18
	;; [unrolled: 1-line block ×3, first 2 shown]
	s_waitcnt lgkmcnt(0)
	s_bitcmp1_b32 s23, 0
	s_cselect_b64 s[8:9], -1, 0
	s_xor_b64 s[6:7], s[8:9], -1
	s_and_b64 vcc, exec, s[8:9]
	s_cbranch_vccnz .LBB65_2
; %bb.1:
	s_load_dword s24, s[24:25], 0x0
.LBB65_2:
	s_andn2_b64 vcc, exec, s[6:7]
	s_cbranch_vccnz .LBB65_4
; %bb.3:
	s_load_dword s4, s[4:5], 0x0
.LBB65_4:
	s_waitcnt lgkmcnt(0)
	v_cmp_neq_f32_e64 s[6:7], s24, 0
	v_cmp_neq_f32_e64 s[4:5], s4, 1.0
	s_or_b64 s[4:5], s[6:7], s[4:5]
	s_andn2_b64 vcc, exec, s[4:5]
	s_cbranch_vccnz .LBB65_148
; %bb.5:
	s_load_dwordx2 s[4:5], s[0:1], 0x10
	s_ashr_i32 s3, s2, 31
	s_lshl_b64 s[2:3], s[2:3], 2
	v_lshlrev_b32_e32 v10, 2, v0
	v_mov_b32_e32 v1, 0
	s_waitcnt lgkmcnt(0)
	s_add_u32 s2, s4, s2
	s_addc_u32 s3, s5, s3
	ds_write2st64_b32 v10, v1, v1 offset1:4
	ds_write2st64_b32 v10, v1, v1 offset0:8 offset1:12
	s_waitcnt lgkmcnt(0)
	s_barrier
	s_load_dwordx2 s[20:21], s[2:3], 0x0
	s_load_dwordx8 s[12:19], s[0:1], 0x20
	s_load_dwordx2 s[10:11], s[0:1], 0x48
	s_mov_b64 s[2:3], -1
	v_subrev_u32_e32 v1, s22, v0
	s_waitcnt lgkmcnt(0)
	s_sub_i32 s23, s21, s20
	s_cmp_gt_i32 s23, 2
	s_cbranch_scc1 .LBB65_34
; %bb.6:
	s_cmp_le_i32 s21, s20
	s_cbranch_scc1 .LBB65_24
; %bb.7:
	v_cmp_gt_u32_e32 vcc, 64, v0
	v_cmp_gt_u32_e64 s[2:3], 16, v0
	v_cmp_gt_u32_e64 s[4:5], 4, v0
	v_cmp_eq_u32_e64 s[6:7], 0, v0
	s_mov_b64 s[26:27], 0x400
	s_mov_b64 s[28:29], 0x200
	v_mov_b32_e32 v8, 0
	s_mov_b32 s30, s20
	s_branch .LBB65_9
.LBB65_8:                               ;   in Loop: Header=BB65_9 Depth=1
	s_or_b64 exec, exec, s[36:37]
	s_add_i32 s30, s30, 1
	s_cmp_ge_i32 s30, s21
	s_cbranch_scc1 .LBB65_24
.LBB65_9:                               ; =>This Loop Header: Depth=1
                                        ;     Child Loop BB65_11 Depth 2
	s_ashr_i32 s31, s30, 31
	s_lshl_b64 s[34:35], s[30:31], 2
	s_add_u32 s8, s12, s34
	s_addc_u32 s9, s13, s35
	s_load_dwordx2 s[36:37], s[8:9], 0x0
	v_mov_b32_e32 v3, 0
	s_waitcnt lgkmcnt(0)
	v_add_u32_e32 v2, s36, v1
	s_sub_i32 s25, s37, s22
	v_cmp_gt_i32_e64 s[8:9], s25, v2
	s_and_saveexec_b64 s[36:37], s[8:9]
	s_cbranch_execz .LBB65_13
; %bb.10:                               ;   in Loop: Header=BB65_9 Depth=1
	v_ashrrev_i32_e32 v3, 31, v2
	v_lshl_add_u64 v[4:5], v[2:3], 2, s[14:15]
	v_lshl_add_u64 v[6:7], v[2:3], 1, s[16:17]
	v_mov_b32_e32 v3, 0
	s_mov_b64 s[38:39], 0
.LBB65_11:                              ;   Parent Loop BB65_9 Depth=1
                                        ; =>  This Inner Loop Header: Depth=2
	global_load_dword v9, v[4:5], off
	global_load_ushort v11, v[6:7], off
	v_add_u32_e32 v2, 0x100, v2
	v_cmp_le_i32_e64 s[8:9], s25, v2
	v_lshl_add_u64 v[4:5], v[4:5], 0, s[26:27]
	v_lshl_add_u64 v[6:7], v[6:7], 0, s[28:29]
	s_or_b64 s[38:39], s[8:9], s[38:39]
	s_waitcnt vmcnt(1)
	v_subrev_u32_e32 v12, s22, v9
	v_ashrrev_i32_e32 v13, 31, v12
	v_lshl_add_u64 v[12:13], v[12:13], 1, s[18:19]
	global_load_ushort v9, v[12:13], off
	s_waitcnt vmcnt(0)
	v_fma_mix_f32 v3, v11, v9, v3 op_sel_hi:[1,1,0]
	s_andn2_b64 exec, exec, s[38:39]
	s_cbranch_execnz .LBB65_11
; %bb.12:                               ;   in Loop: Header=BB65_9 Depth=1
	s_or_b64 exec, exec, s[38:39]
.LBB65_13:                              ;   in Loop: Header=BB65_9 Depth=1
	s_or_b64 exec, exec, s[36:37]
	ds_write_b32 v10, v3
	s_waitcnt lgkmcnt(0)
	s_barrier
	ds_read2st64_b32 v[2:3], v10 offset1:4
	ds_read2st64_b32 v[4:5], v10 offset0:8 offset1:12
	s_waitcnt lgkmcnt(0)
	v_add_f32_e32 v3, v3, v4
	v_add_f32_e32 v3, v3, v5
	;; [unrolled: 1-line block ×3, first 2 shown]
	ds_write_b32 v10, v2
	s_waitcnt lgkmcnt(0)
	s_barrier
	s_and_saveexec_b64 s[8:9], vcc
	s_cbranch_execz .LBB65_15
; %bb.14:                               ;   in Loop: Header=BB65_9 Depth=1
	ds_read2st64_b32 v[2:3], v10 offset1:1
	ds_read2st64_b32 v[4:5], v10 offset0:2 offset1:3
	s_waitcnt lgkmcnt(0)
	v_add_f32_e32 v3, v3, v4
	v_add_f32_e32 v3, v3, v5
	;; [unrolled: 1-line block ×3, first 2 shown]
	ds_write_b32 v10, v2
.LBB65_15:                              ;   in Loop: Header=BB65_9 Depth=1
	s_or_b64 exec, exec, s[8:9]
	s_waitcnt lgkmcnt(0)
	s_barrier
	s_and_saveexec_b64 s[8:9], s[2:3]
	s_cbranch_execz .LBB65_17
; %bb.16:                               ;   in Loop: Header=BB65_9 Depth=1
	ds_read2_b32 v[2:3], v10 offset1:16
	ds_read2_b32 v[4:5], v10 offset0:32 offset1:48
	s_waitcnt lgkmcnt(0)
	v_add_f32_e32 v3, v3, v4
	v_add_f32_e32 v3, v3, v5
	;; [unrolled: 1-line block ×3, first 2 shown]
	ds_write_b32 v10, v2
.LBB65_17:                              ;   in Loop: Header=BB65_9 Depth=1
	s_or_b64 exec, exec, s[8:9]
	s_waitcnt lgkmcnt(0)
	s_barrier
	s_and_saveexec_b64 s[8:9], s[4:5]
	s_cbranch_execz .LBB65_19
; %bb.18:                               ;   in Loop: Header=BB65_9 Depth=1
	ds_read2_b32 v[2:3], v10 offset1:4
	ds_read2_b32 v[4:5], v10 offset0:8 offset1:12
	s_waitcnt lgkmcnt(0)
	v_add_f32_e32 v3, v3, v4
	v_add_f32_e32 v3, v3, v5
	;; [unrolled: 1-line block ×3, first 2 shown]
	ds_write_b32 v10, v2
.LBB65_19:                              ;   in Loop: Header=BB65_9 Depth=1
	s_or_b64 exec, exec, s[8:9]
	s_waitcnt lgkmcnt(0)
	s_barrier
	s_and_saveexec_b64 s[8:9], s[6:7]
	s_cbranch_execz .LBB65_21
; %bb.20:                               ;   in Loop: Header=BB65_9 Depth=1
	ds_read2_b32 v[2:3], v8 offset0:1 offset1:2
	ds_read_b32 v4, v8 offset:12
	ds_read_b32 v5, v10
	s_waitcnt lgkmcnt(2)
	v_add_f32_e32 v2, v2, v3
	s_waitcnt lgkmcnt(1)
	v_add_f32_e32 v2, v2, v4
	;; [unrolled: 2-line block ×3, first 2 shown]
	ds_write_b32 v10, v2
.LBB65_21:                              ;   in Loop: Header=BB65_9 Depth=1
	s_or_b64 exec, exec, s[8:9]
	s_waitcnt lgkmcnt(0)
	s_barrier
	s_and_saveexec_b64 s[36:37], s[6:7]
	s_cbranch_execz .LBB65_8
; %bb.22:                               ;   in Loop: Header=BB65_9 Depth=1
	s_mov_b64 s[38:39], exec
	v_mbcnt_lo_u32_b32 v2, s38, 0
	v_mbcnt_hi_u32_b32 v2, s39, v2
	v_cmp_eq_u32_e64 s[8:9], 0, v2
	s_and_b64 s[8:9], exec, s[8:9]
	s_mov_b64 exec, s[8:9]
	s_cbranch_execz .LBB65_8
; %bb.23:                               ;   in Loop: Header=BB65_9 Depth=1
	ds_read_b32 v2, v8
	s_add_u32 s8, s10, s34
	s_addc_u32 s9, s11, s35
	s_bcnt1_i32_b64 s25, s[38:39]
	v_cvt_f32_ubyte0_e32 v3, s25
	s_waitcnt lgkmcnt(0)
	v_mul_f32_e32 v2, s24, v2
	v_mul_f32_e32 v2, v2, v3
	global_atomic_add_f32 v8, v2, s[8:9]
	s_branch .LBB65_8
.LBB65_24:
	s_ashr_i32 s3, s20, 31
	s_mov_b32 s2, s20
	s_lshl_b64 s[2:3], s[2:3], 2
	s_add_u32 s2, s12, s2
	s_addc_u32 s3, s13, s3
	s_ashr_i32 s5, s21, 31
	s_mov_b32 s4, s21
	s_lshl_b64 s[4:5], s[4:5], 2
	s_add_u32 s4, s12, s4
	s_addc_u32 s5, s13, s5
	s_load_dword s6, s[4:5], 0x0
	s_load_dword s7, s[2:3], 0x0
	s_waitcnt lgkmcnt(0)
	s_sub_i32 s25, s6, s22
	v_add_u32_e32 v2, s7, v1
	v_cmp_gt_i32_e32 vcc, s25, v2
	s_and_saveexec_b64 s[6:7], vcc
	s_cbranch_execz .LBB65_33
; %bb.25:
	s_add_i32 s28, s21, -1
	s_cmp_lt_i32 s20, s28
	s_cselect_b64 s[2:3], -1, 0
	s_add_i32 s4, s21, -2
	s_cmp_lg_u32 s20, s4
	s_cselect_b64 s[4:5], -1, 0
	s_and_b64 s[2:3], s[2:3], s[4:5]
	v_cndmask_b32_e64 v3, 0, 1, s[2:3]
	s_mov_b64 s[8:9], 0
	v_cmp_ne_u32_e64 s[2:3], 1, v3
	s_branch .LBB65_27
.LBB65_26:                              ;   in Loop: Header=BB65_27 Depth=1
	s_or_b64 exec, exec, s[4:5]
	v_add_u32_e32 v2, 0x100, v2
	v_cmp_le_i32_e32 vcc, s25, v2
	s_or_b64 s[8:9], vcc, s[8:9]
	s_andn2_b64 exec, exec, s[8:9]
	s_cbranch_execz .LBB65_33
.LBB65_27:                              ; =>This Loop Header: Depth=1
                                        ;     Child Loop BB65_29 Depth 2
	s_and_b64 vcc, exec, s[2:3]
	v_mov_b32_e32 v6, s20
	v_mov_b32_e32 v4, s28
	s_cbranch_vccnz .LBB65_31
; %bb.28:                               ;   in Loop: Header=BB65_27 Depth=1
	s_mov_b64 s[26:27], 0
	v_mov_b32_e32 v6, s20
	v_mov_b32_e32 v4, s28
.LBB65_29:                              ;   Parent Loop BB65_27 Depth=1
                                        ; =>  This Inner Loop Header: Depth=2
	v_add_u32_e32 v3, v4, v6
	v_lshrrev_b32_e32 v5, 31, v3
	v_add_u32_e32 v3, v3, v5
	v_ashrrev_i32_e32 v8, 1, v3
	v_ashrrev_i32_e32 v9, 31, v8
	v_lshl_add_u64 v[12:13], v[8:9], 2, s[12:13]
	global_load_dword v3, v[12:13], off
	s_waitcnt vmcnt(0)
	v_subrev_u32_e32 v3, s22, v3
	v_cmp_lt_i32_e32 vcc, v2, v3
	s_nop 1
	v_cndmask_b32_e32 v4, v4, v8, vcc
	v_cndmask_b32_e32 v6, v8, v6, vcc
	v_add_u32_e32 v3, -1, v4
	v_cmp_ge_i32_e32 vcc, v6, v4
	v_cmp_eq_u32_e64 s[4:5], v6, v3
	s_or_b64 s[4:5], vcc, s[4:5]
	s_and_b64 s[4:5], exec, s[4:5]
	s_or_b64 s[26:27], s[4:5], s[26:27]
	s_andn2_b64 exec, exec, s[26:27]
	s_cbranch_execnz .LBB65_29
; %bb.30:                               ;   in Loop: Header=BB65_27 Depth=1
	s_or_b64 exec, exec, s[26:27]
.LBB65_31:                              ;   in Loop: Header=BB65_27 Depth=1
	v_ashrrev_i32_e32 v5, 31, v4
	v_lshl_add_u64 v[8:9], v[4:5], 2, s[12:13]
	global_load_dword v5, v[8:9], off
	v_ashrrev_i32_e32 v3, 31, v2
	v_lshl_add_u64 v[8:9], v[2:3], 2, s[14:15]
	global_load_dword v7, v[8:9], off
	s_waitcnt vmcnt(1)
	v_subrev_u32_e32 v5, s22, v5
	v_cmp_lt_i32_e32 vcc, v2, v5
	s_nop 1
	v_cndmask_b32_e32 v6, v4, v6, vcc
	s_waitcnt vmcnt(0)
	v_subrev_u32_e32 v4, s22, v7
	v_cmp_ne_u32_e32 vcc, v4, v6
	s_and_saveexec_b64 s[4:5], vcc
	s_cbranch_execz .LBB65_26
; %bb.32:                               ;   in Loop: Header=BB65_27 Depth=1
	v_lshl_add_u64 v[8:9], v[2:3], 1, s[16:17]
	v_ashrrev_i32_e32 v7, 31, v6
	global_load_ushort v3, v[8:9], off
	v_lshl_add_u64 v[6:7], v[6:7], 1, s[18:19]
	global_load_ushort v5, v[6:7], off
	s_waitcnt vmcnt(1)
	v_cvt_f32_f16_e32 v3, v3
	s_waitcnt vmcnt(0)
	v_cvt_f32_f16_e32 v6, v5
	v_ashrrev_i32_e32 v5, 31, v4
	v_mul_f32_e32 v3, s24, v3
	v_lshl_add_u64 v[4:5], v[4:5], 2, s[10:11]
	v_mul_f32_e32 v3, v3, v6
	global_atomic_add_f32 v[4:5], v3, off
	s_branch .LBB65_26
.LBB65_33:
	s_or_b64 exec, exec, s[6:7]
	s_mov_b64 s[2:3], 0
.LBB65_34:
	s_and_b64 vcc, exec, s[2:3]
	s_cbranch_vccz .LBB65_148
; %bb.35:
	v_cvt_f32_u32_e32 v2, s23
	s_ashr_i32 s3, s20, 31
	s_mov_b32 s2, s20
	s_sub_i32 s8, 0, s23
	v_rcp_iflag_f32_e32 v2, v2
	s_lshl_b64 s[2:3], s[2:3], 2
	s_add_u32 s4, s12, s2
	s_addc_u32 s5, s13, s3
	v_mul_f32_e32 v2, 0x4f7ffffe, v2
	v_cvt_u32_f32_e32 v2, v2
	s_load_dword s33, s[4:5], 0x0
	s_load_dwordx2 s[6:7], s[0:1], 0x4
	s_load_dword s36, s[0:1], 0x64
	v_readfirstlane_b32 s37, v2
	s_waitcnt lgkmcnt(0)
	v_add_u32_e32 v2, s33, v1
	s_mul_i32 s8, s8, s37
	v_add_u32_e32 v11, 0x300, v2
	s_mul_hi_u32 s38, s37, s8
	v_cmp_le_i32_e32 vcc, s6, v11
	s_and_saveexec_b64 s[0:1], vcc
	s_xor_b64 s[2:3], exec, s[0:1]
	s_cbranch_execz .LBB65_47
; %bb.36:
	s_ashr_i32 s1, s21, 31
	s_mov_b32 s0, s21
	s_lshl_b64 s[0:1], s[0:1], 2
	s_add_u32 s0, s12, s0
	s_addc_u32 s1, s13, s1
	s_load_dword s25, s[0:1], 0x0
	s_waitcnt lgkmcnt(0)
	s_sub_i32 s6, s25, s33
	v_cmp_gt_i32_e64 s[0:1], s6, v0
	s_and_saveexec_b64 s[8:9], s[0:1]
	s_cbranch_execz .LBB65_46
; %bb.37:
	v_xad_u32 v1, v0, -1, s25
	v_subrev_u32_e32 v3, s33, v1
	s_movk_i32 s0, 0x1100
	v_cmp_gt_u32_e64 s[26:27], s0, v3
	s_movk_i32 s0, 0x10ff
	v_cmp_lt_u32_e64 s[0:1], s0, v3
	v_mov_b32_e32 v1, 0
	s_and_saveexec_b64 s[28:29], s[0:1]
	s_cbranch_execz .LBB65_43
; %bb.38:
	v_and_b32_e32 v1, 0xffffff00, v3
	v_add_u32_e32 v1, v2, v1
	v_cmp_ge_i32_e64 s[0:1], v1, v2
	s_mov_b64 s[34:35], -1
	v_mov_b32_e32 v1, 0
	s_and_saveexec_b64 s[30:31], s[0:1]
	s_cbranch_execz .LBB65_42
; %bb.39:
	v_lshrrev_b32_e32 v1, 8, v3
	v_add_u32_e32 v3, 1, v1
	v_and_b32_e32 v4, 0x1fffffe, v3
	v_mov_b32_e32 v1, v2
	s_mov_b32 s25, s24
	s_movk_i32 s39, 0x100
	s_mov_b32 s40, 0
	s_mov_b64 s[34:35], 0
	v_mov_b32_e32 v5, v4
	v_mov_b32_e32 v6, v10
.LBB65_40:                              ; =>This Inner Loop Header: Depth=1
	v_add_u32_e32 v12, s39, v1
	v_add_u32_e32 v8, s40, v2
	v_ashrrev_i32_e32 v13, 31, v12
	v_ashrrev_i32_e32 v9, 31, v8
	v_lshl_add_u64 v[12:13], v[12:13], 1, s[16:17]
	v_lshl_add_u64 v[8:9], v[8:9], 1, s[16:17]
	global_load_ushort v7, v[12:13], off
	global_load_ushort v14, v[8:9], off
	v_add_u32_e32 v5, -2, v5
	s_addk_i32 s40, 0x200
	s_addk_i32 s39, 0x200
	v_cmp_eq_u32_e64 s[0:1], 0, v5
	s_or_b64 s[34:35], s[0:1], s[34:35]
	s_waitcnt vmcnt(1)
	v_cvt_f32_f16_e32 v9, v7
	s_waitcnt vmcnt(0)
	v_cvt_f32_f16_e32 v8, v14
	v_pk_mul_f32 v[8:9], s[24:25], v[8:9]
	ds_write2st64_b32 v6, v8, v9 offset1:4
	v_add_u32_e32 v6, 0x800, v6
	s_andn2_b64 exec, exec, s[34:35]
	s_cbranch_execnz .LBB65_40
; %bb.41:
	s_or_b64 exec, exec, s[34:35]
	v_cmp_ne_u32_e64 s[0:1], v3, v4
	v_lshlrev_b32_e32 v1, 8, v4
	s_orn2_b64 s[34:35], s[0:1], exec
.LBB65_42:
	s_or_b64 exec, exec, s[30:31]
	s_andn2_b64 s[0:1], s[26:27], exec
	s_and_b64 s[26:27], s[34:35], exec
	s_or_b64 s[26:27], s[0:1], s[26:27]
.LBB65_43:
	s_or_b64 exec, exec, s[28:29]
	s_and_b64 exec, exec, s[26:27]
	s_cbranch_execz .LBB65_46
; %bb.44:
	v_add_u32_e32 v3, v0, v1
	v_lshlrev_b32_e32 v1, 2, v1
	v_lshl_add_u32 v1, v0, 2, v1
	s_sub_i32 s25, s33, s22
	s_mov_b64 s[26:27], 0
.LBB65_45:                              ; =>This Inner Loop Header: Depth=1
	v_add_u32_e32 v4, s25, v3
	v_ashrrev_i32_e32 v5, 31, v4
	v_lshl_add_u64 v[4:5], v[4:5], 1, s[16:17]
	global_load_ushort v4, v[4:5], off
	v_add_u32_e32 v3, 0x100, v3
	v_cmp_le_i32_e64 s[0:1], s6, v3
	s_or_b64 s[26:27], s[0:1], s[26:27]
	s_waitcnt vmcnt(0)
	v_cvt_f32_f16_e32 v4, v4
	v_mul_f32_e32 v4, s24, v4
	ds_write_b32 v1, v4
	v_add_u32_e32 v1, 0x400, v1
	s_andn2_b64 exec, exec, s[26:27]
	s_cbranch_execnz .LBB65_45
.LBB65_46:
	s_or_b64 exec, exec, s[8:9]
.LBB65_47:
	s_or_saveexec_b64 s[0:1], s[2:3]
	s_and_b32 s28, s36, 0xffff
	s_add_i32 s37, s37, s38
	v_ashrrev_i32_e32 v3, 31, v2
	s_xor_b64 exec, exec, s[0:1]
	s_cbranch_execz .LBB65_49
; %bb.48:
	v_lshl_add_u64 v[4:5], v[2:3], 1, s[16:17]
	global_load_ushort v1, v[4:5], off
	global_load_ushort v6, v[4:5], off offset:512
	global_load_ushort v7, v[4:5], off offset:1024
	;; [unrolled: 1-line block ×3, first 2 shown]
	s_waitcnt vmcnt(3)
	v_cvt_f32_f16_e32 v1, v1
	s_waitcnt vmcnt(2)
	v_cvt_f32_f16_e32 v4, v6
	;; [unrolled: 2-line block ×4, first 2 shown]
	v_mul_f32_e32 v1, s24, v1
	v_mul_f32_e32 v4, s24, v4
	;; [unrolled: 1-line block ×4, first 2 shown]
	ds_write2st64_b32 v10, v1, v4 offset1:4
	ds_write2st64_b32 v10, v5, v6 offset0:8 offset1:12
.LBB65_49:
	s_or_b64 exec, exec, s[0:1]
	s_mul_hi_u32 s6, s28, s37
	v_cmp_gt_i32_e64 s[0:1], s7, v0
	s_and_saveexec_b64 s[2:3], s[0:1]
	s_cbranch_execz .LBB65_52
; %bb.50:
	v_mov_b32_e32 v1, 0x1000
	v_lshl_add_u32 v1, v0, 2, v1
	s_mov_b64 s[8:9], 0
	v_mov_b32_e32 v4, 0
	v_mov_b32_e32 v5, v0
.LBB65_51:                              ; =>This Inner Loop Header: Depth=1
	v_add_u32_e32 v5, 0x100, v5
	v_cmp_le_i32_e64 s[0:1], s7, v5
	ds_write_b32 v1, v4
	s_or_b64 s[8:9], s[0:1], s[8:9]
	v_add_u32_e32 v1, 0x400, v1
	s_andn2_b64 exec, exec, s[8:9]
	s_cbranch_execnz .LBB65_51
.LBB65_52:
	s_or_b64 exec, exec, s[2:3]
	s_sub_i32 s0, s21, s7
	s_cmp_ge_i32 s21, s7
	s_cselect_b32 s29, s0, 0
	s_waitcnt lgkmcnt(0)
	s_barrier
	s_and_saveexec_b64 s[0:1], vcc
	s_xor_b64 s[8:9], exec, s[0:1]
	s_cbranch_execz .LBB65_69
; %bb.53:
	s_ashr_i32 s1, s21, 31
	s_mov_b32 s0, s21
	s_lshl_b64 s[0:1], s[0:1], 2
	s_add_u32 s0, s12, s0
	s_addc_u32 s1, s13, s1
	s_load_dword s0, s[0:1], 0x0
	s_waitcnt lgkmcnt(0)
	s_sub_i32 s30, s0, s33
	v_cmp_gt_i32_e32 vcc, s30, v0
	s_and_saveexec_b64 s[16:17], vcc
	s_cbranch_execz .LBB65_68
; %bb.54:
	s_add_i32 s31, s21, -1
	s_add_i32 s1, s21, -2
	s_cmp_lg_u32 s20, s1
	s_cselect_b64 s[2:3], -1, 0
	v_cndmask_b32_e64 v1, 0, 1, s[2:3]
	s_sub_i32 s34, s0, s22
	s_mov_b32 s35, 0
	s_mov_b64 s[24:25], 0
	v_cmp_ne_u32_e64 s[0:1], 1, v1
	v_mov_b32_e32 v1, 0x1000
	s_branch .LBB65_57
.LBB65_55:                              ;   in Loop: Header=BB65_57 Depth=1
	s_or_b64 exec, exec, s[2:3]
.LBB65_56:                              ;   in Loop: Header=BB65_57 Depth=1
	s_or_b64 exec, exec, s[26:27]
	v_ashrrev_i32_e32 v5, 31, v4
	v_lshl_add_u64 v[4:5], v[4:5], 1, s[18:19]
	global_load_ushort v4, v[4:5], off
	s_addk_i32 s35, 0x100
	v_add_u32_e32 v5, s35, v0
	v_cmp_le_i32_e32 vcc, s30, v5
	s_or_b64 s[24:25], vcc, s[24:25]
	s_waitcnt vmcnt(0)
	v_cvt_f32_f16_e32 v4, v4
	s_waitcnt lgkmcnt(0)
	v_mul_f32_e32 v4, v7, v4
	ds_write_b32 v3, v4
	s_andn2_b64 exec, exec, s[24:25]
	s_cbranch_execz .LBB65_68
.LBB65_57:                              ; =>This Loop Header: Depth=1
                                        ;     Child Loop BB65_59 Depth 2
	v_add_u32_e32 v6, s35, v2
	s_and_b64 vcc, exec, s[0:1]
	v_mov_b32_e32 v3, s20
	v_mov_b32_e32 v8, s31
	s_cbranch_vccnz .LBB65_61
; %bb.58:                               ;   in Loop: Header=BB65_57 Depth=1
	s_mov_b64 s[26:27], 0
	v_mov_b32_e32 v3, s20
	v_mov_b32_e32 v8, s31
.LBB65_59:                              ;   Parent Loop BB65_57 Depth=1
                                        ; =>  This Inner Loop Header: Depth=2
	v_add_u32_e32 v4, v8, v3
	v_lshrrev_b32_e32 v5, 31, v4
	v_add_u32_e32 v4, v4, v5
	v_ashrrev_i32_e32 v4, 1, v4
	v_ashrrev_i32_e32 v5, 31, v4
	v_lshl_add_u64 v[12:13], v[4:5], 2, s[12:13]
	global_load_dword v5, v[12:13], off
	s_waitcnt vmcnt(0)
	v_subrev_u32_e32 v5, s22, v5
	v_cmp_lt_i32_e32 vcc, v6, v5
	s_nop 1
	v_cndmask_b32_e32 v8, v8, v4, vcc
	v_cndmask_b32_e32 v3, v4, v3, vcc
	v_add_u32_e32 v4, -1, v8
	v_cmp_ge_i32_e32 vcc, v3, v8
	v_cmp_eq_u32_e64 s[2:3], v3, v4
	s_or_b64 s[2:3], vcc, s[2:3]
	s_and_b64 s[2:3], exec, s[2:3]
	s_or_b64 s[26:27], s[2:3], s[26:27]
	s_andn2_b64 exec, exec, s[26:27]
	s_cbranch_execnz .LBB65_59
; %bb.60:                               ;   in Loop: Header=BB65_57 Depth=1
	s_or_b64 exec, exec, s[26:27]
.LBB65_61:                              ;   in Loop: Header=BB65_57 Depth=1
	v_ashrrev_i32_e32 v9, 31, v8
	v_lshl_add_u64 v[4:5], v[8:9], 2, s[12:13]
	global_load_dword v9, v[4:5], off
	v_ashrrev_i32_e32 v7, 31, v6
	v_lshl_add_u64 v[4:5], v[6:7], 2, s[14:15]
	global_load_dword v4, v[4:5], off
	v_cmp_le_i32_e32 vcc, s34, v6
                                        ; implicit-def: $vgpr7
	s_waitcnt vmcnt(1)
	v_subrev_u32_e32 v5, s22, v9
	v_cmp_lt_i32_e64 s[2:3], v6, v5
	s_waitcnt vmcnt(0)
	v_subrev_u32_e32 v4, s22, v4
	v_cndmask_b32_e64 v6, v8, v3, s[2:3]
	v_cmp_eq_u32_e64 s[2:3], v4, v6
	s_or_b64 s[2:3], s[2:3], vcc
	v_lshl_add_u32 v3, s35, 2, v10
	s_and_saveexec_b64 s[26:27], s[2:3]
	s_xor_b64 s[2:3], exec, s[26:27]
; %bb.62:                               ;   in Loop: Header=BB65_57 Depth=1
	ds_read_b32 v7, v3
                                        ; implicit-def: $vgpr6
; %bb.63:                               ;   in Loop: Header=BB65_57 Depth=1
	s_andn2_saveexec_b64 s[26:27], s[2:3]
	s_cbranch_execz .LBB65_56
; %bb.64:                               ;   in Loop: Header=BB65_57 Depth=1
	s_waitcnt lgkmcnt(0)
	v_ashrrev_i32_e32 v7, 31, v6
	v_lshl_add_u64 v[6:7], v[6:7], 1, s[18:19]
	global_load_ushort v5, v[6:7], off
	ds_read_b32 v7, v3
	v_cmp_gt_i32_e32 vcc, s29, v4
	v_cmp_le_i32_e64 s[2:3], s21, v4
	s_or_b64 s[2:3], vcc, s[2:3]
	s_waitcnt vmcnt(0)
	v_cvt_f32_f16_e32 v5, v5
	s_waitcnt lgkmcnt(0)
	v_mul_f32_e32 v6, v7, v5
	s_and_saveexec_b64 s[36:37], s[2:3]
	s_xor_b64 s[2:3], exec, s[36:37]
	s_cbranch_execz .LBB65_66
; %bb.65:                               ;   in Loop: Header=BB65_57 Depth=1
	v_ashrrev_i32_e32 v5, 31, v4
	v_lshl_add_u64 v[8:9], v[4:5], 2, s[10:11]
	global_atomic_add_f32 v[8:9], v6, off
                                        ; implicit-def: $vgpr6
.LBB65_66:                              ;   in Loop: Header=BB65_57 Depth=1
	s_andn2_saveexec_b64 s[2:3], s[2:3]
	s_cbranch_execz .LBB65_55
; %bb.67:                               ;   in Loop: Header=BB65_57 Depth=1
	v_subrev_u32_e32 v5, s29, v4
	v_lshl_add_u32 v5, v5, 2, v1
	ds_add_f32 v5, v6
	s_branch .LBB65_55
.LBB65_68:
	s_or_b64 exec, exec, s[16:17]
                                        ; implicit-def: $vgpr11
                                        ; implicit-def: $vgpr2
.LBB65_69:
	s_andn2_saveexec_b64 s[8:9], s[8:9]
	s_cbranch_execz .LBB65_123
; %bb.70:
	s_add_i32 s26, s21, -1
	s_add_i32 s0, s21, -2
	s_cmp_lg_u32 s20, s0
	s_cselect_b64 s[2:3], -1, 0
	s_cmp_eq_u32 s20, s0
	v_mov_b32_e32 v1, s20
	v_mov_b32_e32 v6, s26
	s_cbranch_scc1 .LBB65_74
; %bb.71:
	s_mov_b64 s[16:17], 0
	v_mov_b32_e32 v1, s20
	v_mov_b32_e32 v6, s26
.LBB65_72:                              ; =>This Inner Loop Header: Depth=1
	v_add_u32_e32 v4, v6, v1
	v_lshrrev_b32_e32 v5, 31, v4
	v_add_u32_e32 v4, v4, v5
	v_ashrrev_i32_e32 v4, 1, v4
	v_ashrrev_i32_e32 v5, 31, v4
	v_lshl_add_u64 v[8:9], v[4:5], 2, s[12:13]
	global_load_dword v5, v[8:9], off
	s_waitcnt vmcnt(0)
	v_subrev_u32_e32 v5, s22, v5
	v_cmp_lt_i32_e32 vcc, v2, v5
	s_nop 1
	v_cndmask_b32_e32 v6, v6, v4, vcc
	v_cndmask_b32_e32 v1, v4, v1, vcc
	v_add_u32_e32 v4, -1, v6
	v_cmp_ge_i32_e32 vcc, v1, v6
	v_cmp_eq_u32_e64 s[0:1], v1, v4
	s_or_b64 s[0:1], vcc, s[0:1]
	s_and_b64 s[0:1], exec, s[0:1]
	s_or_b64 s[16:17], s[0:1], s[16:17]
	s_andn2_b64 exec, exec, s[16:17]
	s_cbranch_execnz .LBB65_72
; %bb.73:
	s_or_b64 exec, exec, s[16:17]
.LBB65_74:
	v_ashrrev_i32_e32 v7, 31, v6
	v_lshl_add_u64 v[4:5], v[6:7], 2, s[12:13]
	global_load_dword v7, v[4:5], off
	v_lshl_add_u64 v[4:5], v[2:3], 2, s[14:15]
	global_load_dword v3, v[4:5], off
	s_ashr_i32 s1, s21, 31
	s_mov_b32 s0, s21
	s_lshl_b64 s[0:1], s[0:1], 2
	s_add_u32 s14, s12, s0
	s_addc_u32 s15, s13, s1
	s_waitcnt vmcnt(1)
	v_subrev_u32_e32 v7, s22, v7
	v_cmp_lt_i32_e32 vcc, v2, v7
	s_nop 1
	v_cndmask_b32_e32 v8, v6, v1, vcc
	s_waitcnt vmcnt(0)
	v_subrev_u32_e32 v6, s22, v3
	v_cmp_ne_u32_e32 vcc, v6, v8
                                        ; implicit-def: $vgpr3
	s_and_saveexec_b64 s[0:1], vcc
	s_xor_b64 s[16:17], exec, s[0:1]
	s_cbranch_execz .LBB65_81
; %bb.75:
	s_load_dword s0, s[14:15], 0x0
	ds_read_b32 v3, v10
	s_waitcnt lgkmcnt(0)
	s_sub_i32 s0, s0, s22
	v_cmp_gt_i32_e32 vcc, s0, v2
	s_and_saveexec_b64 s[24:25], vcc
	s_cbranch_execz .LBB65_80
; %bb.76:
	v_ashrrev_i32_e32 v9, 31, v8
	v_lshl_add_u64 v[8:9], v[8:9], 1, s[18:19]
	global_load_ushort v1, v[8:9], off
	v_cmp_gt_i32_e32 vcc, s29, v6
	v_cmp_le_i32_e64 s[0:1], s21, v6
	s_or_b64 s[0:1], vcc, s[0:1]
	s_waitcnt vmcnt(0)
	v_cvt_f32_f16_e32 v1, v1
	v_mul_f32_e32 v1, v3, v1
	s_and_saveexec_b64 s[30:31], s[0:1]
	s_xor_b64 s[0:1], exec, s[30:31]
	s_cbranch_execz .LBB65_78
; %bb.77:
	v_ashrrev_i32_e32 v7, 31, v6
	v_lshl_add_u64 v[8:9], v[6:7], 2, s[10:11]
	global_atomic_add_f32 v[8:9], v1, off
                                        ; implicit-def: $vgpr1
.LBB65_78:
	s_andn2_saveexec_b64 s[0:1], s[0:1]
; %bb.79:
	v_subrev_u32_e32 v7, s29, v6
	v_mov_b32_e32 v8, 0x1000
	v_lshl_add_u32 v7, v7, 2, v8
	ds_add_f32 v7, v1
.LBB65_80:
	s_or_b64 exec, exec, s[24:25]
.LBB65_81:
	s_andn2_saveexec_b64 s[0:1], s[16:17]
; %bb.82:
	ds_read_b32 v3, v10
; %bb.83:
	s_or_b64 exec, exec, s[0:1]
	v_ashrrev_i32_e32 v7, 31, v6
	v_lshl_add_u64 v[6:7], v[6:7], 1, s[18:19]
	global_load_ushort v6, v[6:7], off
	v_cndmask_b32_e64 v7, 0, 1, s[2:3]
	v_add_u32_e32 v1, 0x100, v2
	v_mov_b32_e32 v8, s20
	v_cmp_ne_u32_e64 s[0:1], 1, v7
	s_andn2_b64 vcc, exec, s[2:3]
	s_waitcnt vmcnt(0)
	v_cvt_f32_f16_e32 v6, v6
	s_waitcnt lgkmcnt(0)
	v_mul_f32_e32 v3, v3, v6
	v_mov_b32_e32 v6, s26
	ds_write_b32 v10, v3
	s_cbranch_vccnz .LBB65_87
; %bb.84:
	s_mov_b64 s[16:17], 0
	v_mov_b32_e32 v8, s20
	v_mov_b32_e32 v6, s26
.LBB65_85:                              ; =>This Inner Loop Header: Depth=1
	v_add_u32_e32 v3, v6, v8
	v_lshrrev_b32_e32 v7, 31, v3
	v_add_u32_e32 v3, v3, v7
	v_ashrrev_i32_e32 v12, 1, v3
	v_ashrrev_i32_e32 v13, 31, v12
	v_lshl_add_u64 v[14:15], v[12:13], 2, s[12:13]
	global_load_dword v3, v[14:15], off
	s_waitcnt vmcnt(0)
	v_subrev_u32_e32 v3, s22, v3
	v_cmp_lt_i32_e32 vcc, v1, v3
	s_nop 1
	v_cndmask_b32_e32 v6, v6, v12, vcc
	v_cndmask_b32_e32 v8, v12, v8, vcc
	v_add_u32_e32 v3, -1, v6
	v_cmp_ge_i32_e32 vcc, v8, v6
	v_cmp_eq_u32_e64 s[2:3], v8, v3
	s_or_b64 s[2:3], vcc, s[2:3]
	s_and_b64 s[2:3], exec, s[2:3]
	s_or_b64 s[16:17], s[2:3], s[16:17]
	s_andn2_b64 exec, exec, s[16:17]
	s_cbranch_execnz .LBB65_85
; %bb.86:
	s_or_b64 exec, exec, s[16:17]
.LBB65_87:
	v_ashrrev_i32_e32 v7, 31, v6
	v_lshl_add_u64 v[12:13], v[6:7], 2, s[12:13]
	global_load_dword v3, v[12:13], off
	global_load_dword v7, v[4:5], off offset:1024
	s_waitcnt vmcnt(1)
	v_subrev_u32_e32 v3, s22, v3
	v_cmp_lt_i32_e32 vcc, v1, v3
                                        ; implicit-def: $vgpr3
	s_nop 1
	v_cndmask_b32_e32 v8, v6, v8, vcc
	s_waitcnt vmcnt(0)
	v_subrev_u32_e32 v6, s22, v7
	v_cmp_ne_u32_e32 vcc, v6, v8
	s_and_saveexec_b64 s[2:3], vcc
	s_xor_b64 s[16:17], exec, s[2:3]
	s_cbranch_execz .LBB65_94
; %bb.88:
	s_load_dword s2, s[14:15], 0x0
	ds_read_b32 v3, v10 offset:1024
	s_waitcnt lgkmcnt(0)
	s_sub_i32 s2, s2, s22
	v_cmp_gt_i32_e32 vcc, s2, v1
	s_and_saveexec_b64 s[24:25], vcc
	s_cbranch_execz .LBB65_93
; %bb.89:
	v_ashrrev_i32_e32 v9, 31, v8
	v_lshl_add_u64 v[8:9], v[8:9], 1, s[18:19]
	global_load_ushort v1, v[8:9], off
	v_cmp_gt_i32_e32 vcc, s29, v6
	v_cmp_le_i32_e64 s[2:3], s21, v6
	s_or_b64 s[2:3], vcc, s[2:3]
	s_waitcnt vmcnt(0)
	v_cvt_f32_f16_e32 v1, v1
	v_mul_f32_e32 v1, v3, v1
	s_and_saveexec_b64 s[30:31], s[2:3]
	s_xor_b64 s[2:3], exec, s[30:31]
	s_cbranch_execz .LBB65_91
; %bb.90:
	v_ashrrev_i32_e32 v7, 31, v6
	v_lshl_add_u64 v[8:9], v[6:7], 2, s[10:11]
	global_atomic_add_f32 v[8:9], v1, off
                                        ; implicit-def: $vgpr1
.LBB65_91:
	s_andn2_saveexec_b64 s[2:3], s[2:3]
; %bb.92:
	v_subrev_u32_e32 v7, s29, v6
	v_mov_b32_e32 v8, 0x1000
	v_lshl_add_u32 v7, v7, 2, v8
	ds_add_f32 v7, v1
.LBB65_93:
	s_or_b64 exec, exec, s[24:25]
.LBB65_94:
	s_andn2_saveexec_b64 s[2:3], s[16:17]
; %bb.95:
	ds_read_b32 v3, v10 offset:1024
; %bb.96:
	s_or_b64 exec, exec, s[2:3]
	v_ashrrev_i32_e32 v7, 31, v6
	v_lshl_add_u64 v[6:7], v[6:7], 1, s[18:19]
	global_load_ushort v1, v[6:7], off
	s_and_b64 vcc, exec, s[0:1]
	v_mov_b32_e32 v6, s20
	s_waitcnt vmcnt(0)
	v_cvt_f32_f16_e32 v7, v1
	v_add_u32_e32 v1, 0x200, v2
	s_waitcnt lgkmcnt(0)
	v_mul_f32_e32 v2, v3, v7
	ds_write_b32 v10, v2 offset:1024
	v_mov_b32_e32 v2, s26
	s_cbranch_vccnz .LBB65_100
; %bb.97:
	s_mov_b64 s[16:17], 0
	v_mov_b32_e32 v6, s20
	v_mov_b32_e32 v2, s26
.LBB65_98:                              ; =>This Inner Loop Header: Depth=1
	v_add_u32_e32 v3, v2, v6
	v_lshrrev_b32_e32 v7, 31, v3
	v_add_u32_e32 v3, v3, v7
	v_ashrrev_i32_e32 v8, 1, v3
	v_ashrrev_i32_e32 v9, 31, v8
	v_lshl_add_u64 v[12:13], v[8:9], 2, s[12:13]
	global_load_dword v3, v[12:13], off
	s_waitcnt vmcnt(0)
	v_subrev_u32_e32 v3, s22, v3
	v_cmp_lt_i32_e32 vcc, v1, v3
	s_nop 1
	v_cndmask_b32_e32 v2, v2, v8, vcc
	v_cndmask_b32_e32 v6, v8, v6, vcc
	v_add_u32_e32 v3, -1, v2
	v_cmp_ge_i32_e32 vcc, v6, v2
	v_cmp_eq_u32_e64 s[2:3], v6, v3
	s_or_b64 s[2:3], vcc, s[2:3]
	s_and_b64 s[2:3], exec, s[2:3]
	s_or_b64 s[16:17], s[2:3], s[16:17]
	s_andn2_b64 exec, exec, s[16:17]
	s_cbranch_execnz .LBB65_98
; %bb.99:
	s_or_b64 exec, exec, s[16:17]
.LBB65_100:
	v_ashrrev_i32_e32 v3, 31, v2
	v_lshl_add_u64 v[8:9], v[2:3], 2, s[12:13]
	global_load_dword v3, v[8:9], off
	global_load_dword v7, v[4:5], off offset:2048
                                        ; implicit-def: $vgpr8
	s_waitcnt vmcnt(1)
	v_subrev_u32_e32 v3, s22, v3
	v_cmp_lt_i32_e32 vcc, v1, v3
	s_nop 1
	v_cndmask_b32_e32 v6, v2, v6, vcc
	s_waitcnt vmcnt(0)
	v_subrev_u32_e32 v2, s22, v7
	v_cmp_ne_u32_e32 vcc, v2, v6
	s_and_saveexec_b64 s[2:3], vcc
	s_xor_b64 s[16:17], exec, s[2:3]
	s_cbranch_execz .LBB65_107
; %bb.101:
	s_load_dword s2, s[14:15], 0x0
	ds_read_b32 v8, v10 offset:2048
	s_waitcnt lgkmcnt(0)
	s_sub_i32 s2, s2, s22
	v_cmp_gt_i32_e32 vcc, s2, v1
	s_and_saveexec_b64 s[24:25], vcc
	s_cbranch_execz .LBB65_106
; %bb.102:
	v_ashrrev_i32_e32 v7, 31, v6
	v_lshl_add_u64 v[6:7], v[6:7], 1, s[18:19]
	global_load_ushort v1, v[6:7], off
	v_cmp_gt_i32_e32 vcc, s29, v2
	v_cmp_le_i32_e64 s[2:3], s21, v2
	s_or_b64 s[2:3], vcc, s[2:3]
	s_waitcnt vmcnt(0)
	v_cvt_f32_f16_e32 v1, v1
	v_mul_f32_e32 v1, v8, v1
	s_and_saveexec_b64 s[30:31], s[2:3]
	s_xor_b64 s[2:3], exec, s[30:31]
	s_cbranch_execz .LBB65_104
; %bb.103:
	v_ashrrev_i32_e32 v3, 31, v2
	v_lshl_add_u64 v[6:7], v[2:3], 2, s[10:11]
	global_atomic_add_f32 v[6:7], v1, off
                                        ; implicit-def: $vgpr1
.LBB65_104:
	s_andn2_saveexec_b64 s[2:3], s[2:3]
; %bb.105:
	v_subrev_u32_e32 v3, s29, v2
	v_mov_b32_e32 v6, 0x1000
	v_lshl_add_u32 v3, v3, 2, v6
	ds_add_f32 v3, v1
.LBB65_106:
	s_or_b64 exec, exec, s[24:25]
.LBB65_107:
	s_andn2_saveexec_b64 s[2:3], s[16:17]
; %bb.108:
	ds_read_b32 v8, v10 offset:2048
; %bb.109:
	s_or_b64 exec, exec, s[2:3]
	v_ashrrev_i32_e32 v3, 31, v2
	v_lshl_add_u64 v[2:3], v[2:3], 1, s[18:19]
	global_load_ushort v1, v[2:3], off
	s_and_b64 vcc, exec, s[0:1]
	s_waitcnt vmcnt(0)
	v_cvt_f32_f16_e32 v2, v1
	v_mov_b32_e32 v1, s20
	s_waitcnt lgkmcnt(0)
	v_mul_f32_e32 v2, v8, v2
	ds_write_b32 v10, v2 offset:2048
	v_mov_b32_e32 v2, s26
	s_cbranch_vccnz .LBB65_113
; %bb.110:
	s_mov_b64 s[2:3], 0
	v_mov_b32_e32 v1, s20
	v_mov_b32_e32 v2, s26
.LBB65_111:                             ; =>This Inner Loop Header: Depth=1
	v_add_u32_e32 v3, v2, v1
	v_lshrrev_b32_e32 v6, 31, v3
	v_add_u32_e32 v3, v3, v6
	v_ashrrev_i32_e32 v6, 1, v3
	v_ashrrev_i32_e32 v7, 31, v6
	v_lshl_add_u64 v[8:9], v[6:7], 2, s[12:13]
	global_load_dword v3, v[8:9], off
	s_waitcnt vmcnt(0)
	v_subrev_u32_e32 v3, s22, v3
	v_cmp_lt_i32_e32 vcc, v11, v3
	s_nop 1
	v_cndmask_b32_e32 v2, v2, v6, vcc
	v_cndmask_b32_e32 v1, v6, v1, vcc
	v_add_u32_e32 v3, -1, v2
	v_cmp_ge_i32_e32 vcc, v1, v2
	v_cmp_eq_u32_e64 s[0:1], v1, v3
	s_or_b64 s[0:1], vcc, s[0:1]
	s_and_b64 s[0:1], exec, s[0:1]
	s_or_b64 s[2:3], s[0:1], s[2:3]
	s_andn2_b64 exec, exec, s[2:3]
	s_cbranch_execnz .LBB65_111
; %bb.112:
	s_or_b64 exec, exec, s[2:3]
.LBB65_113:
	v_ashrrev_i32_e32 v3, 31, v2
	v_lshl_add_u64 v[6:7], v[2:3], 2, s[12:13]
	global_load_dword v3, v[6:7], off
	global_load_dword v8, v[4:5], off offset:3072
	s_waitcnt vmcnt(1)
	v_subrev_u32_e32 v3, s22, v3
	v_cmp_lt_i32_e32 vcc, v11, v3
	s_nop 1
	v_cndmask_b32_e32 v4, v2, v1, vcc
	s_waitcnt vmcnt(0)
	v_subrev_u32_e32 v2, s22, v8
	v_cmp_ne_u32_e32 vcc, v2, v4
                                        ; implicit-def: $vgpr1
	s_and_saveexec_b64 s[0:1], vcc
	s_xor_b64 s[2:3], exec, s[0:1]
	s_cbranch_execz .LBB65_120
; %bb.114:
	s_load_dword s0, s[14:15], 0x0
	ds_read_b32 v1, v10 offset:3072
	s_waitcnt lgkmcnt(0)
	s_sub_i32 s0, s0, s22
	v_cmp_gt_i32_e32 vcc, s0, v11
	s_and_saveexec_b64 s[14:15], vcc
	s_cbranch_execz .LBB65_119
; %bb.115:
	v_ashrrev_i32_e32 v5, 31, v4
	v_lshl_add_u64 v[4:5], v[4:5], 1, s[18:19]
	global_load_ushort v3, v[4:5], off
	v_cmp_gt_i32_e32 vcc, s29, v2
	v_cmp_le_i32_e64 s[0:1], s21, v2
	s_or_b64 s[0:1], vcc, s[0:1]
	s_waitcnt vmcnt(0)
	v_cvt_f32_f16_e32 v3, v3
	v_mul_f32_e32 v4, v1, v3
	s_and_saveexec_b64 s[16:17], s[0:1]
	s_xor_b64 s[0:1], exec, s[16:17]
	s_cbranch_execz .LBB65_117
; %bb.116:
	v_ashrrev_i32_e32 v3, 31, v2
	v_lshl_add_u64 v[6:7], v[2:3], 2, s[10:11]
	global_atomic_add_f32 v[6:7], v4, off
                                        ; implicit-def: $vgpr4
.LBB65_117:
	s_andn2_saveexec_b64 s[0:1], s[0:1]
; %bb.118:
	v_subrev_u32_e32 v3, s29, v2
	v_mov_b32_e32 v5, 0x1000
	v_lshl_add_u32 v3, v3, 2, v5
	ds_add_f32 v3, v4
.LBB65_119:
	s_or_b64 exec, exec, s[14:15]
.LBB65_120:
	s_andn2_saveexec_b64 s[0:1], s[2:3]
; %bb.121:
	ds_read_b32 v1, v10 offset:3072
; %bb.122:
	s_or_b64 exec, exec, s[0:1]
	v_ashrrev_i32_e32 v3, 31, v2
	v_lshl_add_u64 v[2:3], v[2:3], 1, s[18:19]
	global_load_ushort v2, v[2:3], off
	s_waitcnt vmcnt(0)
	v_cvt_f32_f16_e32 v2, v2
	s_waitcnt lgkmcnt(0)
	v_mul_f32_e32 v1, v1, v2
	ds_write_b32 v10, v1 offset:3072
.LBB65_123:
	s_or_b64 exec, exec, s[8:9]
	s_min_i32 s7, s21, s7
	s_sub_i32 s14, s7, s23
	v_cmp_gt_i32_e32 vcc, s14, v0
	s_waitcnt lgkmcnt(0)
	s_barrier
	s_and_saveexec_b64 s[0:1], vcc
	s_cbranch_execz .LBB65_126
; %bb.124:
	v_mov_b32_e32 v1, 0x1000
	v_lshl_add_u32 v1, v0, 2, v1
	s_mov_b64 s[2:3], 0
	v_mov_b32_e32 v2, v0
.LBB65_125:                             ; =>This Inner Loop Header: Depth=1
	ds_read_b32 v3, v1
	v_add_u32_e32 v4, s29, v2
	v_ashrrev_i32_e32 v5, 31, v4
	v_lshl_add_u64 v[4:5], v[4:5], 2, s[10:11]
	v_add_u32_e32 v2, 0x100, v2
	s_waitcnt lgkmcnt(0)
	global_atomic_add_f32 v[4:5], v3, off
	v_cmp_le_i32_e32 vcc, s14, v2
	s_or_b64 s[2:3], vcc, s[2:3]
	v_add_u32_e32 v1, 0x400, v1
	s_andn2_b64 exec, exec, s[2:3]
	s_cbranch_execnz .LBB65_125
.LBB65_126:
	s_or_b64 exec, exec, s[0:1]
	s_mul_i32 s0, s6, s23
	s_sub_i32 s0, s28, s0
	s_add_i32 s1, s6, 1
	s_sub_i32 s2, s0, s23
	s_cmp_ge_u32 s0, s23
	s_cselect_b32 s1, s1, s6
	s_cselect_b32 s0, s2, s0
	s_add_i32 s2, s1, 1
	s_cmp_ge_u32 s0, s23
	s_cselect_b32 s0, s2, s1
	s_add_i32 s0, s0, -1
	s_ashr_i32 s1, s0, 1
	s_or_b32 s0, s1, s0
	s_ashr_i32 s1, s0, 2
	s_or_b32 s0, s1, s0
	;; [unrolled: 2-line block ×5, first 2 shown]
	s_add_i32 s0, s0, 1
	s_ashr_i32 s15, s0, 1
	v_add_u32_e32 v2, s20, v0
	s_cmp_gt_i32 s15, 1
	s_mov_b64 s[0:1], -1
	s_barrier
	s_cbranch_scc1 .LBB65_135
; %bb.127:
	v_cmp_gt_i32_e32 vcc, s21, v2
	s_and_saveexec_b64 s[0:1], vcc
	s_cbranch_execz .LBB65_134
; %bb.128:
	s_sub_i32 s2, s7, s21
	s_lshl_b32 s2, s2, 2
	s_add_i32 s16, s2, 0x1000
	s_lshl_b32 s2, s33, 2
	s_sub_i32 s17, 0, s2
	s_mov_b64 s[2:3], 0
	v_mov_b32_e32 v4, v2
	s_branch .LBB65_130
.LBB65_129:                             ;   in Loop: Header=BB65_130 Depth=1
	s_or_b64 exec, exec, s[6:7]
	v_lshl_add_u32 v3, v4, 2, s16
	ds_read_b32 v3, v3
	v_lshl_add_u64 v[6:7], v[4:5], 2, s[10:11]
	v_add_u32_e32 v4, s28, v4
	v_cmp_le_i32_e32 vcc, s21, v4
	s_or_b64 s[2:3], vcc, s[2:3]
	s_waitcnt lgkmcnt(0)
	v_add_f32_e32 v1, v1, v3
	global_atomic_add_f32 v[6:7], v1, off
	s_andn2_b64 exec, exec, s[2:3]
	s_cbranch_execz .LBB65_134
.LBB65_130:                             ; =>This Loop Header: Depth=1
                                        ;     Child Loop BB65_132 Depth 2
	v_ashrrev_i32_e32 v5, 31, v4
	v_lshl_add_u64 v[6:7], v[4:5], 2, s[12:13]
	global_load_dwordx2 v[6:7], v[6:7], off
	v_mov_b32_e32 v1, 0
	s_waitcnt vmcnt(0)
	v_cmp_lt_i32_e32 vcc, v6, v7
	s_and_saveexec_b64 s[6:7], vcc
	s_cbranch_execz .LBB65_129
; %bb.131:                              ;   in Loop: Header=BB65_130 Depth=1
	v_subrev_u32_e32 v3, s33, v7
	v_subrev_u32_e32 v7, s33, v6
	v_lshl_add_u32 v6, v6, 2, s17
	v_mov_b32_e32 v1, 0
	s_mov_b64 s[8:9], 0
.LBB65_132:                             ;   Parent Loop BB65_130 Depth=1
                                        ; =>  This Inner Loop Header: Depth=2
	ds_read_b32 v8, v6
	v_add_u32_e32 v7, 1, v7
	v_cmp_ge_i32_e32 vcc, v7, v3
	v_add_u32_e32 v6, 4, v6
	s_or_b64 s[8:9], vcc, s[8:9]
	s_waitcnt lgkmcnt(0)
	v_add_f32_e32 v1, v1, v8
	s_andn2_b64 exec, exec, s[8:9]
	s_cbranch_execnz .LBB65_132
; %bb.133:                              ;   in Loop: Header=BB65_130 Depth=1
	s_or_b64 exec, exec, s[8:9]
	s_branch .LBB65_129
.LBB65_134:
	s_or_b64 exec, exec, s[0:1]
	s_mov_b64 s[0:1], 0
.LBB65_135:
	s_andn2_b64 vcc, exec, s[0:1]
	s_cbranch_vccnz .LBB65_148
; %bb.136:
	v_cvt_f32_u32_e32 v1, s15
	s_sub_i32 s0, 0, s15
	v_rcp_iflag_f32_e32 v1, v1
	s_nop 0
	v_mul_f32_e32 v1, 0x4f7ffffe, v1
	v_cvt_u32_f32_e32 v1, v1
	v_mul_lo_u32 v3, s0, v1
	v_mul_hi_u32 v3, v1, v3
	v_add_u32_e32 v1, v1, v3
	v_mul_hi_u32 v1, v0, v1
	v_mul_lo_u32 v3, v1, s15
	v_sub_u32_e32 v3, v0, v3
	v_add_u32_e32 v4, 1, v1
	v_cmp_le_u32_e32 vcc, s15, v3
	s_nop 1
	v_cndmask_b32_e32 v1, v1, v4, vcc
	v_subrev_u32_e32 v4, s15, v3
	v_cndmask_b32_e32 v3, v3, v4, vcc
	v_add_u32_e32 v4, 1, v1
	v_cmp_le_u32_e32 vcc, s15, v3
	s_nop 1
	v_cndmask_b32_e32 v1, v1, v4, vcc
	v_lshlrev_b32_e32 v3, 2, v1
	global_load_dwordx2 v[4:5], v3, s[4:5]
	v_cmp_gt_i32_e32 vcc, s23, v1
	v_mov_b32_e32 v3, 0
	s_and_saveexec_b64 s[0:1], vcc
	s_cbranch_execz .LBB65_144
; %bb.137:
	s_abs_i32 s4, s15
	v_cvt_f32_u32_e32 v3, s4
	s_waitcnt vmcnt(0)
	v_subrev_u32_e32 v4, s33, v4
	v_subrev_u32_e32 v1, s33, v5
	v_sub_u32_e32 v5, v1, v4
	v_rcp_iflag_f32_e32 v3, v3
	s_sub_i32 s2, 0, s4
	v_sub_u32_e32 v6, 0, v5
	v_ashrrev_i32_e32 v8, 31, v5
	v_mul_f32_e32 v3, 0x4f7ffffe, v3
	v_cvt_u32_f32_e32 v3, v3
	v_max_i32_e32 v5, v5, v6
	s_ashr_i32 s5, s15, 31
	v_mul_lo_u32 v6, s2, v3
	v_mul_hi_u32 v6, v3, v6
	v_add_u32_e32 v3, v3, v6
	v_mad_u64_u32 v[6:7], s[2:3], v5, v3, 0
	v_mul_lo_u32 v6, v7, s4
	v_sub_u32_e32 v5, v5, v6
	v_add_u32_e32 v6, 1, v7
	v_cmp_le_u32_e32 vcc, s4, v5
	v_xor_b32_e32 v3, s5, v8
	s_add_i32 s2, s15, -1
	v_cndmask_b32_e32 v6, v7, v6, vcc
	v_subrev_u32_e32 v7, s4, v5
	v_cndmask_b32_e32 v5, v5, v7, vcc
	v_add_u32_e32 v7, 1, v6
	v_cmp_le_u32_e32 vcc, s4, v5
	s_nop 1
	v_cndmask_b32_e32 v5, v6, v7, vcc
	v_xor_b32_e32 v5, v5, v3
	v_sub_u32_e32 v5, v5, v3
	v_and_b32_e32 v7, s2, v0
	v_cmp_lt_i32_e32 vcc, 0, v5
	v_mov_b32_e32 v3, 0
	v_lshlrev_b32_e32 v6, 2, v7
	s_and_saveexec_b64 s[2:3], vcc
	s_cbranch_execz .LBB65_141
; %bb.138:
	v_lshl_add_u32 v8, v4, 2, v6
	s_lshl_b32 s6, s15, 2
	v_mov_b32_e32 v3, 0
	s_mov_b64 s[4:5], 0
	v_mov_b32_e32 v9, v5
.LBB65_139:                             ; =>This Inner Loop Header: Depth=1
	ds_read_b32 v11, v8
	v_add_u32_e32 v9, -1, v9
	v_cmp_eq_u32_e32 vcc, 0, v9
	v_add_u32_e32 v8, s6, v8
	s_or_b64 s[4:5], vcc, s[4:5]
	s_waitcnt lgkmcnt(0)
	v_add_f32_e32 v3, v3, v11
	s_andn2_b64 exec, exec, s[4:5]
	s_cbranch_execnz .LBB65_139
; %bb.140:
	s_or_b64 exec, exec, s[4:5]
.LBB65_141:
	s_or_b64 exec, exec, s[2:3]
	v_mad_u64_u32 v[4:5], s[2:3], v5, s15, v[4:5]
	v_sub_u32_e32 v1, v1, v4
	v_cmp_lt_i32_e32 vcc, v7, v1
	s_and_saveexec_b64 s[2:3], vcc
	s_cbranch_execz .LBB65_143
; %bb.142:
	v_lshl_add_u32 v1, v4, 2, v6
	ds_read_b32 v1, v1
	s_waitcnt lgkmcnt(0)
	v_add_f32_e32 v3, v3, v1
.LBB65_143:
	s_or_b64 exec, exec, s[2:3]
.LBB65_144:
	s_or_b64 exec, exec, s[0:1]
	v_cmp_gt_i32_e32 vcc, s23, v0
	s_barrier
	ds_write_b32 v10, v3
	s_waitcnt lgkmcnt(0)
	s_barrier
	s_and_saveexec_b64 s[0:1], vcc
	s_cbranch_execz .LBB65_148
; %bb.145:
	v_mul_lo_u32 v1, s15, v0
	v_lshlrev_b32_e32 v3, 2, v1
	v_mov_b32_e32 v1, 0
.LBB65_146:                             ; =>This Inner Loop Header: Depth=1
	s_waitcnt vmcnt(0)
	ds_read_b32 v4, v3
	s_add_i32 s15, s15, -1
	v_add_u32_e32 v3, 4, v3
	s_cmp_eq_u32 s15, 0
	s_waitcnt lgkmcnt(0)
	v_add_f32_e32 v1, v1, v4
	s_cbranch_scc0 .LBB65_146
; %bb.147:
	s_lshl_b32 s0, s14, 2
	s_addk_i32 s0, 0x1000
	v_lshl_add_u32 v0, v0, 2, s0
	ds_read_b32 v0, v0
	v_ashrrev_i32_e32 v3, 31, v2
	s_waitcnt lgkmcnt(0)
	v_add_f32_e32 v4, v1, v0
	v_lshl_add_u64 v[0:1], v[2:3], 2, s[10:11]
	global_atomic_add_f32 v[0:1], v4, off
.LBB65_148:
	s_endpgm
	.section	.rodata,"a",@progbits
	.p2align	6, 0x0
	.amdhsa_kernel _ZN9rocsparseL27csrmvn_symm_adaptive_kernelIiiDF16_DF16_ffEEvbT_S1_PKS1_NS_24const_host_device_scalarIT4_EES3_PKT0_PKT1_PKT2_S6_PT3_21rocsparse_index_base_b
		.amdhsa_group_segment_fixed_size 4096
		.amdhsa_private_segment_fixed_size 0
		.amdhsa_kernarg_size 344
		.amdhsa_user_sgpr_count 2
		.amdhsa_user_sgpr_dispatch_ptr 0
		.amdhsa_user_sgpr_queue_ptr 0
		.amdhsa_user_sgpr_kernarg_segment_ptr 1
		.amdhsa_user_sgpr_dispatch_id 0
		.amdhsa_user_sgpr_kernarg_preload_length 0
		.amdhsa_user_sgpr_kernarg_preload_offset 0
		.amdhsa_user_sgpr_private_segment_size 0
		.amdhsa_uses_dynamic_stack 0
		.amdhsa_enable_private_segment 0
		.amdhsa_system_sgpr_workgroup_id_x 1
		.amdhsa_system_sgpr_workgroup_id_y 0
		.amdhsa_system_sgpr_workgroup_id_z 0
		.amdhsa_system_sgpr_workgroup_info 0
		.amdhsa_system_vgpr_workitem_id 0
		.amdhsa_next_free_vgpr 16
		.amdhsa_next_free_sgpr 41
		.amdhsa_accum_offset 16
		.amdhsa_reserve_vcc 1
		.amdhsa_float_round_mode_32 0
		.amdhsa_float_round_mode_16_64 0
		.amdhsa_float_denorm_mode_32 3
		.amdhsa_float_denorm_mode_16_64 3
		.amdhsa_dx10_clamp 1
		.amdhsa_ieee_mode 1
		.amdhsa_fp16_overflow 0
		.amdhsa_tg_split 0
		.amdhsa_exception_fp_ieee_invalid_op 0
		.amdhsa_exception_fp_denorm_src 0
		.amdhsa_exception_fp_ieee_div_zero 0
		.amdhsa_exception_fp_ieee_overflow 0
		.amdhsa_exception_fp_ieee_underflow 0
		.amdhsa_exception_fp_ieee_inexact 0
		.amdhsa_exception_int_div_zero 0
	.end_amdhsa_kernel
	.section	.text._ZN9rocsparseL27csrmvn_symm_adaptive_kernelIiiDF16_DF16_ffEEvbT_S1_PKS1_NS_24const_host_device_scalarIT4_EES3_PKT0_PKT1_PKT2_S6_PT3_21rocsparse_index_base_b,"axG",@progbits,_ZN9rocsparseL27csrmvn_symm_adaptive_kernelIiiDF16_DF16_ffEEvbT_S1_PKS1_NS_24const_host_device_scalarIT4_EES3_PKT0_PKT1_PKT2_S6_PT3_21rocsparse_index_base_b,comdat
.Lfunc_end65:
	.size	_ZN9rocsparseL27csrmvn_symm_adaptive_kernelIiiDF16_DF16_ffEEvbT_S1_PKS1_NS_24const_host_device_scalarIT4_EES3_PKT0_PKT1_PKT2_S6_PT3_21rocsparse_index_base_b, .Lfunc_end65-_ZN9rocsparseL27csrmvn_symm_adaptive_kernelIiiDF16_DF16_ffEEvbT_S1_PKS1_NS_24const_host_device_scalarIT4_EES3_PKT0_PKT1_PKT2_S6_PT3_21rocsparse_index_base_b
                                        ; -- End function
	.set _ZN9rocsparseL27csrmvn_symm_adaptive_kernelIiiDF16_DF16_ffEEvbT_S1_PKS1_NS_24const_host_device_scalarIT4_EES3_PKT0_PKT1_PKT2_S6_PT3_21rocsparse_index_base_b.num_vgpr, 16
	.set _ZN9rocsparseL27csrmvn_symm_adaptive_kernelIiiDF16_DF16_ffEEvbT_S1_PKS1_NS_24const_host_device_scalarIT4_EES3_PKT0_PKT1_PKT2_S6_PT3_21rocsparse_index_base_b.num_agpr, 0
	.set _ZN9rocsparseL27csrmvn_symm_adaptive_kernelIiiDF16_DF16_ffEEvbT_S1_PKS1_NS_24const_host_device_scalarIT4_EES3_PKT0_PKT1_PKT2_S6_PT3_21rocsparse_index_base_b.numbered_sgpr, 41
	.set _ZN9rocsparseL27csrmvn_symm_adaptive_kernelIiiDF16_DF16_ffEEvbT_S1_PKS1_NS_24const_host_device_scalarIT4_EES3_PKT0_PKT1_PKT2_S6_PT3_21rocsparse_index_base_b.num_named_barrier, 0
	.set _ZN9rocsparseL27csrmvn_symm_adaptive_kernelIiiDF16_DF16_ffEEvbT_S1_PKS1_NS_24const_host_device_scalarIT4_EES3_PKT0_PKT1_PKT2_S6_PT3_21rocsparse_index_base_b.private_seg_size, 0
	.set _ZN9rocsparseL27csrmvn_symm_adaptive_kernelIiiDF16_DF16_ffEEvbT_S1_PKS1_NS_24const_host_device_scalarIT4_EES3_PKT0_PKT1_PKT2_S6_PT3_21rocsparse_index_base_b.uses_vcc, 1
	.set _ZN9rocsparseL27csrmvn_symm_adaptive_kernelIiiDF16_DF16_ffEEvbT_S1_PKS1_NS_24const_host_device_scalarIT4_EES3_PKT0_PKT1_PKT2_S6_PT3_21rocsparse_index_base_b.uses_flat_scratch, 0
	.set _ZN9rocsparseL27csrmvn_symm_adaptive_kernelIiiDF16_DF16_ffEEvbT_S1_PKS1_NS_24const_host_device_scalarIT4_EES3_PKT0_PKT1_PKT2_S6_PT3_21rocsparse_index_base_b.has_dyn_sized_stack, 0
	.set _ZN9rocsparseL27csrmvn_symm_adaptive_kernelIiiDF16_DF16_ffEEvbT_S1_PKS1_NS_24const_host_device_scalarIT4_EES3_PKT0_PKT1_PKT2_S6_PT3_21rocsparse_index_base_b.has_recursion, 0
	.set _ZN9rocsparseL27csrmvn_symm_adaptive_kernelIiiDF16_DF16_ffEEvbT_S1_PKS1_NS_24const_host_device_scalarIT4_EES3_PKT0_PKT1_PKT2_S6_PT3_21rocsparse_index_base_b.has_indirect_call, 0
	.section	.AMDGPU.csdata,"",@progbits
; Kernel info:
; codeLenInByte = 5556
; TotalNumSgprs: 47
; NumVgprs: 16
; NumAgprs: 0
; TotalNumVgprs: 16
; ScratchSize: 0
; MemoryBound: 0
; FloatMode: 240
; IeeeMode: 1
; LDSByteSize: 4096 bytes/workgroup (compile time only)
; SGPRBlocks: 5
; VGPRBlocks: 1
; NumSGPRsForWavesPerEU: 47
; NumVGPRsForWavesPerEU: 16
; AccumOffset: 16
; Occupancy: 8
; WaveLimiterHint : 1
; COMPUTE_PGM_RSRC2:SCRATCH_EN: 0
; COMPUTE_PGM_RSRC2:USER_SGPR: 2
; COMPUTE_PGM_RSRC2:TRAP_HANDLER: 0
; COMPUTE_PGM_RSRC2:TGID_X_EN: 1
; COMPUTE_PGM_RSRC2:TGID_Y_EN: 0
; COMPUTE_PGM_RSRC2:TGID_Z_EN: 0
; COMPUTE_PGM_RSRC2:TIDIG_COMP_CNT: 0
; COMPUTE_PGM_RSRC3_GFX90A:ACCUM_OFFSET: 3
; COMPUTE_PGM_RSRC3_GFX90A:TG_SPLIT: 0
	.section	.text._ZL33csrmvn_symm_large_adaptive_kernelIiiDF16_DF16_ffEvbT_PKS0_N9rocsparse24const_host_device_scalarIT4_EES2_PKT0_PKT1_PKT2_S6_PT3_21rocsparse_index_base_b,"axG",@progbits,_ZL33csrmvn_symm_large_adaptive_kernelIiiDF16_DF16_ffEvbT_PKS0_N9rocsparse24const_host_device_scalarIT4_EES2_PKT0_PKT1_PKT2_S6_PT3_21rocsparse_index_base_b,comdat
	.globl	_ZL33csrmvn_symm_large_adaptive_kernelIiiDF16_DF16_ffEvbT_PKS0_N9rocsparse24const_host_device_scalarIT4_EES2_PKT0_PKT1_PKT2_S6_PT3_21rocsparse_index_base_b ; -- Begin function _ZL33csrmvn_symm_large_adaptive_kernelIiiDF16_DF16_ffEvbT_PKS0_N9rocsparse24const_host_device_scalarIT4_EES2_PKT0_PKT1_PKT2_S6_PT3_21rocsparse_index_base_b
	.p2align	8
	.type	_ZL33csrmvn_symm_large_adaptive_kernelIiiDF16_DF16_ffEvbT_PKS0_N9rocsparse24const_host_device_scalarIT4_EES2_PKT0_PKT1_PKT2_S6_PT3_21rocsparse_index_base_b,@function
_ZL33csrmvn_symm_large_adaptive_kernelIiiDF16_DF16_ffEvbT_PKS0_N9rocsparse24const_host_device_scalarIT4_EES2_PKT0_PKT1_PKT2_S6_PT3_21rocsparse_index_base_b: ; @_ZL33csrmvn_symm_large_adaptive_kernelIiiDF16_DF16_ffEvbT_PKS0_N9rocsparse24const_host_device_scalarIT4_EES2_PKT0_PKT1_PKT2_S6_PT3_21rocsparse_index_base_b
; %bb.0:
	s_load_dwordx2 s[16:17], s[0:1], 0x48
	s_load_dwordx2 s[18:19], s[0:1], 0x10
	;; [unrolled: 1-line block ×3, first 2 shown]
	s_waitcnt lgkmcnt(0)
	s_bitcmp1_b32 s17, 0
	s_cselect_b64 s[8:9], -1, 0
	s_xor_b64 s[6:7], s[8:9], -1
	s_and_b64 vcc, exec, s[8:9]
	s_cbranch_vccnz .LBB66_2
; %bb.1:
	s_load_dword s18, s[18:19], 0x0
.LBB66_2:
	s_andn2_b64 vcc, exec, s[6:7]
	s_cbranch_vccnz .LBB66_4
; %bb.3:
	s_load_dword s4, s[4:5], 0x0
.LBB66_4:
	s_waitcnt lgkmcnt(0)
	v_cmp_neq_f32_e64 s[6:7], s18, 0
	v_cmp_neq_f32_e64 s[4:5], s4, 1.0
	s_or_b64 s[4:5], s[6:7], s[4:5]
	s_andn2_b64 vcc, exec, s[4:5]
	s_cbranch_vccnz .LBB66_32
; %bb.5:
	s_load_dwordx2 s[4:5], s[0:1], 0x8
	s_ashr_i32 s3, s2, 31
	s_lshl_b64 s[2:3], s[2:3], 2
	v_lshlrev_b32_e32 v7, 2, v0
	v_mov_b32_e32 v8, 0
	s_waitcnt lgkmcnt(0)
	s_add_u32 s2, s4, s2
	s_addc_u32 s3, s5, s3
	ds_write2st64_b32 v7, v8, v8 offset1:4
	ds_write2st64_b32 v7, v8, v8 offset0:8 offset1:12
	s_waitcnt lgkmcnt(0)
	s_barrier
	s_load_dwordx2 s[20:21], s[2:3], 0x0
	s_load_dwordx8 s[8:15], s[0:1], 0x18
	s_load_dwordx2 s[22:23], s[0:1], 0x40
	v_subrev_u32_e32 v6, s16, v0
	s_waitcnt lgkmcnt(0)
	s_cmp_ge_i32 s20, s21
	s_cbranch_scc1 .LBB66_23
; %bb.6:
	v_cmp_gt_u32_e32 vcc, 64, v0
	v_cmp_gt_u32_e64 s[0:1], 16, v0
	v_cmp_gt_u32_e64 s[2:3], 4, v0
	v_cmp_eq_u32_e64 s[4:5], 0, v0
	s_mov_b64 s[24:25], 0x400
	s_mov_b64 s[26:27], 0x200
	s_mov_b32 s28, s20
	s_branch .LBB66_8
.LBB66_7:                               ;   in Loop: Header=BB66_8 Depth=1
	s_or_b64 exec, exec, s[34:35]
	s_add_i32 s28, s28, 1
	s_cmp_ge_i32 s28, s21
	s_cbranch_scc1 .LBB66_23
.LBB66_8:                               ; =>This Loop Header: Depth=1
                                        ;     Child Loop BB66_10 Depth 2
	s_ashr_i32 s29, s28, 31
	s_lshl_b64 s[30:31], s[28:29], 2
	s_add_u32 s6, s8, s30
	s_addc_u32 s7, s9, s31
	s_load_dwordx2 s[34:35], s[6:7], 0x0
	v_mov_b32_e32 v1, 0
	s_waitcnt lgkmcnt(0)
	v_add_u32_e32 v0, s34, v6
	s_sub_i32 s17, s35, s16
	v_cmp_gt_i32_e64 s[6:7], s17, v0
	s_and_saveexec_b64 s[34:35], s[6:7]
	s_cbranch_execz .LBB66_12
; %bb.9:                                ;   in Loop: Header=BB66_8 Depth=1
	v_ashrrev_i32_e32 v1, 31, v0
	v_lshl_add_u64 v[2:3], v[0:1], 2, s[10:11]
	v_lshl_add_u64 v[4:5], v[0:1], 1, s[12:13]
	v_mov_b32_e32 v1, 0
	s_mov_b64 s[36:37], 0
.LBB66_10:                              ;   Parent Loop BB66_8 Depth=1
                                        ; =>  This Inner Loop Header: Depth=2
	global_load_dword v9, v[2:3], off
	global_load_ushort v12, v[4:5], off
	v_add_u32_e32 v0, 0x100, v0
	v_cmp_le_i32_e64 s[6:7], s17, v0
	v_lshl_add_u64 v[2:3], v[2:3], 0, s[24:25]
	v_lshl_add_u64 v[4:5], v[4:5], 0, s[26:27]
	s_or_b64 s[36:37], s[6:7], s[36:37]
	s_waitcnt vmcnt(1)
	v_subrev_u32_e32 v10, s16, v9
	v_ashrrev_i32_e32 v11, 31, v10
	v_lshl_add_u64 v[10:11], v[10:11], 1, s[14:15]
	global_load_ushort v9, v[10:11], off
	s_waitcnt vmcnt(0)
	v_fma_mix_f32 v1, v12, v9, v1 op_sel_hi:[1,1,0]
	s_andn2_b64 exec, exec, s[36:37]
	s_cbranch_execnz .LBB66_10
; %bb.11:                               ;   in Loop: Header=BB66_8 Depth=1
	s_or_b64 exec, exec, s[36:37]
.LBB66_12:                              ;   in Loop: Header=BB66_8 Depth=1
	s_or_b64 exec, exec, s[34:35]
	ds_write_b32 v7, v1
	s_waitcnt lgkmcnt(0)
	s_barrier
	ds_read2st64_b32 v[0:1], v7 offset1:4
	ds_read2st64_b32 v[2:3], v7 offset0:8 offset1:12
	s_waitcnt lgkmcnt(0)
	v_add_f32_e32 v1, v1, v2
	v_add_f32_e32 v1, v1, v3
	;; [unrolled: 1-line block ×3, first 2 shown]
	ds_write_b32 v7, v0
	s_waitcnt lgkmcnt(0)
	s_barrier
	s_and_saveexec_b64 s[6:7], vcc
	s_cbranch_execz .LBB66_14
; %bb.13:                               ;   in Loop: Header=BB66_8 Depth=1
	ds_read2st64_b32 v[0:1], v7 offset1:1
	ds_read2st64_b32 v[2:3], v7 offset0:2 offset1:3
	s_waitcnt lgkmcnt(0)
	v_add_f32_e32 v1, v1, v2
	v_add_f32_e32 v1, v1, v3
	;; [unrolled: 1-line block ×3, first 2 shown]
	ds_write_b32 v7, v0
.LBB66_14:                              ;   in Loop: Header=BB66_8 Depth=1
	s_or_b64 exec, exec, s[6:7]
	s_waitcnt lgkmcnt(0)
	s_barrier
	s_and_saveexec_b64 s[6:7], s[0:1]
	s_cbranch_execz .LBB66_16
; %bb.15:                               ;   in Loop: Header=BB66_8 Depth=1
	ds_read2_b32 v[0:1], v7 offset1:16
	ds_read2_b32 v[2:3], v7 offset0:32 offset1:48
	s_waitcnt lgkmcnt(0)
	v_add_f32_e32 v1, v1, v2
	v_add_f32_e32 v1, v1, v3
	;; [unrolled: 1-line block ×3, first 2 shown]
	ds_write_b32 v7, v0
.LBB66_16:                              ;   in Loop: Header=BB66_8 Depth=1
	s_or_b64 exec, exec, s[6:7]
	s_waitcnt lgkmcnt(0)
	s_barrier
	s_and_saveexec_b64 s[6:7], s[2:3]
	s_cbranch_execz .LBB66_18
; %bb.17:                               ;   in Loop: Header=BB66_8 Depth=1
	ds_read2_b32 v[0:1], v7 offset1:4
	ds_read2_b32 v[2:3], v7 offset0:8 offset1:12
	s_waitcnt lgkmcnt(0)
	v_add_f32_e32 v1, v1, v2
	v_add_f32_e32 v1, v1, v3
	;; [unrolled: 1-line block ×3, first 2 shown]
	ds_write_b32 v7, v0
.LBB66_18:                              ;   in Loop: Header=BB66_8 Depth=1
	s_or_b64 exec, exec, s[6:7]
	s_waitcnt lgkmcnt(0)
	s_barrier
	s_and_saveexec_b64 s[6:7], s[4:5]
	s_cbranch_execz .LBB66_20
; %bb.19:                               ;   in Loop: Header=BB66_8 Depth=1
	ds_read2_b32 v[0:1], v8 offset0:1 offset1:2
	ds_read_b32 v2, v8 offset:12
	ds_read_b32 v3, v7
	s_waitcnt lgkmcnt(2)
	v_add_f32_e32 v0, v0, v1
	s_waitcnt lgkmcnt(1)
	v_add_f32_e32 v0, v0, v2
	;; [unrolled: 2-line block ×3, first 2 shown]
	ds_write_b32 v7, v0
.LBB66_20:                              ;   in Loop: Header=BB66_8 Depth=1
	s_or_b64 exec, exec, s[6:7]
	s_waitcnt lgkmcnt(0)
	s_barrier
	s_and_saveexec_b64 s[34:35], s[4:5]
	s_cbranch_execz .LBB66_7
; %bb.21:                               ;   in Loop: Header=BB66_8 Depth=1
	s_mov_b64 s[36:37], exec
	v_mbcnt_lo_u32_b32 v0, s36, 0
	v_mbcnt_hi_u32_b32 v0, s37, v0
	v_cmp_eq_u32_e64 s[6:7], 0, v0
	s_and_b64 s[6:7], exec, s[6:7]
	s_mov_b64 exec, s[6:7]
	s_cbranch_execz .LBB66_7
; %bb.22:                               ;   in Loop: Header=BB66_8 Depth=1
	ds_read_b32 v0, v8
	s_add_u32 s6, s22, s30
	s_addc_u32 s7, s23, s31
	s_bcnt1_i32_b64 s17, s[36:37]
	v_cvt_f32_ubyte0_e32 v1, s17
	s_waitcnt lgkmcnt(0)
	v_mul_f32_e32 v0, s18, v0
	v_mul_f32_e32 v0, v0, v1
	global_atomic_add_f32 v8, v0, s[6:7]
	s_branch .LBB66_7
.LBB66_23:
	s_ashr_i32 s1, s20, 31
	s_mov_b32 s0, s20
	s_lshl_b64 s[0:1], s[0:1], 2
	s_add_u32 s0, s8, s0
	s_addc_u32 s1, s9, s1
	s_ashr_i32 s3, s21, 31
	s_mov_b32 s2, s21
	s_lshl_b64 s[2:3], s[2:3], 2
	s_add_u32 s2, s8, s2
	s_addc_u32 s3, s9, s3
	s_load_dword s4, s[2:3], 0x0
	s_load_dword s5, s[0:1], 0x0
	s_waitcnt lgkmcnt(0)
	s_sub_i32 s17, s4, s16
	v_add_u32_e32 v0, s5, v6
	v_cmp_gt_i32_e32 vcc, s17, v0
	s_and_saveexec_b64 s[0:1], vcc
	s_cbranch_execz .LBB66_32
; %bb.24:
	s_add_i32 s19, s21, -1
	s_cmp_lt_i32 s20, s19
	s_cselect_b64 s[0:1], -1, 0
	s_add_i32 s2, s21, -2
	s_cmp_lg_u32 s20, s2
	s_cselect_b64 s[2:3], -1, 0
	s_and_b64 s[0:1], s[0:1], s[2:3]
	v_cndmask_b32_e64 v1, 0, 1, s[0:1]
	s_mov_b64 s[4:5], 0
	v_cmp_ne_u32_e64 s[0:1], 1, v1
	s_branch .LBB66_26
.LBB66_25:                              ;   in Loop: Header=BB66_26 Depth=1
	s_or_b64 exec, exec, s[2:3]
	v_add_u32_e32 v0, 0x100, v0
	v_cmp_le_i32_e32 vcc, s17, v0
	s_or_b64 s[4:5], vcc, s[4:5]
	s_andn2_b64 exec, exec, s[4:5]
	s_cbranch_execz .LBB66_32
.LBB66_26:                              ; =>This Loop Header: Depth=1
                                        ;     Child Loop BB66_28 Depth 2
	s_and_b64 vcc, exec, s[0:1]
	v_mov_b32_e32 v4, s20
	v_mov_b32_e32 v2, s19
	s_cbranch_vccnz .LBB66_30
; %bb.27:                               ;   in Loop: Header=BB66_26 Depth=1
	s_mov_b64 s[6:7], 0
	v_mov_b32_e32 v4, s20
	v_mov_b32_e32 v2, s19
.LBB66_28:                              ;   Parent Loop BB66_26 Depth=1
                                        ; =>  This Inner Loop Header: Depth=2
	v_add_u32_e32 v1, v2, v4
	v_lshrrev_b32_e32 v3, 31, v1
	v_add_u32_e32 v1, v1, v3
	v_ashrrev_i32_e32 v6, 1, v1
	v_ashrrev_i32_e32 v7, 31, v6
	v_lshl_add_u64 v[8:9], v[6:7], 2, s[8:9]
	global_load_dword v1, v[8:9], off
	s_waitcnt vmcnt(0)
	v_subrev_u32_e32 v1, s16, v1
	v_cmp_lt_i32_e32 vcc, v0, v1
	s_nop 1
	v_cndmask_b32_e32 v2, v2, v6, vcc
	v_cndmask_b32_e32 v4, v6, v4, vcc
	v_add_u32_e32 v1, -1, v2
	v_cmp_ge_i32_e32 vcc, v4, v2
	v_cmp_eq_u32_e64 s[2:3], v4, v1
	s_or_b64 s[2:3], vcc, s[2:3]
	s_and_b64 s[2:3], exec, s[2:3]
	s_or_b64 s[6:7], s[2:3], s[6:7]
	s_andn2_b64 exec, exec, s[6:7]
	s_cbranch_execnz .LBB66_28
; %bb.29:                               ;   in Loop: Header=BB66_26 Depth=1
	s_or_b64 exec, exec, s[6:7]
.LBB66_30:                              ;   in Loop: Header=BB66_26 Depth=1
	v_ashrrev_i32_e32 v3, 31, v2
	v_lshl_add_u64 v[6:7], v[2:3], 2, s[8:9]
	global_load_dword v3, v[6:7], off
	v_ashrrev_i32_e32 v1, 31, v0
	v_lshl_add_u64 v[6:7], v[0:1], 2, s[10:11]
	global_load_dword v5, v[6:7], off
	s_waitcnt vmcnt(1)
	v_subrev_u32_e32 v3, s16, v3
	v_cmp_lt_i32_e32 vcc, v0, v3
	s_nop 1
	v_cndmask_b32_e32 v4, v2, v4, vcc
	s_waitcnt vmcnt(0)
	v_subrev_u32_e32 v2, s16, v5
	v_cmp_ne_u32_e32 vcc, v2, v4
	s_and_saveexec_b64 s[2:3], vcc
	s_cbranch_execz .LBB66_25
; %bb.31:                               ;   in Loop: Header=BB66_26 Depth=1
	v_lshl_add_u64 v[6:7], v[0:1], 1, s[12:13]
	v_ashrrev_i32_e32 v5, 31, v4
	global_load_ushort v1, v[6:7], off
	v_lshl_add_u64 v[4:5], v[4:5], 1, s[14:15]
	global_load_ushort v3, v[4:5], off
	s_waitcnt vmcnt(1)
	v_cvt_f32_f16_e32 v1, v1
	s_waitcnt vmcnt(0)
	v_cvt_f32_f16_e32 v4, v3
	v_ashrrev_i32_e32 v3, 31, v2
	v_mul_f32_e32 v1, s18, v1
	v_lshl_add_u64 v[2:3], v[2:3], 2, s[22:23]
	v_mul_f32_e32 v1, v1, v4
	global_atomic_add_f32 v[2:3], v1, off
	s_branch .LBB66_25
.LBB66_32:
	s_endpgm
	.section	.rodata,"a",@progbits
	.p2align	6, 0x0
	.amdhsa_kernel _ZL33csrmvn_symm_large_adaptive_kernelIiiDF16_DF16_ffEvbT_PKS0_N9rocsparse24const_host_device_scalarIT4_EES2_PKT0_PKT1_PKT2_S6_PT3_21rocsparse_index_base_b
		.amdhsa_group_segment_fixed_size 4096
		.amdhsa_private_segment_fixed_size 0
		.amdhsa_kernarg_size 80
		.amdhsa_user_sgpr_count 2
		.amdhsa_user_sgpr_dispatch_ptr 0
		.amdhsa_user_sgpr_queue_ptr 0
		.amdhsa_user_sgpr_kernarg_segment_ptr 1
		.amdhsa_user_sgpr_dispatch_id 0
		.amdhsa_user_sgpr_kernarg_preload_length 0
		.amdhsa_user_sgpr_kernarg_preload_offset 0
		.amdhsa_user_sgpr_private_segment_size 0
		.amdhsa_uses_dynamic_stack 0
		.amdhsa_enable_private_segment 0
		.amdhsa_system_sgpr_workgroup_id_x 1
		.amdhsa_system_sgpr_workgroup_id_y 0
		.amdhsa_system_sgpr_workgroup_id_z 0
		.amdhsa_system_sgpr_workgroup_info 0
		.amdhsa_system_vgpr_workitem_id 0
		.amdhsa_next_free_vgpr 13
		.amdhsa_next_free_sgpr 38
		.amdhsa_accum_offset 16
		.amdhsa_reserve_vcc 1
		.amdhsa_float_round_mode_32 0
		.amdhsa_float_round_mode_16_64 0
		.amdhsa_float_denorm_mode_32 3
		.amdhsa_float_denorm_mode_16_64 3
		.amdhsa_dx10_clamp 1
		.amdhsa_ieee_mode 1
		.amdhsa_fp16_overflow 0
		.amdhsa_tg_split 0
		.amdhsa_exception_fp_ieee_invalid_op 0
		.amdhsa_exception_fp_denorm_src 0
		.amdhsa_exception_fp_ieee_div_zero 0
		.amdhsa_exception_fp_ieee_overflow 0
		.amdhsa_exception_fp_ieee_underflow 0
		.amdhsa_exception_fp_ieee_inexact 0
		.amdhsa_exception_int_div_zero 0
	.end_amdhsa_kernel
	.section	.text._ZL33csrmvn_symm_large_adaptive_kernelIiiDF16_DF16_ffEvbT_PKS0_N9rocsparse24const_host_device_scalarIT4_EES2_PKT0_PKT1_PKT2_S6_PT3_21rocsparse_index_base_b,"axG",@progbits,_ZL33csrmvn_symm_large_adaptive_kernelIiiDF16_DF16_ffEvbT_PKS0_N9rocsparse24const_host_device_scalarIT4_EES2_PKT0_PKT1_PKT2_S6_PT3_21rocsparse_index_base_b,comdat
.Lfunc_end66:
	.size	_ZL33csrmvn_symm_large_adaptive_kernelIiiDF16_DF16_ffEvbT_PKS0_N9rocsparse24const_host_device_scalarIT4_EES2_PKT0_PKT1_PKT2_S6_PT3_21rocsparse_index_base_b, .Lfunc_end66-_ZL33csrmvn_symm_large_adaptive_kernelIiiDF16_DF16_ffEvbT_PKS0_N9rocsparse24const_host_device_scalarIT4_EES2_PKT0_PKT1_PKT2_S6_PT3_21rocsparse_index_base_b
                                        ; -- End function
	.set _ZL33csrmvn_symm_large_adaptive_kernelIiiDF16_DF16_ffEvbT_PKS0_N9rocsparse24const_host_device_scalarIT4_EES2_PKT0_PKT1_PKT2_S6_PT3_21rocsparse_index_base_b.num_vgpr, 13
	.set _ZL33csrmvn_symm_large_adaptive_kernelIiiDF16_DF16_ffEvbT_PKS0_N9rocsparse24const_host_device_scalarIT4_EES2_PKT0_PKT1_PKT2_S6_PT3_21rocsparse_index_base_b.num_agpr, 0
	.set _ZL33csrmvn_symm_large_adaptive_kernelIiiDF16_DF16_ffEvbT_PKS0_N9rocsparse24const_host_device_scalarIT4_EES2_PKT0_PKT1_PKT2_S6_PT3_21rocsparse_index_base_b.numbered_sgpr, 38
	.set _ZL33csrmvn_symm_large_adaptive_kernelIiiDF16_DF16_ffEvbT_PKS0_N9rocsparse24const_host_device_scalarIT4_EES2_PKT0_PKT1_PKT2_S6_PT3_21rocsparse_index_base_b.num_named_barrier, 0
	.set _ZL33csrmvn_symm_large_adaptive_kernelIiiDF16_DF16_ffEvbT_PKS0_N9rocsparse24const_host_device_scalarIT4_EES2_PKT0_PKT1_PKT2_S6_PT3_21rocsparse_index_base_b.private_seg_size, 0
	.set _ZL33csrmvn_symm_large_adaptive_kernelIiiDF16_DF16_ffEvbT_PKS0_N9rocsparse24const_host_device_scalarIT4_EES2_PKT0_PKT1_PKT2_S6_PT3_21rocsparse_index_base_b.uses_vcc, 1
	.set _ZL33csrmvn_symm_large_adaptive_kernelIiiDF16_DF16_ffEvbT_PKS0_N9rocsparse24const_host_device_scalarIT4_EES2_PKT0_PKT1_PKT2_S6_PT3_21rocsparse_index_base_b.uses_flat_scratch, 0
	.set _ZL33csrmvn_symm_large_adaptive_kernelIiiDF16_DF16_ffEvbT_PKS0_N9rocsparse24const_host_device_scalarIT4_EES2_PKT0_PKT1_PKT2_S6_PT3_21rocsparse_index_base_b.has_dyn_sized_stack, 0
	.set _ZL33csrmvn_symm_large_adaptive_kernelIiiDF16_DF16_ffEvbT_PKS0_N9rocsparse24const_host_device_scalarIT4_EES2_PKT0_PKT1_PKT2_S6_PT3_21rocsparse_index_base_b.has_recursion, 0
	.set _ZL33csrmvn_symm_large_adaptive_kernelIiiDF16_DF16_ffEvbT_PKS0_N9rocsparse24const_host_device_scalarIT4_EES2_PKT0_PKT1_PKT2_S6_PT3_21rocsparse_index_base_b.has_indirect_call, 0
	.section	.AMDGPU.csdata,"",@progbits
; Kernel info:
; codeLenInByte = 1336
; TotalNumSgprs: 44
; NumVgprs: 13
; NumAgprs: 0
; TotalNumVgprs: 13
; ScratchSize: 0
; MemoryBound: 0
; FloatMode: 240
; IeeeMode: 1
; LDSByteSize: 4096 bytes/workgroup (compile time only)
; SGPRBlocks: 5
; VGPRBlocks: 1
; NumSGPRsForWavesPerEU: 44
; NumVGPRsForWavesPerEU: 13
; AccumOffset: 16
; Occupancy: 8
; WaveLimiterHint : 1
; COMPUTE_PGM_RSRC2:SCRATCH_EN: 0
; COMPUTE_PGM_RSRC2:USER_SGPR: 2
; COMPUTE_PGM_RSRC2:TRAP_HANDLER: 0
; COMPUTE_PGM_RSRC2:TGID_X_EN: 1
; COMPUTE_PGM_RSRC2:TGID_Y_EN: 0
; COMPUTE_PGM_RSRC2:TGID_Z_EN: 0
; COMPUTE_PGM_RSRC2:TIDIG_COMP_CNT: 0
; COMPUTE_PGM_RSRC3_GFX90A:ACCUM_OFFSET: 3
; COMPUTE_PGM_RSRC3_GFX90A:TG_SPLIT: 0
	.section	.text._ZN9rocsparseL22csrmvn_adaptive_kernelIliDF16_DF16_ffEEvbT_PKS1_PjPKT0_NS_24const_host_device_scalarIT4_EES3_S7_PKT1_PKT2_SA_PT3_21rocsparse_index_base_b,"axG",@progbits,_ZN9rocsparseL22csrmvn_adaptive_kernelIliDF16_DF16_ffEEvbT_PKS1_PjPKT0_NS_24const_host_device_scalarIT4_EES3_S7_PKT1_PKT2_SA_PT3_21rocsparse_index_base_b,comdat
	.globl	_ZN9rocsparseL22csrmvn_adaptive_kernelIliDF16_DF16_ffEEvbT_PKS1_PjPKT0_NS_24const_host_device_scalarIT4_EES3_S7_PKT1_PKT2_SA_PT3_21rocsparse_index_base_b ; -- Begin function _ZN9rocsparseL22csrmvn_adaptive_kernelIliDF16_DF16_ffEEvbT_PKS1_PjPKT0_NS_24const_host_device_scalarIT4_EES3_S7_PKT1_PKT2_SA_PT3_21rocsparse_index_base_b
	.p2align	8
	.type	_ZN9rocsparseL22csrmvn_adaptive_kernelIliDF16_DF16_ffEEvbT_PKS1_PjPKT0_NS_24const_host_device_scalarIT4_EES3_S7_PKT1_PKT2_SA_PT3_21rocsparse_index_base_b,@function
_ZN9rocsparseL22csrmvn_adaptive_kernelIliDF16_DF16_ffEEvbT_PKS1_PjPKT0_NS_24const_host_device_scalarIT4_EES3_S7_PKT1_PKT2_SA_PT3_21rocsparse_index_base_b: ; @_ZN9rocsparseL22csrmvn_adaptive_kernelIliDF16_DF16_ffEEvbT_PKS1_PjPKT0_NS_24const_host_device_scalarIT4_EES3_S7_PKT1_PKT2_SA_PT3_21rocsparse_index_base_b
; %bb.0:
	s_load_dwordx2 s[46:47], s[0:1], 0x60
	s_load_dwordx2 s[44:45], s[0:1], 0x28
	;; [unrolled: 1-line block ×3, first 2 shown]
	s_waitcnt lgkmcnt(0)
	s_bitcmp1_b32 s47, 0
	s_cselect_b64 s[6:7], -1, 0
	s_xor_b64 s[4:5], s[6:7], -1
	s_and_b64 vcc, exec, s[6:7]
	s_cbranch_vccnz .LBB67_2
; %bb.1:
	s_load_dword s44, s[44:45], 0x0
.LBB67_2:
	s_andn2_b64 vcc, exec, s[4:5]
	s_cbranch_vccnz .LBB67_4
; %bb.3:
	s_load_dword s22, s[22:23], 0x0
.LBB67_4:
	s_waitcnt lgkmcnt(0)
	v_cmp_neq_f32_e64 s[4:5], s44, 0
	v_cmp_neq_f32_e64 s[6:7], s22, 1.0
	s_or_b64 s[4:5], s[4:5], s[6:7]
	s_andn2_b64 vcc, exec, s[4:5]
	s_cbranch_vccnz .LBB67_120
; %bb.5:
	s_load_dwordx2 s[4:5], s[0:1], 0x10
	s_load_dwordx2 s[6:7], s[0:1], 0x20
	s_ashr_i32 s3, s2, 31
	s_lshl_b64 s[8:9], s[2:3], 3
	s_waitcnt lgkmcnt(0)
	s_add_u32 s4, s4, s8
	s_addc_u32 s5, s5, s9
	s_load_dwordx4 s[36:39], s[4:5], 0x0
	s_load_dwordx2 s[34:35], s[0:1], 0x58
	s_load_dwordx8 s[24:31], s[0:1], 0x30
	s_lshl_b64 s[48:49], s[2:3], 2
	s_waitcnt lgkmcnt(0)
	s_sub_i32 s3, s38, s36
	s_add_u32 s4, s6, s48
	s_addc_u32 s5, s7, s49
	s_lshl_b64 s[6:7], s[36:37], 3
	s_add_u32 s40, s24, s6
	s_addc_u32 s41, s25, s7
	s_load_dword s23, s[4:5], 0x0
	s_load_dwordx2 s[42:43], s[40:41], 0x0
	s_cmp_lt_i32 s3, 2
	s_mov_b64 s[4:5], -1
	s_cbranch_scc0 .LBB67_71
; %bb.6:
	s_cmp_lg_u32 s3, 1
	s_cselect_b64 s[4:5], -1, 0
	s_waitcnt lgkmcnt(0)
	s_cmp_lg_u32 s23, 0
	s_cselect_b64 s[6:7], -1, 0
	s_or_b64 s[6:7], s[4:5], s[6:7]
	s_mov_b64 s[4:5], -1
	s_and_b64 vcc, exec, s[6:7]
	s_cbranch_vccnz .LBB67_35
; %bb.7:
	v_mov_b64_e32 v[2:3], s[36:37]
	v_cmp_le_i64_e32 vcc, s[38:39], v[2:3]
	s_cbranch_vccnz .LBB67_34
; %bb.8:
	v_subrev_co_u32_e32 v2, vcc, s46, v0
	v_cmp_neq_f32_e64 s[20:21], s22, 0
	s_nop 0
	v_subb_co_u32_e64 v3, s[4:5], 0, 0, vcc
	s_movk_i32 s3, 0x80
	v_cndmask_b32_e64 v4, 0, 1, s[20:21]
	v_mov_b32_e32 v1, 0
	v_lshlrev_b32_e32 v12, 2, v0
	v_cmp_gt_u32_e64 s[4:5], s3, v0
	v_cmp_gt_u32_e64 s[6:7], 64, v0
	;; [unrolled: 1-line block ×7, first 2 shown]
	v_cmp_eq_u32_e64 s[18:19], 0, v0
	s_mov_b64 s[50:51], 0x100
	s_mov_b64 s[52:53], 0x200
	s_mov_b64 s[54:55], 0x400
	v_cmp_ne_u32_e64 s[20:21], 1, v4
	v_mov_b64_e32 v[4:5], s[38:39]
	s_mov_b64 s[56:57], s[36:37]
	s_branch .LBB67_11
.LBB67_9:                               ;   in Loop: Header=BB67_11 Depth=1
	s_lshl_b64 s[60:61], s[56:57], 2
	s_add_u32 s60, s34, s60
	s_addc_u32 s61, s35, s61
	s_waitcnt lgkmcnt(0)
	global_store_dword v1, v6, s[60:61]
.LBB67_10:                              ;   in Loop: Header=BB67_11 Depth=1
	s_or_b64 exec, exec, s[58:59]
	s_add_u32 s56, s56, 1
	s_addc_u32 s57, s57, 0
	v_cmp_ge_i64_e32 vcc, s[56:57], v[4:5]
	s_cbranch_vccnz .LBB67_34
.LBB67_11:                              ; =>This Loop Header: Depth=1
                                        ;     Child Loop BB67_13 Depth 2
	s_lshl_b64 s[58:59], s[56:57], 3
	s_add_u32 s58, s24, s58
	s_addc_u32 s59, s25, s59
	s_load_dwordx4 s[60:63], s[58:59], 0x0
	v_mov_b32_e32 v13, 0
	s_waitcnt lgkmcnt(0)
	s_sub_u32 s58, s62, s46
	v_lshl_add_u64 v[6:7], s[60:61], 0, v[2:3]
	s_subb_u32 s59, s63, 0
	v_cmp_gt_i64_e32 vcc, s[58:59], v[6:7]
	s_and_saveexec_b64 s[60:61], vcc
	s_cbranch_execz .LBB67_15
; %bb.12:                               ;   in Loop: Header=BB67_11 Depth=1
	v_lshl_add_u64 v[8:9], v[6:7], 1, s[28:29]
	v_lshl_add_u64 v[10:11], v[6:7], 2, s[26:27]
	v_mov_b32_e32 v13, 0
	s_mov_b64 s[62:63], 0
.LBB67_13:                              ;   Parent Loop BB67_11 Depth=1
                                        ; =>  This Inner Loop Header: Depth=2
	global_load_dword v14, v[10:11], off
	global_load_ushort v16, v[8:9], off
	v_lshl_add_u64 v[6:7], v[6:7], 0, s[50:51]
	v_cmp_le_i64_e32 vcc, s[58:59], v[6:7]
	v_lshl_add_u64 v[8:9], v[8:9], 0, s[52:53]
	v_lshl_add_u64 v[10:11], v[10:11], 0, s[54:55]
	s_or_b64 s[62:63], vcc, s[62:63]
	s_waitcnt vmcnt(1)
	v_subrev_u32_e32 v14, s46, v14
	v_ashrrev_i32_e32 v15, 31, v14
	v_lshl_add_u64 v[14:15], v[14:15], 1, s[30:31]
	global_load_ushort v14, v[14:15], off
	s_waitcnt vmcnt(1)
	v_cvt_f32_f16_e32 v15, v16
	v_mul_f32_e32 v15, s44, v15
	s_waitcnt vmcnt(0)
	v_fma_mix_f32 v13, v15, v14, v13 op_sel_hi:[0,1,0]
	s_andn2_b64 exec, exec, s[62:63]
	s_cbranch_execnz .LBB67_13
; %bb.14:                               ;   in Loop: Header=BB67_11 Depth=1
	s_or_b64 exec, exec, s[62:63]
.LBB67_15:                              ;   in Loop: Header=BB67_11 Depth=1
	s_or_b64 exec, exec, s[60:61]
	ds_write_b32 v12, v13
	s_waitcnt lgkmcnt(0)
	s_barrier
	s_and_saveexec_b64 s[58:59], s[4:5]
	s_cbranch_execz .LBB67_17
; %bb.16:                               ;   in Loop: Header=BB67_11 Depth=1
	ds_read2st64_b32 v[6:7], v12 offset1:2
	s_waitcnt lgkmcnt(0)
	v_add_f32_e32 v6, v6, v7
	ds_write_b32 v12, v6
.LBB67_17:                              ;   in Loop: Header=BB67_11 Depth=1
	s_or_b64 exec, exec, s[58:59]
	s_waitcnt lgkmcnt(0)
	s_barrier
	s_and_saveexec_b64 s[58:59], s[6:7]
	s_cbranch_execz .LBB67_19
; %bb.18:                               ;   in Loop: Header=BB67_11 Depth=1
	ds_read2st64_b32 v[6:7], v12 offset1:1
	s_waitcnt lgkmcnt(0)
	v_add_f32_e32 v6, v6, v7
	ds_write_b32 v12, v6
.LBB67_19:                              ;   in Loop: Header=BB67_11 Depth=1
	s_or_b64 exec, exec, s[58:59]
	s_waitcnt lgkmcnt(0)
	s_barrier
	s_and_saveexec_b64 s[58:59], s[8:9]
	s_cbranch_execz .LBB67_21
; %bb.20:                               ;   in Loop: Header=BB67_11 Depth=1
	ds_read2_b32 v[6:7], v12 offset1:32
	s_waitcnt lgkmcnt(0)
	v_add_f32_e32 v6, v6, v7
	ds_write_b32 v12, v6
.LBB67_21:                              ;   in Loop: Header=BB67_11 Depth=1
	s_or_b64 exec, exec, s[58:59]
	s_waitcnt lgkmcnt(0)
	s_barrier
	s_and_saveexec_b64 s[58:59], s[10:11]
	s_cbranch_execz .LBB67_23
; %bb.22:                               ;   in Loop: Header=BB67_11 Depth=1
	ds_read2_b32 v[6:7], v12 offset1:16
	s_waitcnt lgkmcnt(0)
	v_add_f32_e32 v6, v6, v7
	ds_write_b32 v12, v6
.LBB67_23:                              ;   in Loop: Header=BB67_11 Depth=1
	;; [unrolled: 11-line block ×5, first 2 shown]
	s_or_b64 exec, exec, s[58:59]
	s_waitcnt lgkmcnt(0)
	s_barrier
	s_and_saveexec_b64 s[58:59], s[18:19]
	s_cbranch_execz .LBB67_31
; %bb.30:                               ;   in Loop: Header=BB67_11 Depth=1
	ds_read_b64 v[6:7], v1
	s_waitcnt lgkmcnt(0)
	v_add_f32_e32 v6, v6, v7
	ds_write_b32 v1, v6
.LBB67_31:                              ;   in Loop: Header=BB67_11 Depth=1
	s_or_b64 exec, exec, s[58:59]
	s_waitcnt lgkmcnt(0)
	s_barrier
	s_and_saveexec_b64 s[58:59], s[18:19]
	s_cbranch_execz .LBB67_10
; %bb.32:                               ;   in Loop: Header=BB67_11 Depth=1
	ds_read_b32 v6, v1
	s_and_b64 vcc, exec, s[20:21]
	s_cbranch_vccnz .LBB67_9
; %bb.33:                               ;   in Loop: Header=BB67_11 Depth=1
	s_lshl_b64 s[60:61], s[56:57], 2
	s_add_u32 s60, s34, s60
	s_addc_u32 s61, s35, s61
	global_load_dword v7, v1, s[60:61]
	s_waitcnt vmcnt(0) lgkmcnt(0)
	v_fmac_f32_e32 v6, s22, v7
	s_branch .LBB67_9
.LBB67_34:
	s_mov_b64 s[4:5], 0
.LBB67_35:
	s_andn2_b64 vcc, exec, s[4:5]
	s_cbranch_vccnz .LBB67_70
; %bb.36:
	s_load_dwordx2 s[4:5], s[0:1], 0x18
	s_sub_i32 s6, s2, s23
	v_mov_b32_e32 v1, 0
	v_or_b32_e32 v2, s23, v0
	v_cmp_eq_u32_e32 vcc, 0, v2
	s_waitcnt lgkmcnt(0)
	s_add_u32 s2, s4, s48
	s_addc_u32 s3, s5, s49
	global_load_dword v8, v1, s[2:3]
	v_mov_b32_e32 v9, 0
	s_and_saveexec_b64 s[8:9], vcc
	s_cbranch_execz .LBB67_40
; %bb.37:
	s_lshl_b64 s[12:13], s[36:37], 2
	s_add_u32 s12, s34, s12
	s_addc_u32 s13, s35, s13
	v_mov_b32_e32 v4, 0
	global_load_dword v2, v4, s[12:13]
	s_mov_b64 s[10:11], exec
	v_mbcnt_lo_u32_b32 v5, s10, 0
	v_mbcnt_hi_u32_b32 v5, s11, v5
	v_add_f32_e64 v3, s22, -1.0
	v_cmp_eq_u32_e32 vcc, 0, v5
	s_waitcnt vmcnt(0) expcnt(0) lgkmcnt(0)
	s_and_saveexec_b64 s[12:13], vcc
	s_cbranch_execz .LBB67_39
; %bb.38:
	s_ashr_i32 s7, s6, 31
	s_lshl_b64 s[14:15], s[6:7], 2
	s_add_u32 s14, s4, s14
	s_addc_u32 s15, s5, s15
	s_bcnt1_i32_b64 s7, s[10:11]
	s_and_b32 s7, s7, 1
	v_mov_b32_e32 v5, s7
	global_atomic_xor v4, v5, s[14:15]
.LBB67_39:
	s_or_b64 exec, exec, s[12:13]
	v_mul_f32_e32 v9, v3, v2
.LBB67_40:
	s_or_b64 exec, exec, s[8:9]
	s_load_dwordx2 s[8:9], s[40:41], 0x8
	s_sub_u32 s11, s42, s46
	s_mul_i32 s10, s23, 0xc00
	s_subb_u32 s13, s43, 0
	s_mul_hi_i32 s7, s23, 0xc00
	s_add_u32 s12, s11, s10
	s_addc_u32 s13, s13, s7
	s_waitcnt lgkmcnt(0)
	s_sub_u32 s10, s8, s46
	s_subb_u32 s11, s9, 0
	v_lshl_add_u64 v[2:3], s[12:13], 0, v[0:1]
	v_cmp_gt_i64_e32 vcc, s[10:11], v[2:3]
	s_and_saveexec_b64 s[8:9], vcc
	s_cbranch_execz .LBB67_44
; %bb.41:
	s_add_u32 s12, s12, 0xc00
	s_addc_u32 s13, s13, 0
	v_mov_b64_e32 v[4:5], s[10:11]
	v_cmp_lt_i64_e32 vcc, s[12:13], v[4:5]
	s_and_b64 s[14:15], vcc, exec
	s_cselect_b32 s11, s13, s11
	s_cselect_b32 s10, s12, s10
	v_lshl_add_u64 v[4:5], v[2:3], 1, s[28:29]
	v_lshl_add_u64 v[6:7], v[2:3], 2, s[26:27]
	s_mov_b64 s[12:13], 0
	s_mov_b64 s[14:15], 0x100
	s_mov_b64 s[16:17], 0x200
	s_mov_b64 s[18:19], 0x400
.LBB67_42:                              ; =>This Inner Loop Header: Depth=1
	global_load_dword v1, v[6:7], off
	global_load_ushort v12, v[4:5], off
	v_lshl_add_u64 v[2:3], v[2:3], 0, s[14:15]
	v_cmp_le_i64_e32 vcc, s[10:11], v[2:3]
	v_lshl_add_u64 v[4:5], v[4:5], 0, s[16:17]
	v_lshl_add_u64 v[6:7], v[6:7], 0, s[18:19]
	s_or_b64 s[12:13], vcc, s[12:13]
	s_waitcnt vmcnt(1)
	v_subrev_u32_e32 v10, s46, v1
	v_ashrrev_i32_e32 v11, 31, v10
	v_lshl_add_u64 v[10:11], v[10:11], 1, s[30:31]
	global_load_ushort v1, v[10:11], off
	s_waitcnt vmcnt(1)
	v_cvt_f32_f16_e32 v10, v12
	v_mul_f32_e32 v10, s44, v10
	s_waitcnt vmcnt(0)
	v_fma_mix_f32 v9, v10, v1, v9 op_sel_hi:[0,1,0]
	s_andn2_b64 exec, exec, s[12:13]
	s_cbranch_execnz .LBB67_42
; %bb.43:
	s_or_b64 exec, exec, s[12:13]
.LBB67_44:
	s_or_b64 exec, exec, s[8:9]
	s_movk_i32 s7, 0x80
	v_lshlrev_b32_e32 v1, 2, v0
	v_cmp_gt_u32_e32 vcc, s7, v0
	ds_write_b32 v1, v9
	s_waitcnt lgkmcnt(0)
	s_barrier
	s_and_saveexec_b64 s[8:9], vcc
	s_cbranch_execz .LBB67_46
; %bb.45:
	ds_read2st64_b32 v[2:3], v1 offset1:2
	s_waitcnt lgkmcnt(0)
	v_add_f32_e32 v2, v2, v3
	ds_write_b32 v1, v2
.LBB67_46:
	s_or_b64 exec, exec, s[8:9]
	v_cmp_gt_u32_e32 vcc, 64, v0
	s_waitcnt lgkmcnt(0)
	s_barrier
	s_and_saveexec_b64 s[8:9], vcc
	s_cbranch_execz .LBB67_48
; %bb.47:
	ds_read2st64_b32 v[2:3], v1 offset1:1
	s_waitcnt lgkmcnt(0)
	v_add_f32_e32 v2, v2, v3
	ds_write_b32 v1, v2
.LBB67_48:
	s_or_b64 exec, exec, s[8:9]
	v_cmp_gt_u32_e32 vcc, 32, v0
	s_waitcnt lgkmcnt(0)
	s_barrier
	s_and_saveexec_b64 s[8:9], vcc
	s_cbranch_execz .LBB67_50
; %bb.49:
	ds_read2_b32 v[2:3], v1 offset1:32
	s_waitcnt lgkmcnt(0)
	v_add_f32_e32 v2, v2, v3
	ds_write_b32 v1, v2
.LBB67_50:
	s_or_b64 exec, exec, s[8:9]
	v_cmp_gt_u32_e32 vcc, 16, v0
	s_waitcnt lgkmcnt(0)
	s_barrier
	s_and_saveexec_b64 s[8:9], vcc
	s_cbranch_execz .LBB67_52
; %bb.51:
	ds_read2_b32 v[2:3], v1 offset1:16
	s_waitcnt lgkmcnt(0)
	v_add_f32_e32 v2, v2, v3
	ds_write_b32 v1, v2
.LBB67_52:
	;; [unrolled: 12-line block ×5, first 2 shown]
	s_or_b64 exec, exec, s[8:9]
	v_cmp_eq_u32_e32 vcc, 0, v0
	s_waitcnt lgkmcnt(0)
	s_barrier
	s_and_saveexec_b64 s[8:9], vcc
	s_cbranch_execz .LBB67_60
; %bb.59:
	v_mov_b32_e32 v1, 0
	ds_read_b64 v[2:3], v1
	s_waitcnt lgkmcnt(0)
	v_add_f32_e32 v2, v2, v3
	ds_write_b32 v1, v2
.LBB67_60:
	s_or_b64 exec, exec, s[8:9]
	s_waitcnt lgkmcnt(0)
	s_barrier
	s_and_saveexec_b64 s[8:9], vcc
	s_cbranch_execz .LBB67_69
; %bb.61:
	s_cmp_eq_u32 s23, 0
	s_cbranch_scc1 .LBB67_67
; %bb.62:
	s_ashr_i32 s7, s6, 31
	s_lshl_b64 s[6:7], s[6:7], 2
	s_add_u32 s4, s4, s6
	s_addc_u32 s5, s5, s7
	v_mov_b32_e32 v1, 0
	s_branch .LBB67_64
.LBB67_63:                              ;   in Loop: Header=BB67_64 Depth=1
	s_or_b64 exec, exec, s[6:7]
	s_waitcnt vmcnt(0)
	v_readfirstlane_b32 s6, v2
	s_nop 1
	v_cmp_eq_u32_e32 vcc, s6, v8
	s_cbranch_vccz .LBB67_66
.LBB67_64:                              ; =>This Inner Loop Header: Depth=1
	v_mbcnt_lo_u32_b32 v2, exec_lo, 0
	v_mbcnt_hi_u32_b32 v2, exec_hi, v2
	v_cmp_eq_u32_e32 vcc, 0, v2
                                        ; implicit-def: $vgpr2
	s_and_saveexec_b64 s[6:7], vcc
	s_cbranch_execz .LBB67_63
; %bb.65:                               ;   in Loop: Header=BB67_64 Depth=1
	global_load_dword v2, v1, s[4:5] sc1
	s_branch .LBB67_63
.LBB67_66:
	v_mov_b32_e32 v1, 0
	global_load_ushort v2, v1, s[2:3]
	s_waitcnt vmcnt(0)
	v_xor_b32_e32 v2, 1, v2
	global_store_short v1, v2, s[2:3]
.LBB67_67:
	s_mov_b64 s[2:3], exec
	v_mbcnt_lo_u32_b32 v1, s2, 0
	v_mbcnt_hi_u32_b32 v1, s3, v1
	v_cmp_eq_u32_e32 vcc, 0, v1
	s_and_b64 s[4:5], exec, vcc
	s_mov_b64 exec, s[4:5]
	s_cbranch_execz .LBB67_69
; %bb.68:
	v_mov_b32_e32 v1, 0
	ds_read_b32 v2, v1
	s_lshl_b64 s[4:5], s[36:37], 2
	s_add_u32 s4, s34, s4
	s_addc_u32 s5, s35, s5
	s_bcnt1_i32_b64 s2, s[2:3]
	v_cvt_f32_ubyte0_e32 v3, s2
	s_waitcnt lgkmcnt(0)
	v_mul_f32_e32 v2, v2, v3
	global_atomic_add_f32 v1, v2, s[4:5]
.LBB67_69:
	s_or_b64 exec, exec, s[8:9]
.LBB67_70:
	s_mov_b64 s[4:5], 0
.LBB67_71:
	s_andn2_b64 vcc, exec, s[4:5]
	s_cbranch_vccnz .LBB67_120
; %bb.72:
	s_load_dwordx2 s[0:1], s[0:1], 0x8
	v_subrev_co_u32_e32 v2, vcc, s46, v0
	v_mov_b32_e32 v1, 0
	s_nop 0
	v_subb_co_u32_e64 v3, s[2:3], 0, 0, vcc
	s_waitcnt lgkmcnt(0)
	v_lshl_add_u64 v[2:3], s[42:43], 0, v[2:3]
	s_mov_b64 s[2:3], 0x300
	v_lshl_add_u64 v[4:5], v[2:3], 0, s[2:3]
	v_cmp_le_i64_e32 vcc, s[0:1], v[4:5]
	s_and_saveexec_b64 s[0:1], vcc
	s_xor_b64 s[0:1], exec, s[0:1]
	s_cbranch_execz .LBB67_82
; %bb.73:
	s_lshl_b64 s[2:3], s[38:39], 3
	s_add_u32 s2, s24, s2
	s_addc_u32 s3, s25, s3
	s_load_dwordx2 s[2:3], s[2:3], 0x0
	s_waitcnt lgkmcnt(0)
	s_sub_u32 s2, s2, s46
	s_subb_u32 s3, s3, 0
	v_cmp_gt_i64_e32 vcc, s[2:3], v[2:3]
	s_and_saveexec_b64 s[4:5], vcc
	s_cbranch_execz .LBB67_81
; %bb.74:
	v_lshl_add_u64 v[4:5], s[42:43], 0, v[0:1]
	v_subrev_co_u32_e32 v4, vcc, s46, v4
	s_mov_b64 s[6:7], 0x100
	s_nop 0
	v_subbrev_co_u32_e32 v5, vcc, 0, v5, vcc
	v_lshl_add_u64 v[4:5], v[4:5], 0, s[6:7]
	v_mov_b32_e32 v6, s3
	v_cmp_lt_i64_e32 vcc, s[2:3], v[4:5]
	s_not_b64 s[8:9], s[42:43]
	s_add_u32 s8, s8, s46
	v_cndmask_b32_e32 v5, v6, v5, vcc
	v_mov_b32_e32 v6, s2
	v_cndmask_b32_e32 v4, v6, v4, vcc
	s_addc_u32 s9, s9, 0
	v_lshl_add_u64 v[4:5], s[8:9], 0, v[4:5]
	v_sub_co_u32_e32 v4, vcc, v4, v0
	s_mov_b64 s[8:9], 0xff
	s_nop 0
	v_subbrev_co_u32_e32 v5, vcc, 0, v5, vcc
	v_cmp_lt_u64_e32 vcc, s[8:9], v[4:5]
	s_mov_b64 s[10:11], -1
	s_waitcnt vmcnt(0)
	v_mov_b64_e32 v[8:9], 0
	s_and_saveexec_b64 s[8:9], vcc
	s_cbranch_execz .LBB67_78
; %bb.75:
	v_lshrrev_b64 v[4:5], 8, v[4:5]
	v_lshl_add_u64 v[4:5], v[4:5], 0, 1
	v_and_b32_e32 v6, -2, v4
	v_mov_b32_e32 v7, v5
	v_lshlrev_b32_e32 v12, 2, v0
	v_mov_b32_e32 v8, v2
	v_mov_b32_e32 v9, v3
	s_mov_b32 s45, s44
	s_mov_b32 s14, s46
	s_mov_b64 s[10:11], 0
	v_mov_b64_e32 v[10:11], v[6:7]
	s_mov_b64 s[12:13], 0
.LBB67_76:                              ; =>This Inner Loop Header: Depth=1
	v_lshl_add_u64 v[16:17], s[12:13], 0, v[2:3]
	v_lshl_add_u64 v[14:15], s[6:7], 0, v[8:9]
	;; [unrolled: 1-line block ×4, first 2 shown]
	global_load_dword v13, v[18:19], off
	global_load_dword v22, v[20:21], off
	v_lshl_add_u64 v[16:17], v[16:17], 1, s[28:29]
	v_lshl_add_u64 v[14:15], v[14:15], 1, s[28:29]
	global_load_ushort v18, v[16:17], off
	global_load_ushort v19, v[14:15], off
	v_lshl_add_u32 v21, s12, 2, v12
	s_add_u32 s12, s12, 0x200
	s_addc_u32 s13, s13, 0
	v_lshl_add_u64 v[10:11], v[10:11], 0, -2
	v_cmp_eq_u64_e32 vcc, 0, v[10:11]
	s_waitcnt vmcnt(3)
	v_subrev_u32_e32 v14, s46, v13
	s_waitcnt vmcnt(2)
	v_subrev_u32_e32 v16, s14, v22
	v_ashrrev_i32_e32 v17, 31, v16
	v_ashrrev_i32_e32 v15, 31, v14
	v_lshl_add_u64 v[16:17], v[16:17], 1, s[30:31]
	v_lshl_add_u64 v[14:15], v[14:15], 1, s[30:31]
	global_load_ushort v13, v[16:17], off
	global_load_ushort v20, v[14:15], off
	s_waitcnt vmcnt(2)
	v_cvt_f32_f16_e32 v15, v19
	v_cvt_f32_f16_e32 v14, v18
	v_lshl_add_u32 v22, s6, 2, v12
	s_add_u32 s6, s6, 0x200
	s_addc_u32 s7, s7, 0
	v_pk_mul_f32 v[14:15], s[44:45], v[14:15]
	s_or_b64 s[10:11], vcc, s[10:11]
	s_waitcnt vmcnt(1)
	v_cvt_f32_f16_e32 v17, v13
	s_waitcnt vmcnt(0)
	v_cvt_f32_f16_e32 v16, v20
	v_pk_mul_f32 v[14:15], v[14:15], v[16:17]
	ds_write_b32 v21, v14
	ds_write_b32 v22, v15
	s_andn2_b64 exec, exec, s[10:11]
	s_cbranch_execnz .LBB67_76
; %bb.77:
	s_or_b64 exec, exec, s[10:11]
	v_cmp_ne_u64_e32 vcc, v[4:5], v[6:7]
	v_lshlrev_b64 v[8:9], 8, v[6:7]
	s_orn2_b64 s[10:11], vcc, exec
.LBB67_78:
	s_or_b64 exec, exec, s[8:9]
	s_and_b64 exec, exec, s[10:11]
	s_cbranch_execz .LBB67_81
; %bb.79:
	v_lshl_add_u64 v[2:3], v[8:9], 0, s[42:43]
	v_lshl_add_u64 v[2:3], v[2:3], 0, v[0:1]
	v_subrev_co_u32_e32 v2, vcc, s46, v2
	v_lshlrev_b32_e32 v4, 2, v8
	s_nop 0
	v_subbrev_co_u32_e32 v3, vcc, 0, v3, vcc
	v_lshl_add_u32 v8, v0, 2, v4
	v_lshl_add_u64 v[4:5], v[2:3], 1, s[28:29]
	v_lshl_add_u64 v[6:7], v[2:3], 2, s[26:27]
	s_mov_b64 s[6:7], 0
	s_mov_b64 s[8:9], 0x100
	s_mov_b64 s[10:11], 0x200
	s_mov_b64 s[12:13], 0x400
.LBB67_80:                              ; =>This Inner Loop Header: Depth=1
	global_load_dword v9, v[6:7], off
	global_load_ushort v12, v[4:5], off
	v_lshl_add_u64 v[2:3], v[2:3], 0, s[8:9]
	v_cmp_le_i64_e32 vcc, s[2:3], v[2:3]
	v_lshl_add_u64 v[4:5], v[4:5], 0, s[10:11]
	v_lshl_add_u64 v[6:7], v[6:7], 0, s[12:13]
	s_or_b64 s[6:7], vcc, s[6:7]
	s_waitcnt vmcnt(1)
	v_subrev_u32_e32 v10, s46, v9
	v_ashrrev_i32_e32 v11, 31, v10
	v_lshl_add_u64 v[10:11], v[10:11], 1, s[30:31]
	global_load_ushort v9, v[10:11], off
	s_waitcnt vmcnt(1)
	v_cvt_f32_f16_e32 v10, v12
	v_mul_f32_e32 v10, s44, v10
	s_waitcnt vmcnt(0)
	v_cvt_f32_f16_e32 v9, v9
	v_mul_f32_e32 v9, v10, v9
	ds_write_b32 v8, v9
	v_add_u32_e32 v8, 0x400, v8
	s_andn2_b64 exec, exec, s[6:7]
	s_cbranch_execnz .LBB67_80
.LBB67_81:
	s_or_b64 exec, exec, s[4:5]
                                        ; implicit-def: $vgpr2_vgpr3
.LBB67_82:
	s_or_saveexec_b64 s[0:1], s[0:1]
	s_waitcnt vmcnt(0)
	v_lshlrev_b32_e32 v8, 2, v0
	s_xor_b64 exec, exec, s[0:1]
	s_cbranch_execz .LBB67_84
; %bb.83:
	v_lshl_add_u64 v[4:5], v[2:3], 2, s[26:27]
	global_load_dword v6, v[4:5], off
	global_load_dword v7, v[4:5], off offset:1024
	global_load_dword v9, v[4:5], off offset:2048
	;; [unrolled: 1-line block ×3, first 2 shown]
	v_lshl_add_u64 v[2:3], v[2:3], 1, s[28:29]
	global_load_ushort v12, v[2:3], off
	global_load_ushort v13, v[2:3], off offset:512
	global_load_ushort v14, v[2:3], off offset:1024
	;; [unrolled: 1-line block ×3, first 2 shown]
	s_waitcnt vmcnt(7)
	v_subrev_u32_e32 v2, s46, v6
	s_waitcnt vmcnt(6)
	v_subrev_u32_e32 v4, s46, v7
	;; [unrolled: 2-line block ×4, first 2 shown]
	v_ashrrev_i32_e32 v3, 31, v2
	v_ashrrev_i32_e32 v5, 31, v4
	;; [unrolled: 1-line block ×4, first 2 shown]
	v_lshl_add_u64 v[2:3], v[2:3], 1, s[30:31]
	v_lshl_add_u64 v[4:5], v[4:5], 1, s[30:31]
	;; [unrolled: 1-line block ×4, first 2 shown]
	global_load_ushort v9, v[2:3], off
	global_load_ushort v16, v[4:5], off
	;; [unrolled: 1-line block ×4, first 2 shown]
	s_waitcnt vmcnt(7)
	v_cvt_f32_f16_e32 v2, v12
	s_waitcnt vmcnt(6)
	v_cvt_f32_f16_e32 v3, v13
	;; [unrolled: 2-line block ×4, first 2 shown]
	v_mul_f32_e32 v2, s44, v2
	v_mul_f32_e32 v3, s44, v3
	;; [unrolled: 1-line block ×4, first 2 shown]
	s_waitcnt vmcnt(3)
	v_cvt_f32_f16_e32 v6, v9
	s_waitcnt vmcnt(2)
	v_cvt_f32_f16_e32 v7, v16
	;; [unrolled: 2-line block ×4, first 2 shown]
	v_mul_f32_e32 v2, v2, v6
	v_mul_f32_e32 v3, v3, v7
	;; [unrolled: 1-line block ×4, first 2 shown]
	ds_write2st64_b32 v8, v2, v3 offset1:4
	ds_write2st64_b32 v8, v4, v5 offset0:8 offset1:12
.LBB67_84:
	s_or_b64 exec, exec, s[0:1]
	s_cmp_lt_i32 s23, 2
	s_mov_b64 s[0:1], -1
	s_waitcnt lgkmcnt(0)
	s_barrier
	s_cbranch_scc0 .LBB67_95
; %bb.85:
	v_lshl_add_u64 v[6:7], s[36:37], 0, v[0:1]
	v_cmp_gt_i64_e32 vcc, s[38:39], v[6:7]
	s_and_saveexec_b64 s[0:1], vcc
	s_cbranch_execz .LBB67_94
; %bb.86:
	s_lshl_b32 s4, s42, 2
	v_cmp_neq_f32_e64 s[2:3], s22, 0
	s_sub_i32 s12, 0, s4
	s_mov_b64 s[4:5], 0
	s_mov_b64 s[6:7], 0x100
	s_branch .LBB67_88
.LBB67_87:                              ;   in Loop: Header=BB67_88 Depth=1
	v_lshl_add_u64 v[6:7], v[6:7], 0, s[6:7]
	v_cmp_le_i64_e32 vcc, s[38:39], v[6:7]
	s_or_b64 s[4:5], vcc, s[4:5]
	global_store_dword v[2:3], v1, off
	s_andn2_b64 exec, exec, s[4:5]
	s_cbranch_execz .LBB67_94
.LBB67_88:                              ; =>This Loop Header: Depth=1
                                        ;     Child Loop BB67_90 Depth 2
	v_lshl_add_u64 v[2:3], v[6:7], 3, s[24:25]
	global_load_dwordx4 v[2:5], v[2:3], off
	v_mov_b32_e32 v1, 0
	s_waitcnt vmcnt(0)
	v_subrev_u32_e32 v3, s42, v2
	v_subrev_u32_e32 v4, s42, v4
	v_cmp_lt_i32_e32 vcc, v3, v4
	s_and_saveexec_b64 s[8:9], vcc
	s_cbranch_execz .LBB67_92
; %bb.89:                               ;   in Loop: Header=BB67_88 Depth=1
	v_lshl_add_u32 v2, v2, 2, s12
	v_mov_b32_e32 v1, 0
	s_mov_b64 s[10:11], 0
.LBB67_90:                              ;   Parent Loop BB67_88 Depth=1
                                        ; =>  This Inner Loop Header: Depth=2
	ds_read_b32 v5, v2
	v_add_u32_e32 v3, 1, v3
	v_cmp_ge_i32_e32 vcc, v3, v4
	v_add_u32_e32 v2, 4, v2
	s_or_b64 s[10:11], vcc, s[10:11]
	s_waitcnt lgkmcnt(0)
	v_add_f32_e32 v1, v1, v5
	s_andn2_b64 exec, exec, s[10:11]
	s_cbranch_execnz .LBB67_90
; %bb.91:                               ;   in Loop: Header=BB67_88 Depth=1
	s_or_b64 exec, exec, s[10:11]
.LBB67_92:                              ;   in Loop: Header=BB67_88 Depth=1
	s_or_b64 exec, exec, s[8:9]
	s_and_b64 vcc, exec, s[2:3]
	v_lshl_add_u64 v[2:3], v[6:7], 2, s[34:35]
	s_cbranch_vccz .LBB67_87
; %bb.93:                               ;   in Loop: Header=BB67_88 Depth=1
	global_load_dword v4, v[2:3], off
	s_waitcnt vmcnt(0)
	v_fmac_f32_e32 v1, s22, v4
	s_branch .LBB67_87
.LBB67_94:
	s_or_b64 exec, exec, s[0:1]
	s_mov_b64 s[0:1], 0
.LBB67_95:
	s_andn2_b64 vcc, exec, s[0:1]
	s_cbranch_vccnz .LBB67_120
; %bb.96:
	s_flbit_i32_b32 s0, s23
	s_xor_b32 s0, s0, 31
	v_lshrrev_b32_e32 v4, s0, v0
	v_mov_b32_e32 v5, 0
	v_lshl_add_u64 v[2:3], s[36:37], 0, v[4:5]
	s_add_i32 s0, s23, -1
	v_and_b32_e32 v0, s0, v0
	v_cmp_le_i64_e32 vcc, s[38:39], v[2:3]
	v_cmp_gt_i64_e64 s[0:1], s[38:39], v[2:3]
	s_and_saveexec_b64 s[2:3], s[0:1]
	s_cbranch_execz .LBB67_102
; %bb.97:
	v_lshlrev_b32_e32 v1, 3, v4
	global_load_dword v4, v1, s[40:41] offset:8
	global_load_dword v5, v1, s[40:41]
	s_waitcnt vmcnt(1)
	v_subrev_u32_e32 v1, s42, v4
	s_waitcnt vmcnt(0)
	v_subrev_u32_e32 v4, s42, v5
	v_add_u32_e32 v4, v0, v4
	v_cmp_lt_i32_e64 s[0:1], v4, v1
	v_mov_b32_e32 v5, 0
	s_and_saveexec_b64 s[4:5], s[0:1]
	s_cbranch_execz .LBB67_101
; %bb.98:
	v_lshlrev_b32_e32 v6, 2, v4
	s_lshl_b32 s8, s23, 2
	v_mov_b32_e32 v5, 0
	s_mov_b64 s[6:7], 0
.LBB67_99:                              ; =>This Inner Loop Header: Depth=1
	ds_read_b32 v7, v6
	v_add_u32_e32 v4, s23, v4
	v_cmp_ge_i32_e64 s[0:1], v4, v1
	v_add_u32_e32 v6, s8, v6
	s_or_b64 s[6:7], s[0:1], s[6:7]
	s_waitcnt lgkmcnt(0)
	v_add_f32_e32 v5, v5, v7
	s_andn2_b64 exec, exec, s[6:7]
	s_cbranch_execnz .LBB67_99
; %bb.100:
	s_or_b64 exec, exec, s[6:7]
.LBB67_101:
	s_or_b64 exec, exec, s[4:5]
.LBB67_102:
	s_or_b64 exec, exec, s[2:3]
	s_cmpk_lt_u32 s23, 0x81
	s_barrier
	ds_write_b32 v8, v5
	s_waitcnt lgkmcnt(0)
	s_barrier
	s_cbranch_scc1 .LBB67_104
; %bb.103:
	ds_read_b32 v1, v8 offset:512
	s_waitcnt lgkmcnt(0)
	s_barrier
	v_add_f32_e32 v5, v5, v1
	ds_write_b32 v8, v5
.LBB67_104:
	s_cmpk_lt_u32 s23, 0x41
	s_waitcnt lgkmcnt(0)
	s_barrier
	s_cbranch_scc1 .LBB67_106
; %bb.105:
	ds_read_b32 v1, v8 offset:256
	s_waitcnt lgkmcnt(0)
	s_barrier
	v_add_f32_e32 v5, v5, v1
	ds_write_b32 v8, v5
.LBB67_106:
	s_cmp_lt_u32 s23, 33
	s_waitcnt lgkmcnt(0)
	s_barrier
	s_cbranch_scc1 .LBB67_108
; %bb.107:
	ds_read_b32 v1, v8 offset:128
	s_waitcnt lgkmcnt(0)
	s_barrier
	v_add_f32_e32 v5, v5, v1
	ds_write_b32 v8, v5
.LBB67_108:
	s_cmp_lt_u32 s23, 17
	;; [unrolled: 11-line block ×4, first 2 shown]
	s_waitcnt lgkmcnt(0)
	s_barrier
	s_cbranch_scc1 .LBB67_114
; %bb.113:
	ds_read_b32 v1, v8 offset:16
	s_waitcnt lgkmcnt(0)
	s_barrier
	v_add_f32_e32 v5, v5, v1
	ds_write_b32 v8, v5
.LBB67_114:
	s_cmp_eq_u32 s23, 2
	s_waitcnt lgkmcnt(0)
	s_barrier
	s_cbranch_scc1 .LBB67_116
; %bb.115:
	ds_read_b32 v1, v8 offset:8
	s_waitcnt lgkmcnt(0)
	s_barrier
	v_add_f32_e32 v5, v5, v1
	ds_write_b32 v8, v5
.LBB67_116:
	s_waitcnt lgkmcnt(0)
	s_barrier
	ds_read_b32 v1, v8 offset:4
	v_cmp_eq_u32_e64 s[0:1], 0, v0
	s_xor_b64 s[2:3], vcc, -1
	s_and_b64 s[0:1], s[0:1], s[2:3]
	s_waitcnt lgkmcnt(0)
	v_add_f32_e32 v4, v5, v1
	s_barrier
	ds_write_b32 v8, v4
	s_and_saveexec_b64 s[2:3], s[0:1]
	s_cbranch_execz .LBB67_120
; %bb.117:
	v_cmp_eq_f32_e64 s[0:1], s22, 0
	s_and_b64 vcc, exec, s[0:1]
	v_lshl_add_u64 v[0:1], v[2:3], 2, s[34:35]
	s_cbranch_vccnz .LBB67_119
; %bb.118:
	global_load_dword v2, v[0:1], off
	s_waitcnt vmcnt(0)
	v_fmac_f32_e32 v4, s22, v2
.LBB67_119:
	global_store_dword v[0:1], v4, off
.LBB67_120:
	s_endpgm
	.section	.rodata,"a",@progbits
	.p2align	6, 0x0
	.amdhsa_kernel _ZN9rocsparseL22csrmvn_adaptive_kernelIliDF16_DF16_ffEEvbT_PKS1_PjPKT0_NS_24const_host_device_scalarIT4_EES3_S7_PKT1_PKT2_SA_PT3_21rocsparse_index_base_b
		.amdhsa_group_segment_fixed_size 4096
		.amdhsa_private_segment_fixed_size 0
		.amdhsa_kernarg_size 104
		.amdhsa_user_sgpr_count 2
		.amdhsa_user_sgpr_dispatch_ptr 0
		.amdhsa_user_sgpr_queue_ptr 0
		.amdhsa_user_sgpr_kernarg_segment_ptr 1
		.amdhsa_user_sgpr_dispatch_id 0
		.amdhsa_user_sgpr_kernarg_preload_length 0
		.amdhsa_user_sgpr_kernarg_preload_offset 0
		.amdhsa_user_sgpr_private_segment_size 0
		.amdhsa_uses_dynamic_stack 0
		.amdhsa_enable_private_segment 0
		.amdhsa_system_sgpr_workgroup_id_x 1
		.amdhsa_system_sgpr_workgroup_id_y 0
		.amdhsa_system_sgpr_workgroup_id_z 0
		.amdhsa_system_sgpr_workgroup_info 0
		.amdhsa_system_vgpr_workitem_id 0
		.amdhsa_next_free_vgpr 23
		.amdhsa_next_free_sgpr 64
		.amdhsa_accum_offset 24
		.amdhsa_reserve_vcc 1
		.amdhsa_float_round_mode_32 0
		.amdhsa_float_round_mode_16_64 0
		.amdhsa_float_denorm_mode_32 3
		.amdhsa_float_denorm_mode_16_64 3
		.amdhsa_dx10_clamp 1
		.amdhsa_ieee_mode 1
		.amdhsa_fp16_overflow 0
		.amdhsa_tg_split 0
		.amdhsa_exception_fp_ieee_invalid_op 0
		.amdhsa_exception_fp_denorm_src 0
		.amdhsa_exception_fp_ieee_div_zero 0
		.amdhsa_exception_fp_ieee_overflow 0
		.amdhsa_exception_fp_ieee_underflow 0
		.amdhsa_exception_fp_ieee_inexact 0
		.amdhsa_exception_int_div_zero 0
	.end_amdhsa_kernel
	.section	.text._ZN9rocsparseL22csrmvn_adaptive_kernelIliDF16_DF16_ffEEvbT_PKS1_PjPKT0_NS_24const_host_device_scalarIT4_EES3_S7_PKT1_PKT2_SA_PT3_21rocsparse_index_base_b,"axG",@progbits,_ZN9rocsparseL22csrmvn_adaptive_kernelIliDF16_DF16_ffEEvbT_PKS1_PjPKT0_NS_24const_host_device_scalarIT4_EES3_S7_PKT1_PKT2_SA_PT3_21rocsparse_index_base_b,comdat
.Lfunc_end67:
	.size	_ZN9rocsparseL22csrmvn_adaptive_kernelIliDF16_DF16_ffEEvbT_PKS1_PjPKT0_NS_24const_host_device_scalarIT4_EES3_S7_PKT1_PKT2_SA_PT3_21rocsparse_index_base_b, .Lfunc_end67-_ZN9rocsparseL22csrmvn_adaptive_kernelIliDF16_DF16_ffEEvbT_PKS1_PjPKT0_NS_24const_host_device_scalarIT4_EES3_S7_PKT1_PKT2_SA_PT3_21rocsparse_index_base_b
                                        ; -- End function
	.set _ZN9rocsparseL22csrmvn_adaptive_kernelIliDF16_DF16_ffEEvbT_PKS1_PjPKT0_NS_24const_host_device_scalarIT4_EES3_S7_PKT1_PKT2_SA_PT3_21rocsparse_index_base_b.num_vgpr, 23
	.set _ZN9rocsparseL22csrmvn_adaptive_kernelIliDF16_DF16_ffEEvbT_PKS1_PjPKT0_NS_24const_host_device_scalarIT4_EES3_S7_PKT1_PKT2_SA_PT3_21rocsparse_index_base_b.num_agpr, 0
	.set _ZN9rocsparseL22csrmvn_adaptive_kernelIliDF16_DF16_ffEEvbT_PKS1_PjPKT0_NS_24const_host_device_scalarIT4_EES3_S7_PKT1_PKT2_SA_PT3_21rocsparse_index_base_b.numbered_sgpr, 64
	.set _ZN9rocsparseL22csrmvn_adaptive_kernelIliDF16_DF16_ffEEvbT_PKS1_PjPKT0_NS_24const_host_device_scalarIT4_EES3_S7_PKT1_PKT2_SA_PT3_21rocsparse_index_base_b.num_named_barrier, 0
	.set _ZN9rocsparseL22csrmvn_adaptive_kernelIliDF16_DF16_ffEEvbT_PKS1_PjPKT0_NS_24const_host_device_scalarIT4_EES3_S7_PKT1_PKT2_SA_PT3_21rocsparse_index_base_b.private_seg_size, 0
	.set _ZN9rocsparseL22csrmvn_adaptive_kernelIliDF16_DF16_ffEEvbT_PKS1_PjPKT0_NS_24const_host_device_scalarIT4_EES3_S7_PKT1_PKT2_SA_PT3_21rocsparse_index_base_b.uses_vcc, 1
	.set _ZN9rocsparseL22csrmvn_adaptive_kernelIliDF16_DF16_ffEEvbT_PKS1_PjPKT0_NS_24const_host_device_scalarIT4_EES3_S7_PKT1_PKT2_SA_PT3_21rocsparse_index_base_b.uses_flat_scratch, 0
	.set _ZN9rocsparseL22csrmvn_adaptive_kernelIliDF16_DF16_ffEEvbT_PKS1_PjPKT0_NS_24const_host_device_scalarIT4_EES3_S7_PKT1_PKT2_SA_PT3_21rocsparse_index_base_b.has_dyn_sized_stack, 0
	.set _ZN9rocsparseL22csrmvn_adaptive_kernelIliDF16_DF16_ffEEvbT_PKS1_PjPKT0_NS_24const_host_device_scalarIT4_EES3_S7_PKT1_PKT2_SA_PT3_21rocsparse_index_base_b.has_recursion, 0
	.set _ZN9rocsparseL22csrmvn_adaptive_kernelIliDF16_DF16_ffEEvbT_PKS1_PjPKT0_NS_24const_host_device_scalarIT4_EES3_S7_PKT1_PKT2_SA_PT3_21rocsparse_index_base_b.has_indirect_call, 0
	.section	.AMDGPU.csdata,"",@progbits
; Kernel info:
; codeLenInByte = 4184
; TotalNumSgprs: 70
; NumVgprs: 23
; NumAgprs: 0
; TotalNumVgprs: 23
; ScratchSize: 0
; MemoryBound: 0
; FloatMode: 240
; IeeeMode: 1
; LDSByteSize: 4096 bytes/workgroup (compile time only)
; SGPRBlocks: 8
; VGPRBlocks: 2
; NumSGPRsForWavesPerEU: 70
; NumVGPRsForWavesPerEU: 23
; AccumOffset: 24
; Occupancy: 8
; WaveLimiterHint : 1
; COMPUTE_PGM_RSRC2:SCRATCH_EN: 0
; COMPUTE_PGM_RSRC2:USER_SGPR: 2
; COMPUTE_PGM_RSRC2:TRAP_HANDLER: 0
; COMPUTE_PGM_RSRC2:TGID_X_EN: 1
; COMPUTE_PGM_RSRC2:TGID_Y_EN: 0
; COMPUTE_PGM_RSRC2:TGID_Z_EN: 0
; COMPUTE_PGM_RSRC2:TIDIG_COMP_CNT: 0
; COMPUTE_PGM_RSRC3_GFX90A:ACCUM_OFFSET: 5
; COMPUTE_PGM_RSRC3_GFX90A:TG_SPLIT: 0
	.section	.text._ZN9rocsparseL27csrmvn_symm_adaptive_kernelIliDF16_DF16_ffEEvbT_S1_PKS1_NS_24const_host_device_scalarIT4_EES3_PKT0_PKT1_PKT2_S6_PT3_21rocsparse_index_base_b,"axG",@progbits,_ZN9rocsparseL27csrmvn_symm_adaptive_kernelIliDF16_DF16_ffEEvbT_S1_PKS1_NS_24const_host_device_scalarIT4_EES3_PKT0_PKT1_PKT2_S6_PT3_21rocsparse_index_base_b,comdat
	.globl	_ZN9rocsparseL27csrmvn_symm_adaptive_kernelIliDF16_DF16_ffEEvbT_S1_PKS1_NS_24const_host_device_scalarIT4_EES3_PKT0_PKT1_PKT2_S6_PT3_21rocsparse_index_base_b ; -- Begin function _ZN9rocsparseL27csrmvn_symm_adaptive_kernelIliDF16_DF16_ffEEvbT_S1_PKS1_NS_24const_host_device_scalarIT4_EES3_PKT0_PKT1_PKT2_S6_PT3_21rocsparse_index_base_b
	.p2align	8
	.type	_ZN9rocsparseL27csrmvn_symm_adaptive_kernelIliDF16_DF16_ffEEvbT_S1_PKS1_NS_24const_host_device_scalarIT4_EES3_PKT0_PKT1_PKT2_S6_PT3_21rocsparse_index_base_b,@function
_ZN9rocsparseL27csrmvn_symm_adaptive_kernelIliDF16_DF16_ffEEvbT_S1_PKS1_NS_24const_host_device_scalarIT4_EES3_PKT0_PKT1_PKT2_S6_PT3_21rocsparse_index_base_b: ; @_ZN9rocsparseL27csrmvn_symm_adaptive_kernelIliDF16_DF16_ffEEvbT_S1_PKS1_NS_24const_host_device_scalarIT4_EES3_PKT0_PKT1_PKT2_S6_PT3_21rocsparse_index_base_b
; %bb.0:
	s_load_dwordx2 s[28:29], s[0:1], 0x58
	s_load_dwordx2 s[36:37], s[0:1], 0x20
	;; [unrolled: 1-line block ×3, first 2 shown]
	s_waitcnt lgkmcnt(0)
	s_bitcmp1_b32 s29, 0
	s_cselect_b64 s[8:9], -1, 0
	s_xor_b64 s[6:7], s[8:9], -1
	s_and_b64 vcc, exec, s[8:9]
	s_cbranch_vccnz .LBB68_2
; %bb.1:
	s_load_dword s36, s[36:37], 0x0
.LBB68_2:
	s_andn2_b64 vcc, exec, s[6:7]
	s_cbranch_vccnz .LBB68_4
; %bb.3:
	s_load_dword s4, s[4:5], 0x0
.LBB68_4:
	s_waitcnt lgkmcnt(0)
	v_cmp_neq_f32_e64 s[6:7], s36, 0
	v_cmp_neq_f32_e64 s[4:5], s4, 1.0
	s_or_b64 s[4:5], s[6:7], s[4:5]
	s_andn2_b64 vcc, exec, s[4:5]
	s_cbranch_vccnz .LBB68_149
; %bb.5:
	s_load_dwordx2 s[4:5], s[0:1], 0x18
	s_ashr_i32 s3, s2, 31
	s_lshl_b64 s[2:3], s[2:3], 3
	v_lshlrev_b32_e32 v18, 2, v0
	v_mov_b32_e32 v1, 0
	s_waitcnt lgkmcnt(0)
	s_add_u32 s2, s4, s2
	s_addc_u32 s3, s5, s3
	ds_write2st64_b32 v18, v1, v1 offset1:4
	ds_write2st64_b32 v18, v1, v1 offset0:8 offset1:12
	s_waitcnt lgkmcnt(0)
	s_barrier
	s_load_dwordx4 s[20:23], s[2:3], 0x0
	s_load_dwordx8 s[12:19], s[0:1], 0x28
	s_load_dwordx2 s[24:25], s[0:1], 0x50
	s_mov_b64 s[2:3], -1
	s_waitcnt lgkmcnt(0)
	s_sub_u32 s26, s22, s20
	s_subb_u32 s27, s23, s21
	v_cmp_gt_i64_e64 s[4:5], s[26:27], 2
	s_and_b64 vcc, exec, s[4:5]
	s_cbranch_vccnz .LBB68_36
; %bb.6:
	v_mov_b64_e32 v[2:3], s[20:21]
	v_cmp_le_i64_e32 vcc, s[22:23], v[2:3]
	v_subrev_co_u32_e64 v2, s[2:3], s28, v0
	s_nop 1
	v_subb_co_u32_e64 v3, s[2:3], 0, 0, s[2:3]
	s_cbranch_vccnz .LBB68_26
; %bb.7:
	s_movk_i32 s2, 0x100
	v_cmp_gt_u32_e64 s[2:3], s2, v0
	v_cmp_gt_u32_e64 s[4:5], 64, v0
	;; [unrolled: 1-line block ×4, first 2 shown]
	v_cmp_eq_u32_e64 s[10:11], 0, v0
	s_mov_b64 s[30:31], 0x100
	s_mov_b64 s[34:35], 0x400
	;; [unrolled: 1-line block ×3, first 2 shown]
	v_mov_b32_e32 v1, 0
	v_mov_b64_e32 v[4:5], s[22:23]
	s_mov_b64 s[40:41], s[20:21]
	s_branch .LBB68_9
.LBB68_8:                               ;   in Loop: Header=BB68_9 Depth=1
	s_or_b64 exec, exec, s[42:43]
	s_add_u32 s40, s40, 1
	s_addc_u32 s41, s41, 0
	v_cmp_ge_i64_e32 vcc, s[40:41], v[4:5]
	s_cbranch_vccnz .LBB68_26
.LBB68_9:                               ; =>This Loop Header: Depth=1
                                        ;     Child Loop BB68_11 Depth 2
	s_lshl_b64 s[42:43], s[40:41], 3
	s_add_u32 s42, s12, s42
	s_addc_u32 s43, s13, s43
	s_load_dwordx4 s[44:47], s[42:43], 0x0
	v_mov_b32_e32 v12, 0
	s_waitcnt lgkmcnt(0)
	s_sub_u32 s42, s46, s28
	v_lshl_add_u64 v[6:7], s[44:45], 0, v[2:3]
	s_subb_u32 s43, s47, 0
	v_cmp_gt_i64_e32 vcc, s[42:43], v[6:7]
	s_and_saveexec_b64 s[44:45], vcc
	s_cbranch_execz .LBB68_13
; %bb.10:                               ;   in Loop: Header=BB68_9 Depth=1
	v_lshl_add_u64 v[8:9], v[6:7], 2, s[14:15]
	v_lshl_add_u64 v[10:11], v[6:7], 1, s[16:17]
	v_mov_b32_e32 v12, 0
	s_mov_b64 s[46:47], 0
.LBB68_11:                              ;   Parent Loop BB68_9 Depth=1
                                        ; =>  This Inner Loop Header: Depth=2
	global_load_dword v13, v[8:9], off
	global_load_ushort v16, v[10:11], off
	v_lshl_add_u64 v[6:7], v[6:7], 0, s[30:31]
	v_cmp_le_i64_e32 vcc, s[42:43], v[6:7]
	v_lshl_add_u64 v[8:9], v[8:9], 0, s[34:35]
	v_lshl_add_u64 v[10:11], v[10:11], 0, s[38:39]
	s_or_b64 s[46:47], vcc, s[46:47]
	s_waitcnt vmcnt(1)
	v_subrev_u32_e32 v14, s28, v13
	v_ashrrev_i32_e32 v15, 31, v14
	v_lshl_add_u64 v[14:15], v[14:15], 1, s[18:19]
	global_load_ushort v13, v[14:15], off
	s_waitcnt vmcnt(0)
	v_fma_mix_f32 v12, v16, v13, v12 op_sel_hi:[1,1,0]
	s_andn2_b64 exec, exec, s[46:47]
	s_cbranch_execnz .LBB68_11
; %bb.12:                               ;   in Loop: Header=BB68_9 Depth=1
	s_or_b64 exec, exec, s[46:47]
.LBB68_13:                              ;   in Loop: Header=BB68_9 Depth=1
	s_or_b64 exec, exec, s[44:45]
	ds_write_b32 v18, v12
	s_waitcnt lgkmcnt(0)
	s_barrier
	s_and_saveexec_b64 s[42:43], s[2:3]
	s_cbranch_execz .LBB68_15
; %bb.14:                               ;   in Loop: Header=BB68_9 Depth=1
	ds_read2st64_b32 v[6:7], v18 offset1:4
	ds_read2st64_b32 v[8:9], v18 offset0:8 offset1:12
	s_waitcnt lgkmcnt(0)
	v_add_f32_e32 v7, v7, v8
	v_add_f32_e32 v7, v7, v9
	;; [unrolled: 1-line block ×3, first 2 shown]
	ds_write_b32 v18, v6
.LBB68_15:                              ;   in Loop: Header=BB68_9 Depth=1
	s_or_b64 exec, exec, s[42:43]
	s_waitcnt lgkmcnt(0)
	s_barrier
	s_and_saveexec_b64 s[42:43], s[4:5]
	s_cbranch_execz .LBB68_17
; %bb.16:                               ;   in Loop: Header=BB68_9 Depth=1
	ds_read2st64_b32 v[6:7], v18 offset1:1
	ds_read2st64_b32 v[8:9], v18 offset0:2 offset1:3
	s_waitcnt lgkmcnt(0)
	v_add_f32_e32 v7, v7, v8
	v_add_f32_e32 v7, v7, v9
	;; [unrolled: 1-line block ×3, first 2 shown]
	ds_write_b32 v18, v6
.LBB68_17:                              ;   in Loop: Header=BB68_9 Depth=1
	s_or_b64 exec, exec, s[42:43]
	s_waitcnt lgkmcnt(0)
	s_barrier
	s_and_saveexec_b64 s[42:43], s[6:7]
	s_cbranch_execz .LBB68_19
; %bb.18:                               ;   in Loop: Header=BB68_9 Depth=1
	ds_read2_b32 v[6:7], v18 offset1:16
	ds_read2_b32 v[8:9], v18 offset0:32 offset1:48
	s_waitcnt lgkmcnt(0)
	v_add_f32_e32 v7, v7, v8
	v_add_f32_e32 v7, v7, v9
	;; [unrolled: 1-line block ×3, first 2 shown]
	ds_write_b32 v18, v6
.LBB68_19:                              ;   in Loop: Header=BB68_9 Depth=1
	s_or_b64 exec, exec, s[42:43]
	s_waitcnt lgkmcnt(0)
	s_barrier
	s_and_saveexec_b64 s[42:43], s[8:9]
	s_cbranch_execz .LBB68_21
; %bb.20:                               ;   in Loop: Header=BB68_9 Depth=1
	ds_read2_b32 v[6:7], v18 offset1:4
	ds_read2_b32 v[8:9], v18 offset0:8 offset1:12
	s_waitcnt lgkmcnt(0)
	v_add_f32_e32 v7, v7, v8
	v_add_f32_e32 v7, v7, v9
	;; [unrolled: 1-line block ×3, first 2 shown]
	ds_write_b32 v18, v6
.LBB68_21:                              ;   in Loop: Header=BB68_9 Depth=1
	s_or_b64 exec, exec, s[42:43]
	s_waitcnt lgkmcnt(0)
	s_barrier
	s_and_saveexec_b64 s[42:43], s[10:11]
	s_cbranch_execz .LBB68_23
; %bb.22:                               ;   in Loop: Header=BB68_9 Depth=1
	ds_read2_b32 v[6:7], v1 offset0:1 offset1:2
	ds_read_b32 v8, v1 offset:12
	ds_read_b32 v9, v18
	s_waitcnt lgkmcnt(2)
	v_add_f32_e32 v6, v6, v7
	s_waitcnt lgkmcnt(1)
	v_add_f32_e32 v6, v6, v8
	;; [unrolled: 2-line block ×3, first 2 shown]
	ds_write_b32 v18, v6
.LBB68_23:                              ;   in Loop: Header=BB68_9 Depth=1
	s_or_b64 exec, exec, s[42:43]
	s_waitcnt lgkmcnt(0)
	s_barrier
	s_and_saveexec_b64 s[42:43], s[10:11]
	s_cbranch_execz .LBB68_8
; %bb.24:                               ;   in Loop: Header=BB68_9 Depth=1
	s_mov_b64 s[44:45], exec
	v_mbcnt_lo_u32_b32 v6, s44, 0
	v_mbcnt_hi_u32_b32 v6, s45, v6
	v_cmp_eq_u32_e32 vcc, 0, v6
	s_and_b64 s[46:47], exec, vcc
	s_mov_b64 exec, s[46:47]
	s_cbranch_execz .LBB68_8
; %bb.25:                               ;   in Loop: Header=BB68_9 Depth=1
	ds_read_b32 v6, v1
	s_lshl_b64 s[46:47], s[40:41], 2
	s_add_u32 s46, s24, s46
	s_addc_u32 s47, s25, s47
	s_bcnt1_i32_b64 s29, s[44:45]
	s_waitcnt lgkmcnt(0)
	v_mul_f32_e32 v6, s36, v6
	v_cvt_f32_ubyte0_e32 v7, s29
	v_mul_f32_e32 v6, v6, v7
	global_atomic_add_f32 v1, v6, s[46:47]
	s_branch .LBB68_8
.LBB68_26:
	s_lshl_b64 s[2:3], s[20:21], 3
	s_add_u32 s2, s12, s2
	s_addc_u32 s3, s13, s3
	s_lshl_b64 s[4:5], s[22:23], 3
	s_add_u32 s4, s12, s4
	s_addc_u32 s5, s13, s5
	s_load_dwordx2 s[6:7], s[4:5], 0x0
	s_load_dwordx2 s[8:9], s[2:3], 0x0
	s_waitcnt lgkmcnt(0)
	s_sub_u32 s6, s6, s28
	s_subb_u32 s7, s7, 0
	v_lshl_add_u64 v[2:3], s[8:9], 0, v[2:3]
	v_cmp_gt_i64_e32 vcc, s[6:7], v[2:3]
	s_and_saveexec_b64 s[8:9], vcc
	s_cbranch_execz .LBB68_35
; %bb.27:
	s_add_u32 s10, s22, -1
	s_addc_u32 s11, s23, -1
	s_add_u32 s2, s22, -2
	s_addc_u32 s3, s23, -1
	v_mov_b64_e32 v[4:5], s[10:11]
	s_cmp_lg_u64 s[20:21], s[2:3]
	v_cmp_lt_i64_e32 vcc, s[20:21], v[4:5]
	s_cselect_b64 s[2:3], -1, 0
	s_and_b64 s[2:3], vcc, s[2:3]
	v_cndmask_b32_e64 v1, 0, 1, s[2:3]
	s_mov_b64 s[30:31], 0
	v_cmp_ne_u32_e64 s[2:3], 1, v1
	v_mov_b32_e32 v5, 0
	s_mov_b64 s[34:35], 0x100
	s_branch .LBB68_29
.LBB68_28:                              ;   in Loop: Header=BB68_29 Depth=1
	s_or_b64 exec, exec, s[4:5]
	v_lshl_add_u64 v[2:3], v[2:3], 0, s[34:35]
	v_cmp_le_i64_e32 vcc, s[6:7], v[2:3]
	s_or_b64 s[30:31], vcc, s[30:31]
	s_andn2_b64 exec, exec, s[30:31]
	s_cbranch_execz .LBB68_35
.LBB68_29:                              ; =>This Loop Header: Depth=1
                                        ;     Child Loop BB68_31 Depth 2
	s_and_b64 vcc, exec, s[2:3]
	v_mov_b64_e32 v[6:7], s[20:21]
	v_mov_b64_e32 v[8:9], s[10:11]
	s_cbranch_vccnz .LBB68_33
; %bb.30:                               ;   in Loop: Header=BB68_29 Depth=1
	s_mov_b64 s[38:39], 0
	v_mov_b64_e32 v[6:7], s[20:21]
	v_mov_b64_e32 v[8:9], s[10:11]
.LBB68_31:                              ;   Parent Loop BB68_29 Depth=1
                                        ; =>  This Inner Loop Header: Depth=2
	v_lshl_add_u64 v[10:11], v[8:9], 0, v[6:7]
	v_lshrrev_b32_e32 v4, 31, v11
	v_lshl_add_u64 v[10:11], v[10:11], 0, v[4:5]
	v_ashrrev_i64 v[10:11], 1, v[10:11]
	v_lshl_add_u64 v[12:13], v[10:11], 3, s[12:13]
	global_load_dwordx2 v[12:13], v[12:13], off
	s_waitcnt vmcnt(0)
	v_subrev_co_u32_e32 v12, vcc, s28, v12
	s_nop 1
	v_subbrev_co_u32_e32 v13, vcc, 0, v13, vcc
	v_cmp_lt_i64_e32 vcc, v[2:3], v[12:13]
	s_nop 1
	v_cndmask_b32_e32 v9, v9, v11, vcc
	v_cndmask_b32_e32 v8, v8, v10, vcc
	;; [unrolled: 1-line block ×4, first 2 shown]
	v_lshl_add_u64 v[10:11], v[8:9], 0, -1
	v_cmp_ge_i64_e32 vcc, v[6:7], v[8:9]
	v_cmp_eq_u64_e64 s[4:5], v[6:7], v[10:11]
	s_or_b64 s[4:5], vcc, s[4:5]
	s_and_b64 s[4:5], exec, s[4:5]
	s_or_b64 s[38:39], s[4:5], s[38:39]
	s_andn2_b64 exec, exec, s[38:39]
	s_cbranch_execnz .LBB68_31
; %bb.32:                               ;   in Loop: Header=BB68_29 Depth=1
	s_or_b64 exec, exec, s[38:39]
.LBB68_33:                              ;   in Loop: Header=BB68_29 Depth=1
	v_lshl_add_u64 v[10:11], v[8:9], 3, s[12:13]
	global_load_dwordx2 v[10:11], v[10:11], off
	v_lshl_add_u64 v[12:13], v[2:3], 2, s[14:15]
	global_load_dword v1, v[12:13], off
	s_waitcnt vmcnt(1)
	v_subrev_co_u32_e32 v12, vcc, s28, v10
	s_nop 1
	v_subbrev_co_u32_e32 v13, vcc, 0, v11, vcc
	s_waitcnt vmcnt(0)
	v_subrev_u32_e32 v10, s28, v1
	v_cmp_lt_i64_e32 vcc, v[2:3], v[12:13]
	v_ashrrev_i32_e32 v11, 31, v10
	s_nop 0
	v_cndmask_b32_e32 v7, v9, v7, vcc
	v_cndmask_b32_e32 v6, v8, v6, vcc
	v_cmp_ne_u64_e32 vcc, v[6:7], v[10:11]
	s_and_saveexec_b64 s[4:5], vcc
	s_cbranch_execz .LBB68_28
; %bb.34:                               ;   in Loop: Header=BB68_29 Depth=1
	v_lshl_add_u64 v[8:9], v[2:3], 1, s[16:17]
	global_load_ushort v1, v[8:9], off
	v_lshl_add_u64 v[6:7], v[6:7], 1, s[18:19]
	global_load_ushort v4, v[6:7], off
	v_lshl_add_u64 v[6:7], v[10:11], 2, s[24:25]
	s_waitcnt vmcnt(1)
	v_cvt_f32_f16_e32 v1, v1
	s_waitcnt vmcnt(0)
	v_cvt_f32_f16_e32 v4, v4
	v_mul_f32_e32 v1, s36, v1
	v_mul_f32_e32 v1, v1, v4
	global_atomic_add_f32 v[6:7], v1, off
	s_branch .LBB68_28
.LBB68_35:
	s_or_b64 exec, exec, s[8:9]
	s_mov_b64 s[2:3], 0
.LBB68_36:
	s_and_b64 vcc, exec, s[2:3]
	s_cbranch_vccz .LBB68_149
; %bb.37:
	s_load_dword s2, s[0:1], 0x6c
	s_mov_b32 s31, 0
	v_mov_b64_e32 v[2:3], s[26:27]
	s_mov_b64 s[34:35], 0
	s_waitcnt lgkmcnt(0)
	s_and_b32 s30, s2, 0xffff
	v_cmp_lt_u64_e32 vcc, s[30:31], v[2:3]
	s_cbranch_vccnz .LBB68_39
; %bb.38:
	v_cvt_f32_u32_e32 v1, s26
	s_sub_i32 s2, 0, s26
	v_rcp_iflag_f32_e32 v1, v1
	s_nop 0
	v_mul_f32_e32 v1, 0x4f7ffffe, v1
	v_cvt_u32_f32_e32 v1, v1
	s_nop 0
	v_readfirstlane_b32 s3, v1
	s_mul_i32 s2, s2, s3
	s_mul_hi_u32 s2, s3, s2
	s_add_i32 s3, s3, s2
	s_mul_hi_u32 s2, s30, s3
	s_mul_i32 s4, s2, s26
	s_sub_i32 s4, s30, s4
	s_add_i32 s3, s2, 1
	s_sub_i32 s5, s4, s26
	s_cmp_ge_u32 s4, s26
	s_cselect_b32 s2, s3, s2
	s_cselect_b32 s4, s5, s4
	s_add_i32 s3, s2, 1
	s_cmp_ge_u32 s4, s26
	s_cselect_b32 s34, s3, s2
.LBB68_39:
	s_load_dwordx4 s[4:7], s[0:1], 0x8
	s_lshl_b64 s[0:1], s[20:21], 3
	s_add_u32 s10, s12, s0
	s_addc_u32 s11, s13, s1
	s_load_dwordx2 s[8:9], s[10:11], 0x0
	v_subrev_co_u32_e32 v2, vcc, s28, v0
	v_mov_b32_e32 v1, 0
	s_nop 0
	v_subb_co_u32_e64 v3, s[0:1], 0, 0, vcc
	s_waitcnt lgkmcnt(0)
	v_lshl_add_u64 v[10:11], s[8:9], 0, v[2:3]
	s_mov_b64 s[0:1], 0x300
	v_lshl_add_u64 v[8:9], v[10:11], 0, s[0:1]
	v_cmp_le_i64_e32 vcc, s[4:5], v[8:9]
	s_and_saveexec_b64 s[0:1], vcc
	s_xor_b64 s[2:3], exec, s[0:1]
	s_cbranch_execnz .LBB68_42
; %bb.40:
	s_andn2_saveexec_b64 s[0:1], s[2:3]
	s_cbranch_execnz .LBB68_53
.LBB68_41:
	s_or_b64 exec, exec, s[0:1]
	v_cmp_gt_i64_e64 s[0:1], s[6:7], v[0:1]
	s_and_saveexec_b64 s[2:3], s[0:1]
	s_cbranch_execnz .LBB68_54
	s_branch .LBB68_61
.LBB68_42:
	s_lshl_b64 s[0:1], s[22:23], 3
	s_add_u32 s0, s12, s0
	s_addc_u32 s1, s13, s1
	s_load_dwordx2 s[40:41], s[0:1], 0x0
	s_waitcnt lgkmcnt(0)
	s_sub_u32 s4, s40, s8
	s_subb_u32 s5, s41, s9
	v_cmp_gt_i64_e64 s[0:1], s[4:5], v[0:1]
	s_and_saveexec_b64 s[38:39], s[0:1]
	s_cbranch_execz .LBB68_52
; %bb.43:
	s_not_b64 s[0:1], s[8:9]
	s_add_u32 s0, s40, s0
	s_addc_u32 s1, s41, s1
	v_mov_b32_e32 v2, s1
	v_sub_co_u32_e64 v4, s[0:1], s0, v0
	s_mov_b64 s[42:43], 0
	s_nop 0
	v_subbrev_co_u32_e64 v5, s[0:1], 0, v2, s[0:1]
	s_mov_b64 s[0:1], 0xff
	s_nop 0
	v_cmp_lt_u64_e64 s[0:1], s[0:1], v[4:5]
	v_lshlrev_b64 v[2:3], 1, v[10:11]
                                        ; implicit-def: $vgpr12_vgpr13
	s_and_saveexec_b64 s[40:41], s[0:1]
	s_xor_b64 s[40:41], exec, s[40:41]
	s_cbranch_execnz .LBB68_46
; %bb.44:
	s_andn2_saveexec_b64 s[0:1], s[40:41]
	s_cbranch_execnz .LBB68_49
.LBB68_45:
	s_or_b64 exec, exec, s[0:1]
	s_and_b64 exec, exec, s[42:43]
	s_cbranch_execnz .LBB68_50
	s_branch .LBB68_52
.LBB68_46:
	v_lshrrev_b64 v[2:3], 8, v[4:5]
	v_lshl_add_u64 v[4:5], v[2:3], 0, 1
	v_lshlrev_b64 v[2:3], 1, v[10:11]
	v_and_b32_e32 v6, -2, v4
	v_mov_b32_e32 v7, v5
	v_lshl_add_u64 v[12:13], s[16:17], 0, v[2:3]
	s_mov_b64 s[0:1], 0x200
	s_mov_b32 s37, s36
	v_lshl_add_u64 v[12:13], v[12:13], 0, s[0:1]
	s_mov_b64 s[44:45], 0x100
	s_mov_b64 s[46:47], 0x400
	v_mov_b64_e32 v[14:15], v[6:7]
	s_mov_b64 s[48:49], 0
.LBB68_47:                              ; =>This Inner Loop Header: Depth=1
	global_load_ushort v16, v[12:13], off
	global_load_ushort v19, v[12:13], off offset:-512
	v_lshl_add_u32 v20, s48, 2, v18
	s_add_u32 s48, s48, 0x200
	s_addc_u32 s49, s49, 0
	v_lshl_add_u32 v21, s44, 2, v18
	v_lshl_add_u64 v[14:15], v[14:15], 0, -2
	s_add_u32 s44, s44, 0x200
	v_cmp_eq_u64_e64 s[0:1], 0, v[14:15]
	s_addc_u32 s45, s45, 0
	v_lshl_add_u64 v[12:13], v[12:13], 0, s[46:47]
	s_or_b64 s[42:43], s[0:1], s[42:43]
	s_waitcnt vmcnt(1)
	v_cvt_f32_f16_e32 v17, v16
	s_waitcnt vmcnt(0)
	v_cvt_f32_f16_e32 v16, v19
	v_pk_mul_f32 v[16:17], s[36:37], v[16:17]
	ds_write_b32 v20, v16
	ds_write_b32 v21, v17
	s_andn2_b64 exec, exec, s[42:43]
	s_cbranch_execnz .LBB68_47
; %bb.48:
	s_or_b64 exec, exec, s[42:43]
	v_cmp_ne_u64_e64 s[0:1], v[4:5], v[6:7]
	v_lshlrev_b64 v[12:13], 8, v[6:7]
	s_and_b64 s[42:43], s[0:1], exec
	s_andn2_saveexec_b64 s[0:1], s[40:41]
	s_cbranch_execz .LBB68_45
.LBB68_49:
	v_mov_b64_e32 v[12:13], 0
	s_or_b64 s[42:43], s[42:43], exec
	s_or_b64 exec, exec, s[0:1]
	s_and_b64 exec, exec, s[42:43]
	s_cbranch_execz .LBB68_52
.LBB68_50:
	v_lshl_add_u64 v[2:3], v[12:13], 1, v[2:3]
	v_lshlrev_b32_e32 v6, 2, v12
	v_lshl_add_u64 v[2:3], s[16:17], 0, v[2:3]
	v_lshl_add_u64 v[4:5], v[12:13], 0, v[0:1]
	v_lshl_add_u32 v6, v0, 2, v6
	s_mov_b64 s[40:41], 0
	s_mov_b64 s[42:43], 0x200
	;; [unrolled: 1-line block ×3, first 2 shown]
.LBB68_51:                              ; =>This Inner Loop Header: Depth=1
	global_load_ushort v7, v[2:3], off
	v_lshl_add_u64 v[4:5], v[4:5], 0, s[44:45]
	v_cmp_le_i64_e64 s[0:1], s[4:5], v[4:5]
	v_lshl_add_u64 v[2:3], v[2:3], 0, s[42:43]
	s_or_b64 s[40:41], s[0:1], s[40:41]
	s_waitcnt vmcnt(0)
	v_cvt_f32_f16_e32 v7, v7
	v_mul_f32_e32 v7, s36, v7
	ds_write_b32 v6, v7
	v_add_u32_e32 v6, 0x400, v6
	s_andn2_b64 exec, exec, s[40:41]
	s_cbranch_execnz .LBB68_51
.LBB68_52:
	s_or_b64 exec, exec, s[38:39]
	s_andn2_saveexec_b64 s[0:1], s[2:3]
	s_cbranch_execz .LBB68_41
.LBB68_53:
	v_lshl_add_u64 v[2:3], v[10:11], 1, s[16:17]
	global_load_ushort v4, v[2:3], off
	global_load_ushort v5, v[2:3], off offset:512
	global_load_ushort v6, v[2:3], off offset:1024
	;; [unrolled: 1-line block ×3, first 2 shown]
	s_waitcnt vmcnt(3)
	v_cvt_f32_f16_e32 v2, v4
	s_waitcnt vmcnt(2)
	v_cvt_f32_f16_e32 v3, v5
	;; [unrolled: 2-line block ×4, first 2 shown]
	v_mul_f32_e32 v2, s36, v2
	v_mul_f32_e32 v3, s36, v3
	;; [unrolled: 1-line block ×4, first 2 shown]
	ds_write2st64_b32 v18, v2, v3 offset1:4
	ds_write2st64_b32 v18, v4, v5 offset0:8 offset1:12
	s_or_b64 exec, exec, s[0:1]
	v_cmp_gt_i64_e64 s[0:1], s[6:7], v[0:1]
	s_and_saveexec_b64 s[2:3], s[0:1]
	s_cbranch_execz .LBB68_61
.LBB68_54:
	v_mov_b32_e32 v3, -1
	v_not_b32_e32 v2, v0
	v_lshl_add_u64 v[4:5], s[6:7], 0, v[2:3]
	s_mov_b64 s[0:1], 0xff
	v_cmp_lt_u64_e64 s[0:1], s[0:1], v[4:5]
	s_mov_b64 s[16:17], -1
	v_mov_b64_e32 v[2:3], v[0:1]
	s_and_saveexec_b64 s[4:5], s[0:1]
	s_cbranch_execz .LBB68_58
; %bb.55:
	v_lshrrev_b64 v[2:3], 8, v[4:5]
	v_lshl_add_u64 v[12:13], v[2:3], 0, 1
	v_mov_b32_e32 v3, 0
	v_or_b32_e32 v4, 0x100, v0
	v_mov_b32_e32 v5, v3
	v_and_b32_e32 v14, -2, v12
	v_mov_b32_e32 v15, v13
	v_mov_b32_e32 v2, v0
	v_mov_b64_e32 v[6:7], v[4:5]
	s_mov_b64 s[16:17], 0
	v_mov_b32_e32 v19, 0x1000
	s_mov_b64 s[36:37], 0x200
	v_mov_b64_e32 v[16:17], v[14:15]
	v_mov_b64_e32 v[4:5], v[2:3]
.LBB68_56:                              ; =>This Inner Loop Header: Depth=1
	v_lshl_add_u64 v[16:17], v[16:17], 0, -2
	v_cmp_eq_u64_e64 s[0:1], 0, v[16:17]
	v_lshl_add_u32 v2, v4, 2, v19
	v_lshl_add_u32 v20, v6, 2, v19
	v_lshl_add_u64 v[6:7], v[6:7], 0, s[36:37]
	v_lshl_add_u64 v[4:5], v[4:5], 0, s[36:37]
	s_or_b64 s[16:17], s[0:1], s[16:17]
	ds_write_b32 v2, v3
	ds_write_b32 v20, v3
	s_andn2_b64 exec, exec, s[16:17]
	s_cbranch_execnz .LBB68_56
; %bb.57:
	s_or_b64 exec, exec, s[16:17]
	v_lshlrev_b64 v[2:3], 8, v[14:15]
	v_cmp_ne_u64_e64 s[0:1], v[12:13], v[14:15]
	v_or_b32_e32 v2, v2, v0
	s_orn2_b64 s[16:17], s[0:1], exec
.LBB68_58:
	s_or_b64 exec, exec, s[4:5]
	s_and_b64 exec, exec, s[16:17]
	s_cbranch_execz .LBB68_61
; %bb.59:
	v_mov_b32_e32 v4, 0x1000
	v_lshl_add_u32 v4, v2, 2, v4
	s_mov_b64 s[4:5], 0
	v_mov_b32_e32 v5, 0
	s_mov_b64 s[16:17], 0x100
.LBB68_60:                              ; =>This Inner Loop Header: Depth=1
	v_lshl_add_u64 v[2:3], v[2:3], 0, s[16:17]
	v_cmp_le_i64_e64 s[0:1], s[6:7], v[2:3]
	ds_write_b32 v4, v5
	s_or_b64 s[4:5], s[0:1], s[4:5]
	v_add_u32_e32 v4, 0x400, v4
	s_andn2_b64 exec, exec, s[4:5]
	s_cbranch_execnz .LBB68_60
.LBB68_61:
	s_or_b64 exec, exec, s[2:3]
	s_sub_u32 s2, s22, s6
	v_mov_b64_e32 v[2:3], s[6:7]
	s_subb_u32 s3, s23, s7
	v_cmp_ge_i64_e64 s[0:1], s[22:23], v[2:3]
	s_and_b64 s[0:1], s[0:1], exec
	s_cselect_b32 s5, s3, 0
	s_cselect_b32 s4, s2, 0
	s_waitcnt lgkmcnt(0)
	s_barrier
	s_and_saveexec_b64 s[0:1], vcc
	s_xor_b64 s[16:17], exec, s[0:1]
	s_cbranch_execz .LBB68_78
; %bb.62:
	s_lshl_b64 s[0:1], s[22:23], 3
	s_add_u32 s0, s12, s0
	s_addc_u32 s1, s13, s1
	s_load_dwordx2 s[0:1], s[0:1], 0x0
	s_waitcnt lgkmcnt(0)
	s_sub_u32 s36, s0, s8
	s_subb_u32 s37, s1, s9
	v_cmp_gt_i64_e32 vcc, s[36:37], v[0:1]
	s_and_saveexec_b64 s[38:39], vcc
	s_cbranch_execz .LBB68_77
; %bb.63:
	s_add_u32 s40, s22, -1
	s_addc_u32 s41, s23, -1
	s_add_u32 s2, s22, -2
	s_addc_u32 s3, s23, -1
	s_cmp_lg_u64 s[20:21], s[2:3]
	s_cselect_b64 s[2:3], -1, 0
	s_sub_u32 s42, s0, s28
	v_cndmask_b32_e64 v2, 0, 1, s[2:3]
	s_subb_u32 s43, s1, 0
	s_mov_b64 s[44:45], 0
	v_cmp_ne_u32_e64 s[0:1], 1, v2
	v_mov_b32_e32 v3, 0
	v_mov_b32_e32 v16, 0x1000
	s_mov_b64 s[46:47], 0
	s_branch .LBB68_66
.LBB68_64:                              ;   in Loop: Header=BB68_66 Depth=1
	s_or_b64 exec, exec, s[2:3]
.LBB68_65:                              ;   in Loop: Header=BB68_66 Depth=1
	s_or_b64 exec, exec, s[48:49]
	v_lshl_add_u64 v[6:7], v[6:7], 1, s[18:19]
	global_load_ushort v5, v[6:7], off
	s_add_u32 s46, s46, 0x100
	s_addc_u32 s47, s47, 0
	v_lshlrev_b32_e32 v6, 2, v4
	s_waitcnt vmcnt(0)
	v_cvt_f32_f16_e32 v7, v5
	v_lshl_add_u64 v[4:5], s[46:47], 0, v[0:1]
	v_cmp_le_i64_e32 vcc, s[36:37], v[4:5]
	s_or_b64 s[44:45], vcc, s[44:45]
	s_waitcnt lgkmcnt(0)
	v_mul_f32_e32 v2, v2, v7
	ds_write_b32 v6, v2
	s_andn2_b64 exec, exec, s[44:45]
	s_cbranch_execz .LBB68_77
.LBB68_66:                              ; =>This Loop Header: Depth=1
                                        ;     Child Loop BB68_68 Depth 2
	v_lshl_add_u64 v[8:9], s[46:47], 0, v[10:11]
	s_and_b64 vcc, exec, s[0:1]
	v_mov_b64_e32 v[12:13], s[20:21]
	v_mov_b64_e32 v[14:15], s[40:41]
	s_cbranch_vccnz .LBB68_70
; %bb.67:                               ;   in Loop: Header=BB68_66 Depth=1
	s_mov_b64 s[48:49], 0
	v_mov_b64_e32 v[12:13], s[20:21]
	v_mov_b64_e32 v[14:15], s[40:41]
.LBB68_68:                              ;   Parent Loop BB68_66 Depth=1
                                        ; =>  This Inner Loop Header: Depth=2
	v_lshl_add_u64 v[4:5], v[14:15], 0, v[12:13]
	v_lshrrev_b32_e32 v2, 31, v5
	v_lshl_add_u64 v[4:5], v[4:5], 0, v[2:3]
	v_ashrrev_i64 v[4:5], 1, v[4:5]
	v_lshl_add_u64 v[6:7], v[4:5], 3, s[12:13]
	global_load_dwordx2 v[6:7], v[6:7], off
	s_waitcnt vmcnt(0)
	v_subrev_co_u32_e32 v6, vcc, s28, v6
	s_nop 1
	v_subbrev_co_u32_e32 v7, vcc, 0, v7, vcc
	v_cmp_lt_i64_e32 vcc, v[8:9], v[6:7]
	s_nop 1
	v_cndmask_b32_e32 v15, v15, v5, vcc
	v_cndmask_b32_e32 v14, v14, v4, vcc
	;; [unrolled: 1-line block ×4, first 2 shown]
	v_lshl_add_u64 v[4:5], v[14:15], 0, -1
	v_cmp_ge_i64_e32 vcc, v[12:13], v[14:15]
	v_cmp_eq_u64_e64 s[2:3], v[12:13], v[4:5]
	s_or_b64 s[2:3], vcc, s[2:3]
	s_and_b64 s[2:3], exec, s[2:3]
	s_or_b64 s[48:49], s[2:3], s[48:49]
	s_andn2_b64 exec, exec, s[48:49]
	s_cbranch_execnz .LBB68_68
; %bb.69:                               ;   in Loop: Header=BB68_66 Depth=1
	s_or_b64 exec, exec, s[48:49]
.LBB68_70:                              ;   in Loop: Header=BB68_66 Depth=1
	v_lshl_add_u64 v[4:5], v[14:15], 3, s[12:13]
	global_load_dwordx2 v[6:7], v[4:5], off
	v_lshl_add_u64 v[4:5], v[8:9], 2, s[14:15]
	global_load_dword v2, v[4:5], off
	v_cmp_le_i64_e32 vcc, s[42:43], v[8:9]
	v_lshl_add_u64 v[4:5], s[46:47], 0, v[0:1]
	v_lshlrev_b32_e32 v5, 2, v4
	s_waitcnt vmcnt(1)
	v_subrev_co_u32_e64 v20, s[2:3], s28, v6
	s_nop 1
	v_subbrev_co_u32_e64 v21, s[2:3], 0, v7, s[2:3]
	s_waitcnt vmcnt(0)
	v_subrev_u32_e32 v6, s28, v2
	v_cmp_lt_i64_e64 s[2:3], v[8:9], v[20:21]
	v_ashrrev_i32_e32 v7, 31, v6
                                        ; implicit-def: $vgpr2
	s_nop 0
	v_cndmask_b32_e64 v9, v15, v13, s[2:3]
	v_cndmask_b32_e64 v8, v14, v12, s[2:3]
	v_cmp_eq_u64_e64 s[2:3], v[8:9], v[6:7]
	s_or_b64 s[2:3], s[2:3], vcc
	s_and_saveexec_b64 s[48:49], s[2:3]
	s_xor_b64 s[2:3], exec, s[48:49]
; %bb.71:                               ;   in Loop: Header=BB68_66 Depth=1
	ds_read_b32 v2, v5
                                        ; implicit-def: $vgpr5
                                        ; implicit-def: $vgpr8_vgpr9
; %bb.72:                               ;   in Loop: Header=BB68_66 Depth=1
	s_andn2_saveexec_b64 s[48:49], s[2:3]
	s_cbranch_execz .LBB68_65
; %bb.73:                               ;   in Loop: Header=BB68_66 Depth=1
	v_cmp_gt_i64_e32 vcc, s[4:5], v[6:7]
	v_cmp_le_i64_e64 s[2:3], s[22:23], v[6:7]
	s_or_b64 s[2:3], vcc, s[2:3]
	v_lshl_add_u64 v[8:9], v[8:9], 1, s[18:19]
                                        ; implicit-def: $vgpr2
	s_and_saveexec_b64 s[50:51], s[2:3]
	s_xor_b64 s[2:3], exec, s[50:51]
	s_cbranch_execz .LBB68_75
; %bb.74:                               ;   in Loop: Header=BB68_66 Depth=1
	global_load_ushort v8, v[8:9], off
	s_waitcnt lgkmcnt(0)
	ds_read_b32 v2, v5
	s_waitcnt vmcnt(0)
	v_cvt_f32_f16_e32 v5, v8
	v_lshl_add_u64 v[8:9], v[6:7], 2, s[24:25]
	s_waitcnt lgkmcnt(0)
	v_mul_f32_e32 v5, v2, v5
	global_atomic_add_f32 v[8:9], v5, off
                                        ; implicit-def: $vgpr5
                                        ; implicit-def: $vgpr8_vgpr9
.LBB68_75:                              ;   in Loop: Header=BB68_66 Depth=1
	s_andn2_saveexec_b64 s[2:3], s[2:3]
	s_cbranch_execz .LBB68_64
; %bb.76:                               ;   in Loop: Header=BB68_66 Depth=1
	global_load_ushort v8, v[8:9], off
	s_waitcnt lgkmcnt(0)
	ds_read_b32 v2, v5
	s_waitcnt vmcnt(0)
	v_cvt_f32_f16_e32 v5, v8
	v_subrev_u32_e32 v8, s4, v6
	v_lshl_add_u32 v8, v8, 2, v16
	s_waitcnt lgkmcnt(0)
	v_mul_f32_e32 v5, v2, v5
	ds_add_f32 v8, v5
	s_branch .LBB68_64
.LBB68_77:
	s_or_b64 exec, exec, s[38:39]
                                        ; implicit-def: $vgpr8_vgpr9
                                        ; implicit-def: $vgpr10_vgpr11
.LBB68_78:
	s_andn2_saveexec_b64 s[16:17], s[16:17]
	s_cbranch_execz .LBB68_120
; %bb.79:
	s_add_u32 s36, s22, -1
	s_addc_u32 s37, s23, -1
	s_add_u32 s0, s22, -2
	s_addc_u32 s1, s23, -1
	s_cmp_lg_u64 s[20:21], s[0:1]
	s_cselect_b64 s[2:3], -1, 0
	s_cmp_eq_u64 s[20:21], s[0:1]
	v_mov_b64_e32 v[4:5], s[20:21]
	v_mov_b64_e32 v[6:7], s[36:37]
	s_cbranch_scc1 .LBB68_83
; %bb.80:
	s_mov_b64 s[38:39], 0
	v_mov_b64_e32 v[4:5], s[20:21]
	v_mov_b64_e32 v[6:7], s[36:37]
	v_mov_b32_e32 v3, 0
.LBB68_81:                              ; =>This Inner Loop Header: Depth=1
	v_lshl_add_u64 v[12:13], v[6:7], 0, v[4:5]
	v_lshrrev_b32_e32 v2, 31, v13
	v_lshl_add_u64 v[12:13], v[12:13], 0, v[2:3]
	v_ashrrev_i64 v[12:13], 1, v[12:13]
	v_lshl_add_u64 v[14:15], v[12:13], 3, s[12:13]
	global_load_dwordx2 v[14:15], v[14:15], off
	s_waitcnt vmcnt(0)
	v_subrev_co_u32_e32 v14, vcc, s28, v14
	s_nop 1
	v_subbrev_co_u32_e32 v15, vcc, 0, v15, vcc
	v_cmp_lt_i64_e32 vcc, v[10:11], v[14:15]
	s_nop 1
	v_cndmask_b32_e32 v7, v7, v13, vcc
	v_cndmask_b32_e32 v6, v6, v12, vcc
	;; [unrolled: 1-line block ×4, first 2 shown]
	v_lshl_add_u64 v[12:13], v[6:7], 0, -1
	v_cmp_ge_i64_e32 vcc, v[4:5], v[6:7]
	v_cmp_eq_u64_e64 s[0:1], v[4:5], v[12:13]
	s_or_b64 s[0:1], vcc, s[0:1]
	s_and_b64 s[0:1], exec, s[0:1]
	s_or_b64 s[38:39], s[0:1], s[38:39]
	s_andn2_b64 exec, exec, s[38:39]
	s_cbranch_execnz .LBB68_81
; %bb.82:
	s_or_b64 exec, exec, s[38:39]
.LBB68_83:
	v_lshl_add_u64 v[2:3], v[6:7], 3, s[12:13]
	global_load_dwordx2 v[12:13], v[2:3], off
	v_lshl_add_u64 v[2:3], v[10:11], 2, s[14:15]
	global_load_dword v16, v[2:3], off
	s_lshl_b64 s[0:1], s[22:23], 3
	s_add_u32 s14, s12, s0
	s_addc_u32 s15, s13, s1
	s_waitcnt vmcnt(1)
	v_subrev_co_u32_e32 v14, vcc, s28, v12
	s_nop 1
	v_subbrev_co_u32_e32 v15, vcc, 0, v13, vcc
	s_waitcnt vmcnt(0)
	v_subrev_u32_e32 v12, s28, v16
	v_cmp_lt_i64_e32 vcc, v[10:11], v[14:15]
	v_ashrrev_i32_e32 v13, 31, v12
	s_nop 0
	v_cndmask_b32_e32 v5, v7, v5, vcc
	v_cndmask_b32_e32 v4, v6, v4, vcc
	v_cmp_ne_u64_e32 vcc, v[4:5], v[12:13]
	s_and_saveexec_b64 s[38:39], vcc
	s_cbranch_execz .LBB68_89
; %bb.84:
	s_load_dwordx2 s[0:1], s[14:15], 0x0
	s_waitcnt lgkmcnt(0)
	s_sub_u32 s0, s0, s28
	s_subb_u32 s1, s1, 0
	v_cmp_gt_i64_e32 vcc, s[0:1], v[10:11]
	s_and_b64 exec, exec, vcc
	s_cbranch_execz .LBB68_89
; %bb.85:
	v_cmp_gt_i64_e32 vcc, s[4:5], v[12:13]
	v_cmp_le_i64_e64 s[0:1], s[22:23], v[12:13]
	s_or_b64 s[0:1], vcc, s[0:1]
	v_lshl_add_u64 v[4:5], v[4:5], 1, s[18:19]
	s_and_saveexec_b64 s[40:41], s[0:1]
	s_xor_b64 s[0:1], exec, s[40:41]
	s_cbranch_execz .LBB68_87
; %bb.86:
	global_load_ushort v4, v[4:5], off
	ds_read_b32 v6, v18
	s_waitcnt vmcnt(0)
	v_cvt_f32_f16_e32 v7, v4
	v_lshl_add_u64 v[4:5], v[12:13], 2, s[24:25]
	s_waitcnt lgkmcnt(0)
	v_mul_f32_e32 v6, v6, v7
	global_atomic_add_f32 v[4:5], v6, off
                                        ; implicit-def: $vgpr4_vgpr5
.LBB68_87:
	s_andn2_saveexec_b64 s[0:1], s[0:1]
	s_cbranch_execz .LBB68_89
; %bb.88:
	global_load_ushort v4, v[4:5], off
	ds_read_b32 v5, v18
	v_subrev_u32_e32 v6, s4, v12
	v_mov_b32_e32 v7, 0x1000
	v_lshl_add_u32 v6, v6, 2, v7
	s_waitcnt vmcnt(0)
	v_cvt_f32_f16_e32 v4, v4
	s_waitcnt lgkmcnt(0)
	v_mul_f32_e32 v4, v5, v4
	ds_add_f32 v6, v4
.LBB68_89:
	s_or_b64 exec, exec, s[38:39]
	v_lshl_add_u64 v[4:5], v[12:13], 1, s[18:19]
	global_load_ushort v4, v[4:5], off
	ds_read_b32 v12, v18
	s_mov_b64 s[0:1], 0x100
	v_cndmask_b32_e64 v13, 0, 1, s[2:3]
	v_mov_b64_e32 v[6:7], s[20:21]
	s_andn2_b64 vcc, exec, s[2:3]
	s_waitcnt vmcnt(0)
	v_cvt_f32_f16_e32 v14, v4
	v_lshl_add_u64 v[4:5], v[10:11], 0, s[0:1]
	v_cmp_ne_u32_e64 s[0:1], 1, v13
	s_waitcnt lgkmcnt(0)
	v_mul_f32_e32 v12, v12, v14
	ds_write_b32 v18, v12
	v_mov_b64_e32 v[12:13], s[36:37]
	s_cbranch_vccnz .LBB68_93
; %bb.90:
	s_mov_b64 s[38:39], 0
	v_mov_b64_e32 v[6:7], s[20:21]
	v_mov_b64_e32 v[12:13], s[36:37]
	v_mov_b32_e32 v15, 0
.LBB68_91:                              ; =>This Inner Loop Header: Depth=1
	v_lshl_add_u64 v[16:17], v[12:13], 0, v[6:7]
	v_lshrrev_b32_e32 v14, 31, v17
	v_lshl_add_u64 v[16:17], v[16:17], 0, v[14:15]
	v_ashrrev_i64 v[16:17], 1, v[16:17]
	v_lshl_add_u64 v[20:21], v[16:17], 3, s[12:13]
	global_load_dwordx2 v[20:21], v[20:21], off
	s_waitcnt vmcnt(0)
	v_subrev_co_u32_e32 v20, vcc, s28, v20
	s_nop 1
	v_subbrev_co_u32_e32 v21, vcc, 0, v21, vcc
	v_cmp_lt_i64_e32 vcc, v[4:5], v[20:21]
	s_nop 1
	v_cndmask_b32_e32 v13, v13, v17, vcc
	v_cndmask_b32_e32 v12, v12, v16, vcc
	;; [unrolled: 1-line block ×4, first 2 shown]
	v_lshl_add_u64 v[16:17], v[12:13], 0, -1
	v_cmp_ge_i64_e32 vcc, v[6:7], v[12:13]
	v_cmp_eq_u64_e64 s[2:3], v[6:7], v[16:17]
	s_or_b64 s[2:3], vcc, s[2:3]
	s_and_b64 s[2:3], exec, s[2:3]
	s_or_b64 s[38:39], s[2:3], s[38:39]
	s_andn2_b64 exec, exec, s[38:39]
	s_cbranch_execnz .LBB68_91
; %bb.92:
	s_or_b64 exec, exec, s[38:39]
.LBB68_93:
	v_lshl_add_u64 v[14:15], v[12:13], 3, s[12:13]
	global_load_dwordx2 v[16:17], v[14:15], off
	global_load_dword v19, v[2:3], off offset:1024
	s_waitcnt vmcnt(1)
	v_subrev_co_u32_e32 v16, vcc, s28, v16
	s_nop 1
	v_subbrev_co_u32_e32 v17, vcc, 0, v17, vcc
	s_waitcnt vmcnt(0)
	v_subrev_u32_e32 v14, s28, v19
	v_cmp_lt_i64_e32 vcc, v[4:5], v[16:17]
	v_ashrrev_i32_e32 v15, 31, v14
	s_nop 0
	v_cndmask_b32_e32 v7, v13, v7, vcc
	v_cndmask_b32_e32 v6, v12, v6, vcc
	v_cmp_ne_u64_e32 vcc, v[6:7], v[14:15]
	s_and_saveexec_b64 s[38:39], vcc
	s_cbranch_execz .LBB68_99
; %bb.94:
	s_load_dwordx2 s[2:3], s[14:15], 0x0
	s_waitcnt lgkmcnt(0)
	s_sub_u32 s2, s2, s28
	s_subb_u32 s3, s3, 0
	v_cmp_gt_i64_e32 vcc, s[2:3], v[4:5]
	s_and_b64 exec, exec, vcc
	s_cbranch_execz .LBB68_99
; %bb.95:
	v_cmp_gt_i64_e32 vcc, s[4:5], v[14:15]
	v_cmp_le_i64_e64 s[2:3], s[22:23], v[14:15]
	s_or_b64 s[2:3], vcc, s[2:3]
	v_lshl_add_u64 v[4:5], v[6:7], 1, s[18:19]
	s_and_saveexec_b64 s[40:41], s[2:3]
	s_xor_b64 s[2:3], exec, s[40:41]
	s_cbranch_execz .LBB68_97
; %bb.96:
	global_load_ushort v4, v[4:5], off
	ds_read_b32 v6, v18 offset:1024
	s_waitcnt vmcnt(0)
	v_cvt_f32_f16_e32 v7, v4
	v_lshl_add_u64 v[4:5], v[14:15], 2, s[24:25]
	s_waitcnt lgkmcnt(0)
	v_mul_f32_e32 v6, v6, v7
	global_atomic_add_f32 v[4:5], v6, off
                                        ; implicit-def: $vgpr4_vgpr5
.LBB68_97:
	s_andn2_saveexec_b64 s[2:3], s[2:3]
	s_cbranch_execz .LBB68_99
; %bb.98:
	global_load_ushort v4, v[4:5], off
	ds_read_b32 v5, v18 offset:1024
	v_subrev_u32_e32 v6, s4, v14
	v_mov_b32_e32 v7, 0x1000
	v_lshl_add_u32 v6, v6, 2, v7
	s_waitcnt vmcnt(0)
	v_cvt_f32_f16_e32 v4, v4
	s_waitcnt lgkmcnt(0)
	v_mul_f32_e32 v4, v5, v4
	ds_add_f32 v6, v4
.LBB68_99:
	s_or_b64 exec, exec, s[38:39]
	v_lshl_add_u64 v[4:5], v[14:15], 1, s[18:19]
	global_load_ushort v4, v[4:5], off
	ds_read_b32 v12, v18 offset:1024
	s_mov_b64 s[2:3], 0x200
	s_and_b64 vcc, exec, s[0:1]
	v_mov_b64_e32 v[6:7], s[20:21]
	s_waitcnt vmcnt(0)
	v_cvt_f32_f16_e32 v13, v4
	v_lshl_add_u64 v[4:5], v[10:11], 0, s[2:3]
	s_waitcnt lgkmcnt(0)
	v_mul_f32_e32 v10, v12, v13
	ds_write_b32 v18, v10 offset:1024
	v_mov_b64_e32 v[10:11], s[36:37]
	s_cbranch_vccnz .LBB68_103
; %bb.100:
	s_mov_b64 s[38:39], 0
	v_mov_b64_e32 v[6:7], s[20:21]
	v_mov_b64_e32 v[10:11], s[36:37]
	v_mov_b32_e32 v13, 0
.LBB68_101:                             ; =>This Inner Loop Header: Depth=1
	v_lshl_add_u64 v[14:15], v[10:11], 0, v[6:7]
	v_lshrrev_b32_e32 v12, 31, v15
	v_lshl_add_u64 v[14:15], v[14:15], 0, v[12:13]
	v_ashrrev_i64 v[14:15], 1, v[14:15]
	v_lshl_add_u64 v[16:17], v[14:15], 3, s[12:13]
	global_load_dwordx2 v[16:17], v[16:17], off
	s_waitcnt vmcnt(0)
	v_subrev_co_u32_e32 v16, vcc, s28, v16
	s_nop 1
	v_subbrev_co_u32_e32 v17, vcc, 0, v17, vcc
	v_cmp_lt_i64_e32 vcc, v[4:5], v[16:17]
	s_nop 1
	v_cndmask_b32_e32 v11, v11, v15, vcc
	v_cndmask_b32_e32 v10, v10, v14, vcc
	;; [unrolled: 1-line block ×4, first 2 shown]
	v_lshl_add_u64 v[14:15], v[10:11], 0, -1
	v_cmp_ge_i64_e32 vcc, v[6:7], v[10:11]
	v_cmp_eq_u64_e64 s[2:3], v[6:7], v[14:15]
	s_or_b64 s[2:3], vcc, s[2:3]
	s_and_b64 s[2:3], exec, s[2:3]
	s_or_b64 s[38:39], s[2:3], s[38:39]
	s_andn2_b64 exec, exec, s[38:39]
	s_cbranch_execnz .LBB68_101
; %bb.102:
	s_or_b64 exec, exec, s[38:39]
.LBB68_103:
	v_lshl_add_u64 v[12:13], v[10:11], 3, s[12:13]
	global_load_dwordx2 v[14:15], v[12:13], off
	global_load_dword v16, v[2:3], off offset:2048
	s_waitcnt vmcnt(1)
	v_subrev_co_u32_e32 v14, vcc, s28, v14
	s_nop 1
	v_subbrev_co_u32_e32 v15, vcc, 0, v15, vcc
	s_waitcnt vmcnt(0)
	v_subrev_u32_e32 v12, s28, v16
	v_cmp_lt_i64_e32 vcc, v[4:5], v[14:15]
	v_ashrrev_i32_e32 v13, 31, v12
	s_nop 0
	v_cndmask_b32_e32 v7, v11, v7, vcc
	v_cndmask_b32_e32 v6, v10, v6, vcc
	v_cmp_ne_u64_e32 vcc, v[6:7], v[12:13]
	s_and_saveexec_b64 s[38:39], vcc
	s_cbranch_execz .LBB68_109
; %bb.104:
	s_load_dwordx2 s[2:3], s[14:15], 0x0
	s_waitcnt lgkmcnt(0)
	s_sub_u32 s2, s2, s28
	s_subb_u32 s3, s3, 0
	v_cmp_gt_i64_e32 vcc, s[2:3], v[4:5]
	s_and_b64 exec, exec, vcc
	s_cbranch_execz .LBB68_109
; %bb.105:
	v_cmp_gt_i64_e32 vcc, s[4:5], v[12:13]
	v_cmp_le_i64_e64 s[2:3], s[22:23], v[12:13]
	s_or_b64 s[2:3], vcc, s[2:3]
	v_lshl_add_u64 v[4:5], v[6:7], 1, s[18:19]
	s_and_saveexec_b64 s[40:41], s[2:3]
	s_xor_b64 s[2:3], exec, s[40:41]
	s_cbranch_execz .LBB68_107
; %bb.106:
	global_load_ushort v4, v[4:5], off
	ds_read_b32 v6, v18 offset:2048
	s_waitcnt vmcnt(0)
	v_cvt_f32_f16_e32 v7, v4
	v_lshl_add_u64 v[4:5], v[12:13], 2, s[24:25]
	s_waitcnt lgkmcnt(0)
	v_mul_f32_e32 v6, v6, v7
	global_atomic_add_f32 v[4:5], v6, off
                                        ; implicit-def: $vgpr4_vgpr5
.LBB68_107:
	s_andn2_saveexec_b64 s[2:3], s[2:3]
	s_cbranch_execz .LBB68_109
; %bb.108:
	global_load_ushort v4, v[4:5], off
	ds_read_b32 v5, v18 offset:2048
	v_subrev_u32_e32 v6, s4, v12
	v_mov_b32_e32 v7, 0x1000
	v_lshl_add_u32 v6, v6, 2, v7
	s_waitcnt vmcnt(0)
	v_cvt_f32_f16_e32 v4, v4
	s_waitcnt lgkmcnt(0)
	v_mul_f32_e32 v4, v5, v4
	ds_add_f32 v6, v4
.LBB68_109:
	s_or_b64 exec, exec, s[38:39]
	v_lshl_add_u64 v[4:5], v[12:13], 1, s[18:19]
	global_load_ushort v4, v[4:5], off
	ds_read_b32 v6, v18 offset:2048
	s_and_b64 vcc, exec, s[0:1]
	s_waitcnt vmcnt(0)
	v_cvt_f32_f16_e32 v7, v4
	v_mov_b64_e32 v[4:5], s[20:21]
	s_waitcnt lgkmcnt(0)
	v_mul_f32_e32 v6, v6, v7
	ds_write_b32 v18, v6 offset:2048
	v_mov_b64_e32 v[6:7], s[36:37]
	s_cbranch_vccnz .LBB68_113
; %bb.110:
	s_mov_b64 s[2:3], 0
	v_mov_b64_e32 v[4:5], s[20:21]
	v_mov_b64_e32 v[6:7], s[36:37]
	v_mov_b32_e32 v11, 0
.LBB68_111:                             ; =>This Inner Loop Header: Depth=1
	v_lshl_add_u64 v[12:13], v[6:7], 0, v[4:5]
	v_lshrrev_b32_e32 v10, 31, v13
	v_lshl_add_u64 v[12:13], v[12:13], 0, v[10:11]
	v_ashrrev_i64 v[12:13], 1, v[12:13]
	v_lshl_add_u64 v[14:15], v[12:13], 3, s[12:13]
	global_load_dwordx2 v[14:15], v[14:15], off
	s_waitcnt vmcnt(0)
	v_subrev_co_u32_e32 v14, vcc, s28, v14
	s_nop 1
	v_subbrev_co_u32_e32 v15, vcc, 0, v15, vcc
	v_cmp_lt_i64_e32 vcc, v[8:9], v[14:15]
	s_nop 1
	v_cndmask_b32_e32 v7, v7, v13, vcc
	v_cndmask_b32_e32 v6, v6, v12, vcc
	;; [unrolled: 1-line block ×4, first 2 shown]
	v_lshl_add_u64 v[12:13], v[6:7], 0, -1
	v_cmp_ge_i64_e32 vcc, v[4:5], v[6:7]
	v_cmp_eq_u64_e64 s[0:1], v[4:5], v[12:13]
	s_or_b64 s[0:1], vcc, s[0:1]
	s_and_b64 s[0:1], exec, s[0:1]
	s_or_b64 s[2:3], s[0:1], s[2:3]
	s_andn2_b64 exec, exec, s[2:3]
	s_cbranch_execnz .LBB68_111
; %bb.112:
	s_or_b64 exec, exec, s[2:3]
.LBB68_113:
	global_load_dword v12, v[2:3], off offset:3072
	v_lshl_add_u64 v[2:3], v[6:7], 3, s[12:13]
	global_load_dwordx2 v[10:11], v[2:3], off
	s_waitcnt vmcnt(1)
	v_subrev_u32_e32 v2, s28, v12
	v_ashrrev_i32_e32 v3, 31, v2
	s_waitcnt vmcnt(0)
	v_subrev_co_u32_e32 v10, vcc, s28, v10
	s_nop 1
	v_subbrev_co_u32_e32 v11, vcc, 0, v11, vcc
	v_cmp_lt_i64_e32 vcc, v[8:9], v[10:11]
	s_nop 1
	v_cndmask_b32_e32 v5, v7, v5, vcc
	v_cndmask_b32_e32 v4, v6, v4, vcc
	v_cmp_ne_u64_e32 vcc, v[4:5], v[2:3]
	s_and_saveexec_b64 s[2:3], vcc
	s_cbranch_execz .LBB68_119
; %bb.114:
	s_load_dwordx2 s[0:1], s[14:15], 0x0
	s_waitcnt lgkmcnt(0)
	s_sub_u32 s0, s0, s28
	s_subb_u32 s1, s1, 0
	v_cmp_gt_i64_e32 vcc, s[0:1], v[8:9]
	s_and_b64 exec, exec, vcc
	s_cbranch_execz .LBB68_119
; %bb.115:
	v_cmp_gt_i64_e32 vcc, s[4:5], v[2:3]
	v_cmp_le_i64_e64 s[0:1], s[22:23], v[2:3]
	s_or_b64 s[0:1], vcc, s[0:1]
	v_lshl_add_u64 v[4:5], v[4:5], 1, s[18:19]
	s_and_saveexec_b64 s[14:15], s[0:1]
	s_xor_b64 s[0:1], exec, s[14:15]
	s_cbranch_execz .LBB68_117
; %bb.116:
	global_load_ushort v4, v[4:5], off
	ds_read_b32 v6, v18 offset:3072
	s_waitcnt vmcnt(0)
	v_cvt_f32_f16_e32 v7, v4
	v_lshl_add_u64 v[4:5], v[2:3], 2, s[24:25]
	s_waitcnt lgkmcnt(0)
	v_mul_f32_e32 v6, v6, v7
	global_atomic_add_f32 v[4:5], v6, off
                                        ; implicit-def: $vgpr4_vgpr5
.LBB68_117:
	s_andn2_saveexec_b64 s[0:1], s[0:1]
	s_cbranch_execz .LBB68_119
; %bb.118:
	global_load_ushort v4, v[4:5], off
	ds_read_b32 v5, v18 offset:3072
	v_subrev_u32_e32 v6, s4, v2
	v_mov_b32_e32 v7, 0x1000
	v_lshl_add_u32 v6, v6, 2, v7
	s_waitcnt vmcnt(0)
	v_cvt_f32_f16_e32 v4, v4
	s_waitcnt lgkmcnt(0)
	v_mul_f32_e32 v4, v5, v4
	ds_add_f32 v6, v4
.LBB68_119:
	s_or_b64 exec, exec, s[2:3]
	v_lshl_add_u64 v[2:3], v[2:3], 1, s[18:19]
	global_load_ushort v2, v[2:3], off
	ds_read_b32 v3, v18 offset:3072
	s_waitcnt vmcnt(0)
	v_cvt_f32_f16_e32 v2, v2
	s_waitcnt lgkmcnt(0)
	v_mul_f32_e32 v2, v3, v2
	ds_write_b32 v18, v2 offset:3072
.LBB68_120:
	s_or_b64 exec, exec, s[16:17]
	v_mov_b64_e32 v[2:3], s[6:7]
	v_cmp_lt_i64_e32 vcc, s[22:23], v[2:3]
	s_and_b64 s[0:1], vcc, exec
	s_cselect_b32 s16, s22, s6
	s_cselect_b32 s0, s23, s7
	s_sub_u32 s2, s16, s26
	s_subb_u32 s3, s0, s27
	v_cmp_gt_i64_e32 vcc, s[2:3], v[0:1]
	s_waitcnt lgkmcnt(0)
	s_barrier
	s_and_saveexec_b64 s[0:1], vcc
	s_cbranch_execz .LBB68_123
; %bb.121:
	v_mov_b64_e32 v[2:3], s[6:7]
	v_cmp_gt_i64_e32 vcc, s[22:23], v[2:3]
	s_and_b64 s[4:5], vcc, exec
	s_cselect_b32 s5, s23, s7
	s_cselect_b32 s4, s22, s6
	v_lshlrev_b32_e32 v2, 2, v0
	v_mov_b32_e32 v3, 0
	v_lshl_add_u64 v[2:3], s[4:5], 2, v[2:3]
	s_lshl_b64 s[4:5], s[6:7], 2
	v_mov_b32_e32 v4, s5
	v_subrev_co_u32_e32 v2, vcc, s4, v2
	s_mov_b64 s[4:5], 0
	s_nop 0
	v_subb_co_u32_e32 v3, vcc, v3, v4, vcc
	v_mov_b32_e32 v4, 0x1000
	v_lshl_add_u64 v[2:3], s[24:25], 0, v[2:3]
	v_lshl_add_u32 v6, v0, 2, v4
	s_mov_b64 s[6:7], 0x100
	s_mov_b64 s[14:15], 0x400
	v_mov_b64_e32 v[4:5], v[0:1]
.LBB68_122:                             ; =>This Inner Loop Header: Depth=1
	ds_read_b32 v7, v6
	v_lshl_add_u64 v[4:5], v[4:5], 0, s[6:7]
	v_cmp_le_i64_e32 vcc, s[2:3], v[4:5]
	v_add_u32_e32 v6, 0x400, v6
	s_or_b64 s[4:5], vcc, s[4:5]
	s_waitcnt lgkmcnt(0)
	global_atomic_add_f32 v[2:3], v7, off
	v_lshl_add_u64 v[2:3], v[2:3], 0, s[14:15]
	s_andn2_b64 exec, exec, s[4:5]
	s_cbranch_execnz .LBB68_122
.LBB68_123:
	s_or_b64 exec, exec, s[0:1]
	s_add_i32 s0, s34, -1
	s_ashr_i32 s1, s0, 1
	s_or_b32 s0, s1, s0
	s_ashr_i32 s1, s0, 2
	s_or_b32 s0, s1, s0
	;; [unrolled: 2-line block ×5, first 2 shown]
	s_add_i32 s0, s0, 1
	s_ashr_i32 s3, s0, 1
	v_lshl_add_u64 v[6:7], s[20:21], 0, v[0:1]
	s_cmp_gt_i32 s3, 1
	s_mov_b64 s[0:1], -1
	s_barrier
	s_cbranch_scc1 .LBB68_132
; %bb.124:
	v_cmp_gt_i64_e32 vcc, s[22:23], v[6:7]
	s_and_saveexec_b64 s[0:1], vcc
	s_cbranch_execz .LBB68_131
; %bb.125:
	s_sub_i32 s4, s16, s22
	s_lshl_b32 s4, s4, 2
	s_add_i32 s16, s4, 0x1000
	s_lshl_b32 s4, s8, 2
	s_sub_i32 s17, 0, s4
	s_mov_b64 s[4:5], 0
	v_mov_b64_e32 v[8:9], v[6:7]
	s_branch .LBB68_127
.LBB68_126:                             ;   in Loop: Header=BB68_127 Depth=1
	s_or_b64 exec, exec, s[6:7]
	v_lshl_add_u32 v2, v8, 2, s16
	ds_read_b32 v2, v2
	s_waitcnt lgkmcnt(0)
	v_add_f32_e32 v4, v12, v2
	v_lshl_add_u64 v[2:3], v[8:9], 2, s[24:25]
	global_atomic_add_f32 v[2:3], v4, off
	v_lshl_add_u64 v[8:9], v[8:9], 0, s[30:31]
	v_cmp_le_i64_e32 vcc, s[22:23], v[8:9]
	s_or_b64 s[4:5], vcc, s[4:5]
	s_andn2_b64 exec, exec, s[4:5]
	s_cbranch_execz .LBB68_131
.LBB68_127:                             ; =>This Loop Header: Depth=1
                                        ;     Child Loop BB68_129 Depth 2
	v_lshl_add_u64 v[2:3], v[8:9], 3, s[12:13]
	global_load_dwordx4 v[2:5], v[2:3], off
	v_mov_b32_e32 v12, 0
	s_waitcnt vmcnt(0)
	v_cmp_lt_i64_e32 vcc, v[2:3], v[4:5]
	s_and_saveexec_b64 s[6:7], vcc
	s_cbranch_execz .LBB68_126
; %bb.128:                              ;   in Loop: Header=BB68_127 Depth=1
	v_mov_b32_e32 v10, s9
	v_subrev_co_u32_e32 v4, vcc, s8, v4
	v_mov_b32_e32 v11, s9
	s_nop 0
	v_subb_co_u32_e32 v5, vcc, v5, v10, vcc
	v_subrev_co_u32_e32 v10, vcc, s8, v2
	v_lshl_add_u32 v2, v2, 2, s17
	s_nop 0
	v_subb_co_u32_e32 v11, vcc, v3, v11, vcc
	v_mov_b32_e32 v12, 0
	s_mov_b64 s[14:15], 0
.LBB68_129:                             ;   Parent Loop BB68_127 Depth=1
                                        ; =>  This Inner Loop Header: Depth=2
	ds_read_b32 v3, v2
	v_lshl_add_u64 v[10:11], v[10:11], 0, 1
	v_cmp_ge_i64_e32 vcc, v[10:11], v[4:5]
	v_add_u32_e32 v2, 4, v2
	s_or_b64 s[14:15], vcc, s[14:15]
	s_waitcnt lgkmcnt(0)
	v_add_f32_e32 v12, v12, v3
	s_andn2_b64 exec, exec, s[14:15]
	s_cbranch_execnz .LBB68_129
; %bb.130:                              ;   in Loop: Header=BB68_127 Depth=1
	s_or_b64 exec, exec, s[14:15]
	s_branch .LBB68_126
.LBB68_131:
	s_or_b64 exec, exec, s[0:1]
	s_mov_b64 s[0:1], 0
.LBB68_132:
	s_andn2_b64 vcc, exec, s[0:1]
	s_cbranch_vccnz .LBB68_149
; %bb.133:
	v_cvt_f32_u32_e32 v2, s3
	s_sub_i32 s12, 0, s3
	v_mov_b32_e32 v5, 0
	v_mov_b32_e32 v13, s9
	v_rcp_iflag_f32_e32 v2, v2
	s_nop 0
	v_mul_f32_e32 v2, 0x4f7ffffe, v2
	v_cvt_u32_f32_e32 v2, v2
	v_mul_lo_u32 v3, s12, v2
	v_mul_hi_u32 v3, v2, v3
	v_add_u32_e32 v2, v2, v3
	v_mul_hi_u32 v2, v0, v2
	v_mul_lo_u32 v3, v2, s3
	v_sub_u32_e32 v3, v0, v3
	v_add_u32_e32 v4, 1, v2
	v_cmp_le_u32_e32 vcc, s3, v3
	s_nop 1
	v_cndmask_b32_e32 v2, v2, v4, vcc
	v_subrev_u32_e32 v4, s3, v3
	v_cndmask_b32_e32 v3, v3, v4, vcc
	v_add_u32_e32 v4, 1, v2
	v_cmp_le_u32_e32 vcc, s3, v3
	s_nop 1
	v_cndmask_b32_e32 v4, v2, v4, vcc
	v_lshl_add_u64 v[2:3], v[4:5], 3, s[10:11]
	global_load_dwordx4 v[8:11], v[2:3], off
	v_mov_b32_e32 v3, s9
	s_waitcnt vmcnt(0)
	v_subrev_co_u32_e32 v2, vcc, s8, v8
	s_nop 1
	v_subb_co_u32_e32 v3, vcc, v9, v3, vcc
	v_subrev_co_u32_e32 v12, vcc, s8, v10
	v_mov_b32_e32 v10, v5
	s_nop 0
	v_subb_co_u32_e32 v13, vcc, v11, v13, vcc
	v_sub_co_u32_e32 v8, vcc, v12, v2
	s_nop 1
	v_subb_co_u32_e32 v9, vcc, v13, v3, vcc
	v_mov_b32_e32 v11, v9
	v_cmp_ne_u64_e32 vcc, 0, v[10:11]
                                        ; implicit-def: $vgpr10_vgpr11
	s_and_saveexec_b64 s[0:1], vcc
	s_xor_b64 s[4:5], exec, s[0:1]
	s_cbranch_execz .LBB68_135
; %bb.134:
	s_add_u32 s0, s3, 0
	s_addc_u32 s1, 0, 0
	s_xor_b64 s[6:7], s[0:1], 0
	v_cvt_f32_u32_e32 v10, s6
	v_cvt_f32_u32_e32 v11, s7
	s_sub_u32 s8, 0, s6
	s_subb_u32 s9, 0, s7
	v_ashrrev_i32_e32 v14, 31, v9
	v_fmamk_f32 v10, v11, 0x4f800000, v10
	v_rcp_f32_e32 v10, v10
	v_mov_b32_e32 v15, v14
	v_lshl_add_u64 v[8:9], v[8:9], 0, v[14:15]
	v_xor_b32_e32 v19, v8, v14
	v_mul_f32_e32 v10, 0x5f7ffffc, v10
	v_mul_f32_e32 v11, 0x2f800000, v10
	v_trunc_f32_e32 v11, v11
	v_fmamk_f32 v10, v11, 0xcf800000, v10
	v_cvt_u32_f32_e32 v11, v11
	v_cvt_u32_f32_e32 v10, v10
	v_xor_b32_e32 v15, v9, v14
	v_readfirstlane_b32 s10, v11
	v_readfirstlane_b32 s0, v10
	s_mul_i32 s1, s8, s10
	s_mul_hi_u32 s13, s8, s0
	s_mul_i32 s11, s9, s0
	s_add_i32 s1, s13, s1
	s_mul_i32 s14, s8, s0
	s_add_i32 s1, s1, s11
	s_mul_i32 s13, s0, s1
	s_mul_hi_u32 s15, s0, s14
	s_mul_hi_u32 s11, s0, s1
	s_add_u32 s13, s15, s13
	s_addc_u32 s11, 0, s11
	s_mul_hi_u32 s16, s10, s14
	s_mul_i32 s14, s10, s14
	s_add_u32 s13, s13, s14
	s_mul_hi_u32 s15, s10, s1
	s_addc_u32 s11, s11, s16
	s_addc_u32 s13, s15, 0
	s_mul_i32 s1, s10, s1
	s_add_u32 s1, s11, s1
	s_addc_u32 s11, 0, s13
	s_add_u32 s13, s0, s1
	s_cselect_b64 s[0:1], -1, 0
	s_cmp_lg_u64 s[0:1], 0
	s_addc_u32 s10, s10, s11
	s_mul_i32 s0, s8, s10
	s_mul_hi_u32 s1, s8, s13
	s_add_i32 s0, s1, s0
	s_mul_i32 s9, s9, s13
	s_add_i32 s0, s0, s9
	s_mul_i32 s8, s8, s13
	s_mul_hi_u32 s9, s10, s8
	s_mul_i32 s11, s10, s8
	s_mul_i32 s15, s13, s0
	s_mul_hi_u32 s8, s13, s8
	s_mul_hi_u32 s14, s13, s0
	s_add_u32 s8, s8, s15
	s_addc_u32 s14, 0, s14
	s_add_u32 s8, s8, s11
	s_mul_hi_u32 s1, s10, s0
	s_addc_u32 s8, s14, s9
	s_addc_u32 s1, s1, 0
	s_mul_i32 s0, s10, s0
	s_add_u32 s0, s8, s0
	s_addc_u32 s8, 0, s1
	s_add_u32 s9, s13, s0
	s_cselect_b64 s[0:1], -1, 0
	s_cmp_lg_u64 s[0:1], 0
	s_addc_u32 s8, s10, s8
	v_mad_u64_u32 v[8:9], s[0:1], v19, s8, 0
	v_mul_hi_u32 v10, v19, s9
	v_mov_b32_e32 v11, v5
	v_lshl_add_u64 v[8:9], v[10:11], 0, v[8:9]
	v_mad_u64_u32 v[16:17], s[0:1], v15, s9, 0
	v_add_co_u32_e32 v8, vcc, v8, v16
	v_mad_u64_u32 v[10:11], s[0:1], v15, s8, 0
	s_nop 0
	v_addc_co_u32_e32 v8, vcc, v9, v17, vcc
	v_mov_b32_e32 v9, v5
	s_nop 0
	v_addc_co_u32_e32 v11, vcc, 0, v11, vcc
	v_lshl_add_u64 v[8:9], v[8:9], 0, v[10:11]
	v_mul_lo_u32 v16, s7, v8
	v_mul_lo_u32 v17, s6, v9
	v_mad_u64_u32 v[10:11], s[0:1], s6, v8, 0
	v_add3_u32 v20, v11, v17, v16
	v_sub_u32_e32 v11, v15, v20
	v_mov_b32_e32 v16, s7
	v_sub_co_u32_e32 v19, vcc, v19, v10
	s_nop 1
	v_subb_co_u32_e64 v10, s[0:1], v11, v16, vcc
	v_subrev_co_u32_e64 v11, s[0:1], s6, v19
	v_subb_co_u32_e32 v15, vcc, v15, v20, vcc
	s_nop 0
	v_subbrev_co_u32_e64 v10, s[0:1], 0, v10, s[0:1]
	v_cmp_le_u32_e64 s[0:1], s7, v10
	v_cmp_le_u32_e32 vcc, s7, v15
	s_nop 0
	v_cndmask_b32_e64 v16, 0, -1, s[0:1]
	v_cmp_le_u32_e64 s[0:1], s6, v11
	s_nop 1
	v_cndmask_b32_e64 v11, 0, -1, s[0:1]
	v_cmp_eq_u32_e64 s[0:1], s7, v10
	s_nop 1
	v_cndmask_b32_e64 v21, v16, v11, s[0:1]
	v_lshl_add_u64 v[10:11], v[8:9], 0, 2
	v_lshl_add_u64 v[16:17], v[8:9], 0, 1
	v_cmp_ne_u32_e64 s[0:1], 0, v21
	s_nop 1
	v_cndmask_b32_e64 v11, v17, v11, s[0:1]
	v_cndmask_b32_e64 v17, 0, -1, vcc
	v_cmp_le_u32_e32 vcc, s6, v19
	v_cndmask_b32_e64 v10, v16, v10, s[0:1]
	s_nop 0
	v_cndmask_b32_e64 v19, 0, -1, vcc
	v_cmp_eq_u32_e32 vcc, s7, v15
	s_nop 1
	v_cndmask_b32_e32 v15, v17, v19, vcc
	v_cmp_ne_u32_e32 vcc, 0, v15
	s_nop 1
	v_cndmask_b32_e32 v8, v8, v10, vcc
	v_cndmask_b32_e32 v9, v9, v11, vcc
	v_xor_b32_e32 v8, v8, v14
	v_xor_b32_e32 v9, v9, v14
	v_sub_co_u32_e32 v10, vcc, v8, v14
                                        ; implicit-def: $vgpr8
	s_nop 1
	v_subb_co_u32_e32 v11, vcc, v9, v14, vcc
.LBB68_135:
	s_andn2_saveexec_b64 s[0:1], s[4:5]
	s_cbranch_execz .LBB68_137
; %bb.136:
	v_cvt_f32_u32_e32 v9, s3
	v_rcp_iflag_f32_e32 v9, v9
	s_nop 0
	v_mul_f32_e32 v9, 0x4f7ffffe, v9
	v_cvt_u32_f32_e32 v9, v9
	v_mul_lo_u32 v10, s12, v9
	v_mul_hi_u32 v10, v9, v10
	v_add_u32_e32 v9, v9, v10
	v_mul_hi_u32 v9, v8, v9
	v_mul_lo_u32 v10, v9, s3
	v_sub_u32_e32 v8, v8, v10
	v_add_u32_e32 v11, 1, v9
	v_subrev_u32_e32 v10, s3, v8
	v_cmp_le_u32_e32 vcc, s3, v8
	s_nop 1
	v_cndmask_b32_e32 v8, v8, v10, vcc
	v_cndmask_b32_e32 v9, v9, v11, vcc
	v_add_u32_e32 v10, 1, v9
	v_cmp_le_u32_e32 vcc, s3, v8
	v_mov_b32_e32 v11, 0
	s_nop 0
	v_cndmask_b32_e32 v10, v9, v10, vcc
.LBB68_137:
	s_or_b64 exec, exec, s[0:1]
	v_cmp_gt_i64_e32 vcc, s[26:27], v[4:5]
	v_mov_b32_e32 v14, 0
	s_and_saveexec_b64 s[0:1], vcc
	s_cbranch_execz .LBB68_145
; %bb.138:
	s_add_i32 s4, s3, -1
	v_and_b32_e32 v4, s4, v0
	s_mov_b64 s[4:5], 0
	v_cmp_lt_i64_e32 vcc, 0, v[10:11]
	v_mov_b32_e32 v14, 0
	v_lshlrev_b32_e32 v15, 2, v4
	s_and_saveexec_b64 s[6:7], vcc
	s_cbranch_execz .LBB68_142
; %bb.139:
	v_lshl_add_u32 v5, v2, 2, v15
	s_lshl_b32 s8, s3, 2
	v_mov_b32_e32 v14, 0
	v_mov_b64_e32 v[8:9], v[10:11]
.LBB68_140:                             ; =>This Inner Loop Header: Depth=1
	ds_read_b32 v16, v5
	v_lshl_add_u64 v[8:9], v[8:9], 0, -1
	v_cmp_eq_u64_e32 vcc, 0, v[8:9]
	v_add_u32_e32 v5, s8, v5
	s_or_b64 s[4:5], vcc, s[4:5]
	s_waitcnt lgkmcnt(0)
	v_add_f32_e32 v14, v14, v16
	s_andn2_b64 exec, exec, s[4:5]
	s_cbranch_execnz .LBB68_140
; %bb.141:
	s_or_b64 exec, exec, s[4:5]
.LBB68_142:
	s_or_b64 exec, exec, s[6:7]
	v_mad_u64_u32 v[2:3], s[4:5], v10, s3, v[2:3]
	v_mov_b32_e32 v8, v3
	v_mad_u64_u32 v[8:9], s[4:5], v11, s3, v[8:9]
	v_sub_co_u32_e32 v10, vcc, v12, v2
	v_mov_b32_e32 v5, 0
	s_nop 0
	v_subb_co_u32_e32 v11, vcc, v13, v8, vcc
	v_cmp_gt_i64_e32 vcc, v[10:11], v[4:5]
	s_and_saveexec_b64 s[4:5], vcc
	s_cbranch_execz .LBB68_144
; %bb.143:
	v_lshl_add_u32 v2, v2, 2, v15
	ds_read_b32 v2, v2
	s_waitcnt lgkmcnt(0)
	v_add_f32_e32 v14, v14, v2
.LBB68_144:
	s_or_b64 exec, exec, s[4:5]
.LBB68_145:
	s_or_b64 exec, exec, s[0:1]
	v_cmp_gt_i64_e32 vcc, s[26:27], v[0:1]
	s_barrier
	ds_write_b32 v18, v14
	s_waitcnt lgkmcnt(0)
	s_barrier
	s_and_saveexec_b64 s[0:1], vcc
	s_cbranch_execz .LBB68_149
; %bb.146:
	v_mul_lo_u32 v1, s3, v0
	v_lshlrev_b32_e32 v2, 2, v1
	v_mov_b32_e32 v1, 0
.LBB68_147:                             ; =>This Inner Loop Header: Depth=1
	ds_read_b32 v3, v2
	s_add_i32 s3, s3, -1
	v_add_u32_e32 v2, 4, v2
	s_cmp_eq_u32 s3, 0
	s_waitcnt lgkmcnt(0)
	v_add_f32_e32 v1, v1, v3
	s_cbranch_scc0 .LBB68_147
; %bb.148:
	s_lshl_b32 s0, s2, 2
	s_addk_i32 s0, 0x1000
	v_lshl_add_u32 v0, v0, 2, s0
	ds_read_b32 v0, v0
	s_waitcnt lgkmcnt(0)
	v_add_f32_e32 v2, v1, v0
	v_lshl_add_u64 v[0:1], v[6:7], 2, s[24:25]
	global_atomic_add_f32 v[0:1], v2, off
.LBB68_149:
	s_endpgm
	.section	.rodata,"a",@progbits
	.p2align	6, 0x0
	.amdhsa_kernel _ZN9rocsparseL27csrmvn_symm_adaptive_kernelIliDF16_DF16_ffEEvbT_S1_PKS1_NS_24const_host_device_scalarIT4_EES3_PKT0_PKT1_PKT2_S6_PT3_21rocsparse_index_base_b
		.amdhsa_group_segment_fixed_size 4096
		.amdhsa_private_segment_fixed_size 0
		.amdhsa_kernarg_size 352
		.amdhsa_user_sgpr_count 2
		.amdhsa_user_sgpr_dispatch_ptr 0
		.amdhsa_user_sgpr_queue_ptr 0
		.amdhsa_user_sgpr_kernarg_segment_ptr 1
		.amdhsa_user_sgpr_dispatch_id 0
		.amdhsa_user_sgpr_kernarg_preload_length 0
		.amdhsa_user_sgpr_kernarg_preload_offset 0
		.amdhsa_user_sgpr_private_segment_size 0
		.amdhsa_uses_dynamic_stack 0
		.amdhsa_enable_private_segment 0
		.amdhsa_system_sgpr_workgroup_id_x 1
		.amdhsa_system_sgpr_workgroup_id_y 0
		.amdhsa_system_sgpr_workgroup_id_z 0
		.amdhsa_system_sgpr_workgroup_info 0
		.amdhsa_system_vgpr_workitem_id 0
		.amdhsa_next_free_vgpr 22
		.amdhsa_next_free_sgpr 52
		.amdhsa_accum_offset 24
		.amdhsa_reserve_vcc 1
		.amdhsa_float_round_mode_32 0
		.amdhsa_float_round_mode_16_64 0
		.amdhsa_float_denorm_mode_32 3
		.amdhsa_float_denorm_mode_16_64 3
		.amdhsa_dx10_clamp 1
		.amdhsa_ieee_mode 1
		.amdhsa_fp16_overflow 0
		.amdhsa_tg_split 0
		.amdhsa_exception_fp_ieee_invalid_op 0
		.amdhsa_exception_fp_denorm_src 0
		.amdhsa_exception_fp_ieee_div_zero 0
		.amdhsa_exception_fp_ieee_overflow 0
		.amdhsa_exception_fp_ieee_underflow 0
		.amdhsa_exception_fp_ieee_inexact 0
		.amdhsa_exception_int_div_zero 0
	.end_amdhsa_kernel
	.section	.text._ZN9rocsparseL27csrmvn_symm_adaptive_kernelIliDF16_DF16_ffEEvbT_S1_PKS1_NS_24const_host_device_scalarIT4_EES3_PKT0_PKT1_PKT2_S6_PT3_21rocsparse_index_base_b,"axG",@progbits,_ZN9rocsparseL27csrmvn_symm_adaptive_kernelIliDF16_DF16_ffEEvbT_S1_PKS1_NS_24const_host_device_scalarIT4_EES3_PKT0_PKT1_PKT2_S6_PT3_21rocsparse_index_base_b,comdat
.Lfunc_end68:
	.size	_ZN9rocsparseL27csrmvn_symm_adaptive_kernelIliDF16_DF16_ffEEvbT_S1_PKS1_NS_24const_host_device_scalarIT4_EES3_PKT0_PKT1_PKT2_S6_PT3_21rocsparse_index_base_b, .Lfunc_end68-_ZN9rocsparseL27csrmvn_symm_adaptive_kernelIliDF16_DF16_ffEEvbT_S1_PKS1_NS_24const_host_device_scalarIT4_EES3_PKT0_PKT1_PKT2_S6_PT3_21rocsparse_index_base_b
                                        ; -- End function
	.set _ZN9rocsparseL27csrmvn_symm_adaptive_kernelIliDF16_DF16_ffEEvbT_S1_PKS1_NS_24const_host_device_scalarIT4_EES3_PKT0_PKT1_PKT2_S6_PT3_21rocsparse_index_base_b.num_vgpr, 22
	.set _ZN9rocsparseL27csrmvn_symm_adaptive_kernelIliDF16_DF16_ffEEvbT_S1_PKS1_NS_24const_host_device_scalarIT4_EES3_PKT0_PKT1_PKT2_S6_PT3_21rocsparse_index_base_b.num_agpr, 0
	.set _ZN9rocsparseL27csrmvn_symm_adaptive_kernelIliDF16_DF16_ffEEvbT_S1_PKS1_NS_24const_host_device_scalarIT4_EES3_PKT0_PKT1_PKT2_S6_PT3_21rocsparse_index_base_b.numbered_sgpr, 52
	.set _ZN9rocsparseL27csrmvn_symm_adaptive_kernelIliDF16_DF16_ffEEvbT_S1_PKS1_NS_24const_host_device_scalarIT4_EES3_PKT0_PKT1_PKT2_S6_PT3_21rocsparse_index_base_b.num_named_barrier, 0
	.set _ZN9rocsparseL27csrmvn_symm_adaptive_kernelIliDF16_DF16_ffEEvbT_S1_PKS1_NS_24const_host_device_scalarIT4_EES3_PKT0_PKT1_PKT2_S6_PT3_21rocsparse_index_base_b.private_seg_size, 0
	.set _ZN9rocsparseL27csrmvn_symm_adaptive_kernelIliDF16_DF16_ffEEvbT_S1_PKS1_NS_24const_host_device_scalarIT4_EES3_PKT0_PKT1_PKT2_S6_PT3_21rocsparse_index_base_b.uses_vcc, 1
	.set _ZN9rocsparseL27csrmvn_symm_adaptive_kernelIliDF16_DF16_ffEEvbT_S1_PKS1_NS_24const_host_device_scalarIT4_EES3_PKT0_PKT1_PKT2_S6_PT3_21rocsparse_index_base_b.uses_flat_scratch, 0
	.set _ZN9rocsparseL27csrmvn_symm_adaptive_kernelIliDF16_DF16_ffEEvbT_S1_PKS1_NS_24const_host_device_scalarIT4_EES3_PKT0_PKT1_PKT2_S6_PT3_21rocsparse_index_base_b.has_dyn_sized_stack, 0
	.set _ZN9rocsparseL27csrmvn_symm_adaptive_kernelIliDF16_DF16_ffEEvbT_S1_PKS1_NS_24const_host_device_scalarIT4_EES3_PKT0_PKT1_PKT2_S6_PT3_21rocsparse_index_base_b.has_recursion, 0
	.set _ZN9rocsparseL27csrmvn_symm_adaptive_kernelIliDF16_DF16_ffEEvbT_S1_PKS1_NS_24const_host_device_scalarIT4_EES3_PKT0_PKT1_PKT2_S6_PT3_21rocsparse_index_base_b.has_indirect_call, 0
	.section	.AMDGPU.csdata,"",@progbits
; Kernel info:
; codeLenInByte = 7320
; TotalNumSgprs: 58
; NumVgprs: 22
; NumAgprs: 0
; TotalNumVgprs: 22
; ScratchSize: 0
; MemoryBound: 0
; FloatMode: 240
; IeeeMode: 1
; LDSByteSize: 4096 bytes/workgroup (compile time only)
; SGPRBlocks: 7
; VGPRBlocks: 2
; NumSGPRsForWavesPerEU: 58
; NumVGPRsForWavesPerEU: 22
; AccumOffset: 24
; Occupancy: 8
; WaveLimiterHint : 1
; COMPUTE_PGM_RSRC2:SCRATCH_EN: 0
; COMPUTE_PGM_RSRC2:USER_SGPR: 2
; COMPUTE_PGM_RSRC2:TRAP_HANDLER: 0
; COMPUTE_PGM_RSRC2:TGID_X_EN: 1
; COMPUTE_PGM_RSRC2:TGID_Y_EN: 0
; COMPUTE_PGM_RSRC2:TGID_Z_EN: 0
; COMPUTE_PGM_RSRC2:TIDIG_COMP_CNT: 0
; COMPUTE_PGM_RSRC3_GFX90A:ACCUM_OFFSET: 5
; COMPUTE_PGM_RSRC3_GFX90A:TG_SPLIT: 0
	.section	.text._ZL33csrmvn_symm_large_adaptive_kernelIliDF16_DF16_ffEvbT_PKS0_N9rocsparse24const_host_device_scalarIT4_EES2_PKT0_PKT1_PKT2_S6_PT3_21rocsparse_index_base_b,"axG",@progbits,_ZL33csrmvn_symm_large_adaptive_kernelIliDF16_DF16_ffEvbT_PKS0_N9rocsparse24const_host_device_scalarIT4_EES2_PKT0_PKT1_PKT2_S6_PT3_21rocsparse_index_base_b,comdat
	.globl	_ZL33csrmvn_symm_large_adaptive_kernelIliDF16_DF16_ffEvbT_PKS0_N9rocsparse24const_host_device_scalarIT4_EES2_PKT0_PKT1_PKT2_S6_PT3_21rocsparse_index_base_b ; -- Begin function _ZL33csrmvn_symm_large_adaptive_kernelIliDF16_DF16_ffEvbT_PKS0_N9rocsparse24const_host_device_scalarIT4_EES2_PKT0_PKT1_PKT2_S6_PT3_21rocsparse_index_base_b
	.p2align	8
	.type	_ZL33csrmvn_symm_large_adaptive_kernelIliDF16_DF16_ffEvbT_PKS0_N9rocsparse24const_host_device_scalarIT4_EES2_PKT0_PKT1_PKT2_S6_PT3_21rocsparse_index_base_b,@function
_ZL33csrmvn_symm_large_adaptive_kernelIliDF16_DF16_ffEvbT_PKS0_N9rocsparse24const_host_device_scalarIT4_EES2_PKT0_PKT1_PKT2_S6_PT3_21rocsparse_index_base_b: ; @_ZL33csrmvn_symm_large_adaptive_kernelIliDF16_DF16_ffEvbT_PKS0_N9rocsparse24const_host_device_scalarIT4_EES2_PKT0_PKT1_PKT2_S6_PT3_21rocsparse_index_base_b
; %bb.0:
	s_load_dwordx2 s[20:21], s[0:1], 0x50
	s_load_dwordx2 s[22:23], s[0:1], 0x18
	;; [unrolled: 1-line block ×3, first 2 shown]
	s_waitcnt lgkmcnt(0)
	s_bitcmp1_b32 s21, 0
	s_cselect_b64 s[8:9], -1, 0
	s_xor_b64 s[6:7], s[8:9], -1
	s_and_b64 vcc, exec, s[8:9]
	s_cbranch_vccnz .LBB69_2
; %bb.1:
	s_load_dword s22, s[22:23], 0x0
.LBB69_2:
	s_andn2_b64 vcc, exec, s[6:7]
	s_cbranch_vccnz .LBB69_4
; %bb.3:
	s_load_dword s4, s[4:5], 0x0
.LBB69_4:
	s_waitcnt lgkmcnt(0)
	v_cmp_neq_f32_e64 s[6:7], s22, 0
	v_cmp_neq_f32_e64 s[4:5], s4, 1.0
	s_or_b64 s[4:5], s[6:7], s[4:5]
	s_andn2_b64 vcc, exec, s[4:5]
	s_cbranch_vccnz .LBB69_32
; %bb.5:
	s_load_dwordx2 s[4:5], s[0:1], 0x10
	s_ashr_i32 s3, s2, 31
	s_lshl_b64 s[2:3], s[2:3], 3
	v_lshlrev_b32_e32 v10, 2, v0
	v_mov_b32_e32 v11, 0
	s_waitcnt lgkmcnt(0)
	s_add_u32 s2, s4, s2
	s_addc_u32 s3, s5, s3
	ds_write2st64_b32 v10, v11, v11 offset1:4
	ds_write2st64_b32 v10, v11, v11 offset0:8 offset1:12
	s_waitcnt lgkmcnt(0)
	s_barrier
	s_load_dwordx4 s[16:19], s[2:3], 0x0
	s_load_dwordx8 s[8:15], s[0:1], 0x20
	s_load_dwordx2 s[24:25], s[0:1], 0x48
	s_waitcnt lgkmcnt(0)
	v_mov_b64_e32 v[2:3], s[18:19]
	v_cmp_ge_i64_e32 vcc, s[16:17], v[2:3]
	v_subrev_co_u32_e64 v2, s[0:1], s20, v0
	s_nop 1
	v_subb_co_u32_e64 v3, s[0:1], 0, 0, s[0:1]
	s_cbranch_vccnz .LBB69_23
; %bb.6:
	v_cmp_gt_u32_e64 s[0:1], 64, v0
	v_cmp_gt_u32_e64 s[2:3], 16, v0
	;; [unrolled: 1-line block ×3, first 2 shown]
	v_cmp_eq_u32_e64 s[6:7], 0, v0
	s_mov_b64 s[26:27], 0x100
	s_mov_b64 s[28:29], 0x400
	;; [unrolled: 1-line block ×3, first 2 shown]
	v_mov_b64_e32 v[0:1], s[18:19]
	s_mov_b64 s[34:35], s[16:17]
	s_branch .LBB69_8
.LBB69_7:                               ;   in Loop: Header=BB69_8 Depth=1
	s_or_b64 exec, exec, s[36:37]
	s_add_u32 s34, s34, 1
	s_addc_u32 s35, s35, 0
	v_cmp_ge_i64_e32 vcc, s[34:35], v[0:1]
	s_cbranch_vccnz .LBB69_23
.LBB69_8:                               ; =>This Loop Header: Depth=1
                                        ;     Child Loop BB69_10 Depth 2
	s_lshl_b64 s[36:37], s[34:35], 3
	s_add_u32 s36, s8, s36
	s_addc_u32 s37, s9, s37
	s_load_dwordx4 s[40:43], s[36:37], 0x0
	v_mov_b32_e32 v12, 0
	s_waitcnt lgkmcnt(0)
	s_sub_u32 s36, s42, s20
	v_lshl_add_u64 v[4:5], s[40:41], 0, v[2:3]
	s_subb_u32 s37, s43, 0
	v_cmp_gt_i64_e32 vcc, s[36:37], v[4:5]
	s_and_saveexec_b64 s[38:39], vcc
	s_cbranch_execz .LBB69_12
; %bb.9:                                ;   in Loop: Header=BB69_8 Depth=1
	v_lshl_add_u64 v[6:7], v[4:5], 2, s[10:11]
	v_lshl_add_u64 v[8:9], v[4:5], 1, s[12:13]
	v_mov_b32_e32 v12, 0
	s_mov_b64 s[40:41], 0
.LBB69_10:                              ;   Parent Loop BB69_8 Depth=1
                                        ; =>  This Inner Loop Header: Depth=2
	global_load_dword v13, v[6:7], off
	global_load_ushort v16, v[8:9], off
	v_lshl_add_u64 v[4:5], v[4:5], 0, s[26:27]
	v_cmp_le_i64_e32 vcc, s[36:37], v[4:5]
	v_lshl_add_u64 v[6:7], v[6:7], 0, s[28:29]
	v_lshl_add_u64 v[8:9], v[8:9], 0, s[30:31]
	s_or_b64 s[40:41], vcc, s[40:41]
	s_waitcnt vmcnt(1)
	v_subrev_u32_e32 v14, s20, v13
	v_ashrrev_i32_e32 v15, 31, v14
	v_lshl_add_u64 v[14:15], v[14:15], 1, s[14:15]
	global_load_ushort v13, v[14:15], off
	s_waitcnt vmcnt(0)
	v_fma_mix_f32 v12, v16, v13, v12 op_sel_hi:[1,1,0]
	s_andn2_b64 exec, exec, s[40:41]
	s_cbranch_execnz .LBB69_10
; %bb.11:                               ;   in Loop: Header=BB69_8 Depth=1
	s_or_b64 exec, exec, s[40:41]
.LBB69_12:                              ;   in Loop: Header=BB69_8 Depth=1
	s_or_b64 exec, exec, s[38:39]
	ds_write_b32 v10, v12
	s_waitcnt lgkmcnt(0)
	s_barrier
	ds_read2st64_b32 v[4:5], v10 offset1:4
	ds_read2st64_b32 v[6:7], v10 offset0:8 offset1:12
	s_waitcnt lgkmcnt(0)
	v_add_f32_e32 v5, v5, v6
	v_add_f32_e32 v5, v5, v7
	;; [unrolled: 1-line block ×3, first 2 shown]
	ds_write_b32 v10, v4
	s_waitcnt lgkmcnt(0)
	s_barrier
	s_and_saveexec_b64 s[36:37], s[0:1]
	s_cbranch_execz .LBB69_14
; %bb.13:                               ;   in Loop: Header=BB69_8 Depth=1
	ds_read2st64_b32 v[4:5], v10 offset1:1
	ds_read2st64_b32 v[6:7], v10 offset0:2 offset1:3
	s_waitcnt lgkmcnt(0)
	v_add_f32_e32 v5, v5, v6
	v_add_f32_e32 v5, v5, v7
	;; [unrolled: 1-line block ×3, first 2 shown]
	ds_write_b32 v10, v4
.LBB69_14:                              ;   in Loop: Header=BB69_8 Depth=1
	s_or_b64 exec, exec, s[36:37]
	s_waitcnt lgkmcnt(0)
	s_barrier
	s_and_saveexec_b64 s[36:37], s[2:3]
	s_cbranch_execz .LBB69_16
; %bb.15:                               ;   in Loop: Header=BB69_8 Depth=1
	ds_read2_b32 v[4:5], v10 offset1:16
	ds_read2_b32 v[6:7], v10 offset0:32 offset1:48
	s_waitcnt lgkmcnt(0)
	v_add_f32_e32 v5, v5, v6
	v_add_f32_e32 v5, v5, v7
	;; [unrolled: 1-line block ×3, first 2 shown]
	ds_write_b32 v10, v4
.LBB69_16:                              ;   in Loop: Header=BB69_8 Depth=1
	s_or_b64 exec, exec, s[36:37]
	s_waitcnt lgkmcnt(0)
	s_barrier
	s_and_saveexec_b64 s[36:37], s[4:5]
	s_cbranch_execz .LBB69_18
; %bb.17:                               ;   in Loop: Header=BB69_8 Depth=1
	ds_read2_b32 v[4:5], v10 offset1:4
	ds_read2_b32 v[6:7], v10 offset0:8 offset1:12
	s_waitcnt lgkmcnt(0)
	v_add_f32_e32 v5, v5, v6
	v_add_f32_e32 v5, v5, v7
	;; [unrolled: 1-line block ×3, first 2 shown]
	ds_write_b32 v10, v4
.LBB69_18:                              ;   in Loop: Header=BB69_8 Depth=1
	s_or_b64 exec, exec, s[36:37]
	s_waitcnt lgkmcnt(0)
	s_barrier
	s_and_saveexec_b64 s[36:37], s[6:7]
	s_cbranch_execz .LBB69_20
; %bb.19:                               ;   in Loop: Header=BB69_8 Depth=1
	ds_read2_b32 v[4:5], v11 offset0:1 offset1:2
	ds_read_b32 v6, v11 offset:12
	ds_read_b32 v7, v10
	s_waitcnt lgkmcnt(2)
	v_add_f32_e32 v4, v4, v5
	s_waitcnt lgkmcnt(1)
	v_add_f32_e32 v4, v4, v6
	;; [unrolled: 2-line block ×3, first 2 shown]
	ds_write_b32 v10, v4
.LBB69_20:                              ;   in Loop: Header=BB69_8 Depth=1
	s_or_b64 exec, exec, s[36:37]
	s_waitcnt lgkmcnt(0)
	s_barrier
	s_and_saveexec_b64 s[36:37], s[6:7]
	s_cbranch_execz .LBB69_7
; %bb.21:                               ;   in Loop: Header=BB69_8 Depth=1
	s_mov_b64 s[38:39], exec
	v_mbcnt_lo_u32_b32 v4, s38, 0
	v_mbcnt_hi_u32_b32 v4, s39, v4
	v_cmp_eq_u32_e32 vcc, 0, v4
	s_and_b64 s[40:41], exec, vcc
	s_mov_b64 exec, s[40:41]
	s_cbranch_execz .LBB69_7
; %bb.22:                               ;   in Loop: Header=BB69_8 Depth=1
	ds_read_b32 v4, v11
	s_lshl_b64 s[40:41], s[34:35], 2
	s_add_u32 s40, s24, s40
	s_addc_u32 s41, s25, s41
	s_bcnt1_i32_b64 s21, s[38:39]
	s_waitcnt lgkmcnt(0)
	v_mul_f32_e32 v4, s22, v4
	v_cvt_f32_ubyte0_e32 v5, s21
	v_mul_f32_e32 v4, v4, v5
	global_atomic_add_f32 v11, v4, s[40:41]
	s_branch .LBB69_7
.LBB69_23:
	s_lshl_b64 s[0:1], s[16:17], 3
	s_add_u32 s0, s8, s0
	s_addc_u32 s1, s9, s1
	s_lshl_b64 s[2:3], s[18:19], 3
	s_add_u32 s2, s8, s2
	s_addc_u32 s3, s9, s3
	s_load_dwordx2 s[4:5], s[2:3], 0x0
	s_load_dwordx2 s[6:7], s[0:1], 0x0
	s_waitcnt lgkmcnt(0)
	s_sub_u32 s4, s4, s20
	s_subb_u32 s5, s5, 0
	v_lshl_add_u64 v[0:1], s[6:7], 0, v[2:3]
	v_cmp_gt_i64_e32 vcc, s[4:5], v[0:1]
	s_and_saveexec_b64 s[0:1], vcc
	s_cbranch_execz .LBB69_32
; %bb.24:
	s_add_u32 s6, s18, -1
	s_addc_u32 s7, s19, -1
	s_add_u32 s0, s18, -2
	s_addc_u32 s1, s19, -1
	v_mov_b64_e32 v[2:3], s[6:7]
	s_cmp_lg_u64 s[16:17], s[0:1]
	v_cmp_lt_i64_e32 vcc, s[16:17], v[2:3]
	s_cselect_b64 s[0:1], -1, 0
	s_and_b64 s[0:1], vcc, s[0:1]
	v_cndmask_b32_e64 v2, 0, 1, s[0:1]
	s_mov_b64 s[18:19], 0
	v_cmp_ne_u32_e64 s[0:1], 1, v2
	v_mov_b32_e32 v3, 0
	s_mov_b64 s[26:27], 0x100
	s_branch .LBB69_26
.LBB69_25:                              ;   in Loop: Header=BB69_26 Depth=1
	s_or_b64 exec, exec, s[2:3]
	v_lshl_add_u64 v[0:1], v[0:1], 0, s[26:27]
	v_cmp_le_i64_e32 vcc, s[4:5], v[0:1]
	s_or_b64 s[18:19], vcc, s[18:19]
	s_andn2_b64 exec, exec, s[18:19]
	s_cbranch_execz .LBB69_32
.LBB69_26:                              ; =>This Loop Header: Depth=1
                                        ;     Child Loop BB69_28 Depth 2
	s_and_b64 vcc, exec, s[0:1]
	v_mov_b64_e32 v[4:5], s[16:17]
	v_mov_b64_e32 v[6:7], s[6:7]
	s_cbranch_vccnz .LBB69_30
; %bb.27:                               ;   in Loop: Header=BB69_26 Depth=1
	s_mov_b64 s[28:29], 0
	v_mov_b64_e32 v[4:5], s[16:17]
	v_mov_b64_e32 v[6:7], s[6:7]
.LBB69_28:                              ;   Parent Loop BB69_26 Depth=1
                                        ; =>  This Inner Loop Header: Depth=2
	v_lshl_add_u64 v[8:9], v[6:7], 0, v[4:5]
	v_lshrrev_b32_e32 v2, 31, v9
	v_lshl_add_u64 v[8:9], v[8:9], 0, v[2:3]
	v_ashrrev_i64 v[8:9], 1, v[8:9]
	v_lshl_add_u64 v[10:11], v[8:9], 3, s[8:9]
	global_load_dwordx2 v[10:11], v[10:11], off
	s_waitcnt vmcnt(0)
	v_subrev_co_u32_e32 v10, vcc, s20, v10
	s_nop 1
	v_subbrev_co_u32_e32 v11, vcc, 0, v11, vcc
	v_cmp_lt_i64_e32 vcc, v[0:1], v[10:11]
	s_nop 1
	v_cndmask_b32_e32 v7, v7, v9, vcc
	v_cndmask_b32_e32 v6, v6, v8, vcc
	;; [unrolled: 1-line block ×4, first 2 shown]
	v_lshl_add_u64 v[8:9], v[6:7], 0, -1
	v_cmp_ge_i64_e32 vcc, v[4:5], v[6:7]
	v_cmp_eq_u64_e64 s[2:3], v[4:5], v[8:9]
	s_or_b64 s[2:3], vcc, s[2:3]
	s_and_b64 s[2:3], exec, s[2:3]
	s_or_b64 s[28:29], s[2:3], s[28:29]
	s_andn2_b64 exec, exec, s[28:29]
	s_cbranch_execnz .LBB69_28
; %bb.29:                               ;   in Loop: Header=BB69_26 Depth=1
	s_or_b64 exec, exec, s[28:29]
.LBB69_30:                              ;   in Loop: Header=BB69_26 Depth=1
	v_lshl_add_u64 v[8:9], v[6:7], 3, s[8:9]
	global_load_dwordx2 v[8:9], v[8:9], off
	v_lshl_add_u64 v[10:11], v[0:1], 2, s[10:11]
	global_load_dword v2, v[10:11], off
	s_waitcnt vmcnt(1)
	v_subrev_co_u32_e32 v10, vcc, s20, v8
	s_nop 1
	v_subbrev_co_u32_e32 v11, vcc, 0, v9, vcc
	s_waitcnt vmcnt(0)
	v_subrev_u32_e32 v8, s20, v2
	v_cmp_lt_i64_e32 vcc, v[0:1], v[10:11]
	v_ashrrev_i32_e32 v9, 31, v8
	s_nop 0
	v_cndmask_b32_e32 v5, v7, v5, vcc
	v_cndmask_b32_e32 v4, v6, v4, vcc
	v_cmp_ne_u64_e32 vcc, v[4:5], v[8:9]
	s_and_saveexec_b64 s[2:3], vcc
	s_cbranch_execz .LBB69_25
; %bb.31:                               ;   in Loop: Header=BB69_26 Depth=1
	v_lshl_add_u64 v[6:7], v[0:1], 1, s[12:13]
	global_load_ushort v2, v[6:7], off
	v_lshl_add_u64 v[4:5], v[4:5], 1, s[14:15]
	global_load_ushort v4, v[4:5], off
	s_waitcnt vmcnt(1)
	v_cvt_f32_f16_e32 v2, v2
	s_waitcnt vmcnt(0)
	v_cvt_f32_f16_e32 v6, v4
	v_lshl_add_u64 v[4:5], v[8:9], 2, s[24:25]
	v_mul_f32_e32 v2, s22, v2
	v_mul_f32_e32 v2, v2, v6
	global_atomic_add_f32 v[4:5], v2, off
	s_branch .LBB69_25
.LBB69_32:
	s_endpgm
	.section	.rodata,"a",@progbits
	.p2align	6, 0x0
	.amdhsa_kernel _ZL33csrmvn_symm_large_adaptive_kernelIliDF16_DF16_ffEvbT_PKS0_N9rocsparse24const_host_device_scalarIT4_EES2_PKT0_PKT1_PKT2_S6_PT3_21rocsparse_index_base_b
		.amdhsa_group_segment_fixed_size 4096
		.amdhsa_private_segment_fixed_size 0
		.amdhsa_kernarg_size 88
		.amdhsa_user_sgpr_count 2
		.amdhsa_user_sgpr_dispatch_ptr 0
		.amdhsa_user_sgpr_queue_ptr 0
		.amdhsa_user_sgpr_kernarg_segment_ptr 1
		.amdhsa_user_sgpr_dispatch_id 0
		.amdhsa_user_sgpr_kernarg_preload_length 0
		.amdhsa_user_sgpr_kernarg_preload_offset 0
		.amdhsa_user_sgpr_private_segment_size 0
		.amdhsa_uses_dynamic_stack 0
		.amdhsa_enable_private_segment 0
		.amdhsa_system_sgpr_workgroup_id_x 1
		.amdhsa_system_sgpr_workgroup_id_y 0
		.amdhsa_system_sgpr_workgroup_id_z 0
		.amdhsa_system_sgpr_workgroup_info 0
		.amdhsa_system_vgpr_workitem_id 0
		.amdhsa_next_free_vgpr 17
		.amdhsa_next_free_sgpr 44
		.amdhsa_accum_offset 20
		.amdhsa_reserve_vcc 1
		.amdhsa_float_round_mode_32 0
		.amdhsa_float_round_mode_16_64 0
		.amdhsa_float_denorm_mode_32 3
		.amdhsa_float_denorm_mode_16_64 3
		.amdhsa_dx10_clamp 1
		.amdhsa_ieee_mode 1
		.amdhsa_fp16_overflow 0
		.amdhsa_tg_split 0
		.amdhsa_exception_fp_ieee_invalid_op 0
		.amdhsa_exception_fp_denorm_src 0
		.amdhsa_exception_fp_ieee_div_zero 0
		.amdhsa_exception_fp_ieee_overflow 0
		.amdhsa_exception_fp_ieee_underflow 0
		.amdhsa_exception_fp_ieee_inexact 0
		.amdhsa_exception_int_div_zero 0
	.end_amdhsa_kernel
	.section	.text._ZL33csrmvn_symm_large_adaptive_kernelIliDF16_DF16_ffEvbT_PKS0_N9rocsparse24const_host_device_scalarIT4_EES2_PKT0_PKT1_PKT2_S6_PT3_21rocsparse_index_base_b,"axG",@progbits,_ZL33csrmvn_symm_large_adaptive_kernelIliDF16_DF16_ffEvbT_PKS0_N9rocsparse24const_host_device_scalarIT4_EES2_PKT0_PKT1_PKT2_S6_PT3_21rocsparse_index_base_b,comdat
.Lfunc_end69:
	.size	_ZL33csrmvn_symm_large_adaptive_kernelIliDF16_DF16_ffEvbT_PKS0_N9rocsparse24const_host_device_scalarIT4_EES2_PKT0_PKT1_PKT2_S6_PT3_21rocsparse_index_base_b, .Lfunc_end69-_ZL33csrmvn_symm_large_adaptive_kernelIliDF16_DF16_ffEvbT_PKS0_N9rocsparse24const_host_device_scalarIT4_EES2_PKT0_PKT1_PKT2_S6_PT3_21rocsparse_index_base_b
                                        ; -- End function
	.set _ZL33csrmvn_symm_large_adaptive_kernelIliDF16_DF16_ffEvbT_PKS0_N9rocsparse24const_host_device_scalarIT4_EES2_PKT0_PKT1_PKT2_S6_PT3_21rocsparse_index_base_b.num_vgpr, 17
	.set _ZL33csrmvn_symm_large_adaptive_kernelIliDF16_DF16_ffEvbT_PKS0_N9rocsparse24const_host_device_scalarIT4_EES2_PKT0_PKT1_PKT2_S6_PT3_21rocsparse_index_base_b.num_agpr, 0
	.set _ZL33csrmvn_symm_large_adaptive_kernelIliDF16_DF16_ffEvbT_PKS0_N9rocsparse24const_host_device_scalarIT4_EES2_PKT0_PKT1_PKT2_S6_PT3_21rocsparse_index_base_b.numbered_sgpr, 44
	.set _ZL33csrmvn_symm_large_adaptive_kernelIliDF16_DF16_ffEvbT_PKS0_N9rocsparse24const_host_device_scalarIT4_EES2_PKT0_PKT1_PKT2_S6_PT3_21rocsparse_index_base_b.num_named_barrier, 0
	.set _ZL33csrmvn_symm_large_adaptive_kernelIliDF16_DF16_ffEvbT_PKS0_N9rocsparse24const_host_device_scalarIT4_EES2_PKT0_PKT1_PKT2_S6_PT3_21rocsparse_index_base_b.private_seg_size, 0
	.set _ZL33csrmvn_symm_large_adaptive_kernelIliDF16_DF16_ffEvbT_PKS0_N9rocsparse24const_host_device_scalarIT4_EES2_PKT0_PKT1_PKT2_S6_PT3_21rocsparse_index_base_b.uses_vcc, 1
	.set _ZL33csrmvn_symm_large_adaptive_kernelIliDF16_DF16_ffEvbT_PKS0_N9rocsparse24const_host_device_scalarIT4_EES2_PKT0_PKT1_PKT2_S6_PT3_21rocsparse_index_base_b.uses_flat_scratch, 0
	.set _ZL33csrmvn_symm_large_adaptive_kernelIliDF16_DF16_ffEvbT_PKS0_N9rocsparse24const_host_device_scalarIT4_EES2_PKT0_PKT1_PKT2_S6_PT3_21rocsparse_index_base_b.has_dyn_sized_stack, 0
	.set _ZL33csrmvn_symm_large_adaptive_kernelIliDF16_DF16_ffEvbT_PKS0_N9rocsparse24const_host_device_scalarIT4_EES2_PKT0_PKT1_PKT2_S6_PT3_21rocsparse_index_base_b.has_recursion, 0
	.set _ZL33csrmvn_symm_large_adaptive_kernelIliDF16_DF16_ffEvbT_PKS0_N9rocsparse24const_host_device_scalarIT4_EES2_PKT0_PKT1_PKT2_S6_PT3_21rocsparse_index_base_b.has_indirect_call, 0
	.section	.AMDGPU.csdata,"",@progbits
; Kernel info:
; codeLenInByte = 1408
; TotalNumSgprs: 50
; NumVgprs: 17
; NumAgprs: 0
; TotalNumVgprs: 17
; ScratchSize: 0
; MemoryBound: 0
; FloatMode: 240
; IeeeMode: 1
; LDSByteSize: 4096 bytes/workgroup (compile time only)
; SGPRBlocks: 6
; VGPRBlocks: 2
; NumSGPRsForWavesPerEU: 50
; NumVGPRsForWavesPerEU: 17
; AccumOffset: 20
; Occupancy: 8
; WaveLimiterHint : 1
; COMPUTE_PGM_RSRC2:SCRATCH_EN: 0
; COMPUTE_PGM_RSRC2:USER_SGPR: 2
; COMPUTE_PGM_RSRC2:TRAP_HANDLER: 0
; COMPUTE_PGM_RSRC2:TGID_X_EN: 1
; COMPUTE_PGM_RSRC2:TGID_Y_EN: 0
; COMPUTE_PGM_RSRC2:TGID_Z_EN: 0
; COMPUTE_PGM_RSRC2:TIDIG_COMP_CNT: 0
; COMPUTE_PGM_RSRC3_GFX90A:ACCUM_OFFSET: 4
; COMPUTE_PGM_RSRC3_GFX90A:TG_SPLIT: 0
	.section	.text._ZN9rocsparseL22csrmvn_adaptive_kernelIllDF16_DF16_ffEEvbT_PKS1_PjPKT0_NS_24const_host_device_scalarIT4_EES3_S7_PKT1_PKT2_SA_PT3_21rocsparse_index_base_b,"axG",@progbits,_ZN9rocsparseL22csrmvn_adaptive_kernelIllDF16_DF16_ffEEvbT_PKS1_PjPKT0_NS_24const_host_device_scalarIT4_EES3_S7_PKT1_PKT2_SA_PT3_21rocsparse_index_base_b,comdat
	.globl	_ZN9rocsparseL22csrmvn_adaptive_kernelIllDF16_DF16_ffEEvbT_PKS1_PjPKT0_NS_24const_host_device_scalarIT4_EES3_S7_PKT1_PKT2_SA_PT3_21rocsparse_index_base_b ; -- Begin function _ZN9rocsparseL22csrmvn_adaptive_kernelIllDF16_DF16_ffEEvbT_PKS1_PjPKT0_NS_24const_host_device_scalarIT4_EES3_S7_PKT1_PKT2_SA_PT3_21rocsparse_index_base_b
	.p2align	8
	.type	_ZN9rocsparseL22csrmvn_adaptive_kernelIllDF16_DF16_ffEEvbT_PKS1_PjPKT0_NS_24const_host_device_scalarIT4_EES3_S7_PKT1_PKT2_SA_PT3_21rocsparse_index_base_b,@function
_ZN9rocsparseL22csrmvn_adaptive_kernelIllDF16_DF16_ffEEvbT_PKS1_PjPKT0_NS_24const_host_device_scalarIT4_EES3_S7_PKT1_PKT2_SA_PT3_21rocsparse_index_base_b: ; @_ZN9rocsparseL22csrmvn_adaptive_kernelIllDF16_DF16_ffEEvbT_PKS1_PjPKT0_NS_24const_host_device_scalarIT4_EES3_S7_PKT1_PKT2_SA_PT3_21rocsparse_index_base_b
; %bb.0:
	s_load_dwordx2 s[48:49], s[0:1], 0x60
	s_load_dwordx2 s[46:47], s[0:1], 0x28
	;; [unrolled: 1-line block ×3, first 2 shown]
	s_waitcnt lgkmcnt(0)
	s_bitcmp1_b32 s49, 0
	s_cselect_b64 s[6:7], -1, 0
	s_xor_b64 s[4:5], s[6:7], -1
	s_and_b64 vcc, exec, s[6:7]
	s_cbranch_vccnz .LBB70_2
; %bb.1:
	s_load_dword s46, s[46:47], 0x0
.LBB70_2:
	s_andn2_b64 vcc, exec, s[4:5]
	s_cbranch_vccnz .LBB70_4
; %bb.3:
	s_load_dword s22, s[22:23], 0x0
.LBB70_4:
	s_waitcnt lgkmcnt(0)
	v_cmp_neq_f32_e64 s[4:5], s46, 0
	v_cmp_neq_f32_e64 s[6:7], s22, 1.0
	s_or_b64 s[4:5], s[4:5], s[6:7]
	s_andn2_b64 vcc, exec, s[4:5]
	s_cbranch_vccnz .LBB70_114
; %bb.5:
	s_load_dwordx2 s[4:5], s[0:1], 0x10
	s_load_dwordx2 s[6:7], s[0:1], 0x20
	s_ashr_i32 s3, s2, 31
	s_lshl_b64 s[8:9], s[2:3], 3
	s_waitcnt lgkmcnt(0)
	s_add_u32 s4, s4, s8
	s_addc_u32 s5, s5, s9
	s_load_dwordx4 s[36:39], s[4:5], 0x0
	s_load_dwordx2 s[34:35], s[0:1], 0x58
	s_load_dwordx8 s[24:31], s[0:1], 0x30
	s_waitcnt lgkmcnt(0)
	s_sub_u32 s4, s38, s36
	s_subb_u32 s5, s39, s37
	s_add_u32 s6, s6, s8
	s_addc_u32 s7, s7, s9
	s_lshl_b64 s[8:9], s[36:37], 3
	s_add_u32 s44, s24, s8
	s_addc_u32 s45, s25, s9
	s_load_dwordx2 s[40:41], s[6:7], 0x0
	s_load_dwordx2 s[42:43], s[44:45], 0x0
	v_cmp_lt_i64_e64 s[8:9], s[4:5], 2
	s_mov_b64 s[6:7], -1
	s_and_b64 vcc, exec, s[8:9]
	s_cbranch_vccz .LBB70_70
; %bb.6:
	s_cmp_lg_u64 s[4:5], 1
	s_cselect_b64 s[4:5], -1, 0
	s_waitcnt lgkmcnt(0)
	s_cmp_lg_u64 s[40:41], 0
	s_cselect_b64 s[6:7], -1, 0
	s_or_b64 s[4:5], s[4:5], s[6:7]
	s_mov_b64 s[18:19], -1
	s_and_b64 vcc, exec, s[4:5]
	v_cmp_gt_u32_e64 s[4:5], 64, v0
	v_cmp_gt_u32_e64 s[6:7], 32, v0
	;; [unrolled: 1-line block ×6, first 2 shown]
	v_cmp_eq_u32_e64 s[16:17], 0, v0
	s_cbranch_vccnz .LBB70_34
; %bb.7:
	v_subrev_co_u32_e32 v2, vcc, s48, v0
	v_cmp_neq_f32_e64 s[20:21], s22, 0
	s_nop 0
	v_subb_co_u32_e64 v3, s[18:19], 0, 0, vcc
	s_movk_i32 s18, 0x80
	v_cndmask_b32_e64 v4, 0, 1, s[20:21]
	v_mov_b32_e32 v1, 0
	v_lshlrev_b32_e32 v12, 2, v0
	v_cmp_gt_u32_e64 s[18:19], s18, v0
	s_mov_b64 s[50:51], 0x100
	s_mov_b64 s[52:53], 0x200
	;; [unrolled: 1-line block ×3, first 2 shown]
	v_cmp_ne_u32_e64 s[20:21], 1, v4
	v_mov_b64_e32 v[4:5], s[38:39]
	s_mov_b64 s[56:57], s[36:37]
	s_branch .LBB70_10
.LBB70_8:                               ;   in Loop: Header=BB70_10 Depth=1
	s_lshl_b64 s[60:61], s[56:57], 2
	s_add_u32 s60, s34, s60
	s_addc_u32 s61, s35, s61
	s_waitcnt lgkmcnt(0)
	global_store_dword v1, v6, s[60:61]
.LBB70_9:                               ;   in Loop: Header=BB70_10 Depth=1
	s_or_b64 exec, exec, s[58:59]
	s_add_u32 s56, s56, 1
	s_addc_u32 s57, s57, 0
	v_cmp_ge_i64_e32 vcc, s[56:57], v[4:5]
	s_cbranch_vccnz .LBB70_33
.LBB70_10:                              ; =>This Loop Header: Depth=1
                                        ;     Child Loop BB70_12 Depth 2
	s_lshl_b64 s[58:59], s[56:57], 3
	s_add_u32 s58, s24, s58
	s_addc_u32 s59, s25, s59
	s_load_dwordx4 s[60:63], s[58:59], 0x0
	v_mov_b32_e32 v13, 0
	s_waitcnt lgkmcnt(0)
	s_sub_u32 s58, s62, s48
	v_lshl_add_u64 v[6:7], s[60:61], 0, v[2:3]
	s_subb_u32 s59, s63, 0
	v_cmp_gt_i64_e32 vcc, s[58:59], v[6:7]
	s_and_saveexec_b64 s[60:61], vcc
	s_cbranch_execz .LBB70_14
; %bb.11:                               ;   in Loop: Header=BB70_10 Depth=1
	v_lshl_add_u64 v[8:9], v[6:7], 1, s[28:29]
	v_lshl_add_u64 v[10:11], v[6:7], 3, s[26:27]
	v_mov_b32_e32 v13, 0
	s_mov_b64 s[62:63], 0
.LBB70_12:                              ;   Parent Loop BB70_10 Depth=1
                                        ; =>  This Inner Loop Header: Depth=2
	global_load_dwordx2 v[14:15], v[10:11], off
	global_load_ushort v16, v[8:9], off
	v_lshl_add_u64 v[6:7], v[6:7], 0, s[50:51]
	v_lshl_add_u64 v[8:9], v[8:9], 0, s[52:53]
	;; [unrolled: 1-line block ×3, first 2 shown]
	s_waitcnt vmcnt(1)
	v_subrev_co_u32_e32 v14, vcc, s48, v14
	s_nop 1
	v_subbrev_co_u32_e32 v15, vcc, 0, v15, vcc
	v_lshl_add_u64 v[14:15], v[14:15], 1, s[30:31]
	global_load_ushort v14, v[14:15], off
	s_waitcnt vmcnt(1)
	v_cvt_f32_f16_e32 v15, v16
	v_cmp_le_i64_e32 vcc, s[58:59], v[6:7]
	s_or_b64 s[62:63], vcc, s[62:63]
	v_mul_f32_e32 v15, s46, v15
	s_waitcnt vmcnt(0)
	v_fma_mix_f32 v13, v15, v14, v13 op_sel_hi:[0,1,0]
	s_andn2_b64 exec, exec, s[62:63]
	s_cbranch_execnz .LBB70_12
; %bb.13:                               ;   in Loop: Header=BB70_10 Depth=1
	s_or_b64 exec, exec, s[62:63]
.LBB70_14:                              ;   in Loop: Header=BB70_10 Depth=1
	s_or_b64 exec, exec, s[60:61]
	ds_write_b32 v12, v13
	s_waitcnt lgkmcnt(0)
	s_barrier
	s_and_saveexec_b64 s[58:59], s[18:19]
	s_cbranch_execz .LBB70_16
; %bb.15:                               ;   in Loop: Header=BB70_10 Depth=1
	ds_read2st64_b32 v[6:7], v12 offset1:2
	s_waitcnt lgkmcnt(0)
	v_add_f32_e32 v6, v6, v7
	ds_write_b32 v12, v6
.LBB70_16:                              ;   in Loop: Header=BB70_10 Depth=1
	s_or_b64 exec, exec, s[58:59]
	s_waitcnt lgkmcnt(0)
	s_barrier
	s_and_saveexec_b64 s[58:59], s[4:5]
	s_cbranch_execz .LBB70_18
; %bb.17:                               ;   in Loop: Header=BB70_10 Depth=1
	ds_read2st64_b32 v[6:7], v12 offset1:1
	s_waitcnt lgkmcnt(0)
	v_add_f32_e32 v6, v6, v7
	ds_write_b32 v12, v6
.LBB70_18:                              ;   in Loop: Header=BB70_10 Depth=1
	s_or_b64 exec, exec, s[58:59]
	s_waitcnt lgkmcnt(0)
	s_barrier
	s_and_saveexec_b64 s[58:59], s[6:7]
	s_cbranch_execz .LBB70_20
; %bb.19:                               ;   in Loop: Header=BB70_10 Depth=1
	ds_read2_b32 v[6:7], v12 offset1:32
	s_waitcnt lgkmcnt(0)
	v_add_f32_e32 v6, v6, v7
	ds_write_b32 v12, v6
.LBB70_20:                              ;   in Loop: Header=BB70_10 Depth=1
	s_or_b64 exec, exec, s[58:59]
	s_waitcnt lgkmcnt(0)
	s_barrier
	s_and_saveexec_b64 s[58:59], s[8:9]
	s_cbranch_execz .LBB70_22
; %bb.21:                               ;   in Loop: Header=BB70_10 Depth=1
	ds_read2_b32 v[6:7], v12 offset1:16
	s_waitcnt lgkmcnt(0)
	v_add_f32_e32 v6, v6, v7
	ds_write_b32 v12, v6
.LBB70_22:                              ;   in Loop: Header=BB70_10 Depth=1
	;; [unrolled: 11-line block ×5, first 2 shown]
	s_or_b64 exec, exec, s[58:59]
	s_waitcnt lgkmcnt(0)
	s_barrier
	s_and_saveexec_b64 s[58:59], s[16:17]
	s_cbranch_execz .LBB70_30
; %bb.29:                               ;   in Loop: Header=BB70_10 Depth=1
	ds_read_b64 v[6:7], v1
	s_waitcnt lgkmcnt(0)
	v_add_f32_e32 v6, v6, v7
	ds_write_b32 v1, v6
.LBB70_30:                              ;   in Loop: Header=BB70_10 Depth=1
	s_or_b64 exec, exec, s[58:59]
	s_waitcnt lgkmcnt(0)
	s_barrier
	s_and_saveexec_b64 s[58:59], s[16:17]
	s_cbranch_execz .LBB70_9
; %bb.31:                               ;   in Loop: Header=BB70_10 Depth=1
	ds_read_b32 v6, v1
	s_and_b64 vcc, exec, s[20:21]
	s_cbranch_vccnz .LBB70_8
; %bb.32:                               ;   in Loop: Header=BB70_10 Depth=1
	s_lshl_b64 s[60:61], s[56:57], 2
	s_add_u32 s60, s34, s60
	s_addc_u32 s61, s35, s61
	global_load_dword v7, v1, s[60:61]
	s_waitcnt vmcnt(0) lgkmcnt(0)
	v_fmac_f32_e32 v6, s22, v7
	s_branch .LBB70_8
.LBB70_33:
	s_mov_b64 s[18:19], 0
.LBB70_34:
	s_and_b64 vcc, exec, s[18:19]
	s_cbranch_vccz .LBB70_69
; %bb.35:
	s_load_dwordx2 s[6:7], s[0:1], 0x18
	s_sub_u32 s8, s2, s40
	s_subb_u32 s9, s3, s41
	s_lshl_b64 s[2:3], s[2:3], 2
	v_mov_b32_e32 v1, 0
	s_waitcnt lgkmcnt(0)
	s_add_u32 s4, s6, s2
	s_addc_u32 s5, s7, s3
	global_load_dword v8, v1, s[4:5]
	s_cmp_lg_u64 s[40:41], 0
	s_cselect_b64 s[10:11], -1, 0
	s_cmp_eq_u64 s[40:41], 0
	s_cselect_b64 s[2:3], -1, 0
	v_cmp_eq_u32_e32 vcc, 0, v0
	s_and_b64 s[2:3], vcc, s[2:3]
	v_mov_b32_e32 v9, 0
	s_and_saveexec_b64 s[12:13], s[2:3]
	s_cbranch_execz .LBB70_39
; %bb.36:
	s_lshl_b64 s[2:3], s[36:37], 2
	s_add_u32 s2, s34, s2
	s_addc_u32 s3, s35, s3
	v_mov_b32_e32 v4, 0
	global_load_dword v2, v4, s[2:3]
	s_mov_b64 s[14:15], exec
	v_mbcnt_lo_u32_b32 v5, s14, 0
	v_mbcnt_hi_u32_b32 v5, s15, v5
	v_add_f32_e64 v3, s22, -1.0
	v_cmp_eq_u32_e64 s[2:3], 0, v5
	s_waitcnt vmcnt(0) expcnt(0) lgkmcnt(0)
	s_and_saveexec_b64 s[16:17], s[2:3]
	s_cbranch_execz .LBB70_38
; %bb.37:
	s_lshl_b64 s[2:3], s[8:9], 2
	s_add_u32 s2, s6, s2
	s_addc_u32 s3, s7, s3
	s_bcnt1_i32_b64 s14, s[14:15]
	s_and_b32 s14, s14, 1
	v_mov_b32_e32 v5, s14
	global_atomic_xor v4, v5, s[2:3]
.LBB70_38:
	s_or_b64 exec, exec, s[16:17]
	v_mul_f32_e32 v9, v3, v2
.LBB70_39:
	s_or_b64 exec, exec, s[12:13]
	s_mul_i32 s2, s41, 0xc00
	s_mul_hi_u32 s3, s40, 0xc00
	s_add_i32 s12, s3, s2
	s_load_dwordx2 s[2:3], s[44:45], 0x8
	s_sub_u32 s14, s42, s48
	s_mul_i32 s13, s40, 0xc00
	s_subb_u32 s15, s43, 0
	s_add_u32 s16, s14, s13
	s_addc_u32 s17, s15, s12
	s_waitcnt lgkmcnt(0)
	s_sub_u32 s14, s2, s48
	s_subb_u32 s15, s3, 0
	v_lshl_add_u64 v[2:3], s[16:17], 0, v[0:1]
	v_cmp_gt_i64_e64 s[2:3], s[14:15], v[2:3]
	s_and_saveexec_b64 s[12:13], s[2:3]
	s_cbranch_execz .LBB70_43
; %bb.40:
	s_add_u32 s16, s16, 0xc00
	s_addc_u32 s17, s17, 0
	v_mov_b64_e32 v[4:5], s[14:15]
	v_cmp_lt_i64_e64 s[2:3], s[16:17], v[4:5]
	s_and_b64 s[2:3], s[2:3], exec
	s_cselect_b32 s15, s17, s15
	s_cselect_b32 s14, s16, s14
	v_lshl_add_u64 v[4:5], v[2:3], 1, s[28:29]
	v_lshl_add_u64 v[6:7], v[2:3], 3, s[26:27]
	s_mov_b64 s[16:17], 0
	s_mov_b64 s[18:19], 0x100
	;; [unrolled: 1-line block ×4, first 2 shown]
.LBB70_41:                              ; =>This Inner Loop Header: Depth=1
	global_load_dwordx2 v[10:11], v[6:7], off
	global_load_ushort v1, v[4:5], off
	v_lshl_add_u64 v[2:3], v[2:3], 0, s[18:19]
	v_lshl_add_u64 v[4:5], v[4:5], 0, s[20:21]
	;; [unrolled: 1-line block ×3, first 2 shown]
	s_waitcnt vmcnt(1)
	v_subrev_co_u32_e64 v10, s[2:3], s48, v10
	s_nop 1
	v_subbrev_co_u32_e64 v11, s[2:3], 0, v11, s[2:3]
	v_lshl_add_u64 v[10:11], v[10:11], 1, s[30:31]
	global_load_ushort v10, v[10:11], off
	s_waitcnt vmcnt(1)
	v_cvt_f32_f16_e32 v1, v1
	v_cmp_le_i64_e64 s[2:3], s[14:15], v[2:3]
	s_or_b64 s[16:17], s[2:3], s[16:17]
	v_mul_f32_e32 v1, s46, v1
	s_waitcnt vmcnt(0)
	v_fma_mix_f32 v9, v1, v10, v9 op_sel_hi:[0,1,0]
	s_andn2_b64 exec, exec, s[16:17]
	s_cbranch_execnz .LBB70_41
; %bb.42:
	s_or_b64 exec, exec, s[16:17]
.LBB70_43:
	s_or_b64 exec, exec, s[12:13]
	s_movk_i32 s2, 0x80
	v_lshlrev_b32_e32 v1, 2, v0
	v_cmp_gt_u32_e64 s[2:3], s2, v0
	ds_write_b32 v1, v9
	s_waitcnt lgkmcnt(0)
	s_barrier
	s_and_saveexec_b64 s[12:13], s[2:3]
	s_cbranch_execz .LBB70_45
; %bb.44:
	ds_read2st64_b32 v[2:3], v1 offset1:2
	s_waitcnt lgkmcnt(0)
	v_add_f32_e32 v2, v2, v3
	ds_write_b32 v1, v2
.LBB70_45:
	s_or_b64 exec, exec, s[12:13]
	v_cmp_gt_u32_e64 s[2:3], 64, v0
	s_waitcnt lgkmcnt(0)
	s_barrier
	s_and_saveexec_b64 s[12:13], s[2:3]
	s_cbranch_execz .LBB70_47
; %bb.46:
	ds_read2st64_b32 v[2:3], v1 offset1:1
	s_waitcnt lgkmcnt(0)
	v_add_f32_e32 v2, v2, v3
	ds_write_b32 v1, v2
.LBB70_47:
	s_or_b64 exec, exec, s[12:13]
	v_cmp_gt_u32_e64 s[2:3], 32, v0
	s_waitcnt lgkmcnt(0)
	s_barrier
	s_and_saveexec_b64 s[12:13], s[2:3]
	s_cbranch_execz .LBB70_49
; %bb.48:
	ds_read2_b32 v[2:3], v1 offset1:32
	s_waitcnt lgkmcnt(0)
	v_add_f32_e32 v2, v2, v3
	ds_write_b32 v1, v2
.LBB70_49:
	s_or_b64 exec, exec, s[12:13]
	v_cmp_gt_u32_e64 s[2:3], 16, v0
	s_waitcnt lgkmcnt(0)
	s_barrier
	s_and_saveexec_b64 s[12:13], s[2:3]
	s_cbranch_execz .LBB70_51
; %bb.50:
	ds_read2_b32 v[2:3], v1 offset1:16
	s_waitcnt lgkmcnt(0)
	v_add_f32_e32 v2, v2, v3
	ds_write_b32 v1, v2
.LBB70_51:
	;; [unrolled: 12-line block ×5, first 2 shown]
	s_or_b64 exec, exec, s[12:13]
	s_waitcnt lgkmcnt(0)
	s_barrier
	s_and_saveexec_b64 s[2:3], vcc
	s_cbranch_execz .LBB70_59
; %bb.58:
	v_mov_b32_e32 v1, 0
	ds_read_b64 v[2:3], v1
	s_waitcnt lgkmcnt(0)
	v_add_f32_e32 v2, v2, v3
	ds_write_b32 v1, v2
.LBB70_59:
	s_or_b64 exec, exec, s[2:3]
	s_waitcnt lgkmcnt(0)
	s_barrier
	s_and_saveexec_b64 s[2:3], vcc
	s_cbranch_execz .LBB70_68
; %bb.60:
	s_andn2_b64 vcc, exec, s[10:11]
	s_cbranch_vccnz .LBB70_66
; %bb.61:
	s_lshl_b64 s[8:9], s[8:9], 2
	s_add_u32 s6, s6, s8
	s_addc_u32 s7, s7, s9
	v_mov_b32_e32 v1, 0
	s_branch .LBB70_63
.LBB70_62:                              ;   in Loop: Header=BB70_63 Depth=1
	s_or_b64 exec, exec, s[8:9]
	s_waitcnt vmcnt(0)
	v_readfirstlane_b32 s8, v2
	s_nop 1
	v_cmp_eq_u32_e32 vcc, s8, v8
	s_cbranch_vccz .LBB70_65
.LBB70_63:                              ; =>This Inner Loop Header: Depth=1
	v_mbcnt_lo_u32_b32 v2, exec_lo, 0
	v_mbcnt_hi_u32_b32 v2, exec_hi, v2
	v_cmp_eq_u32_e32 vcc, 0, v2
                                        ; implicit-def: $vgpr2
	s_and_saveexec_b64 s[8:9], vcc
	s_cbranch_execz .LBB70_62
; %bb.64:                               ;   in Loop: Header=BB70_63 Depth=1
	global_load_dword v2, v1, s[6:7] sc1
	s_branch .LBB70_62
.LBB70_65:
	v_mov_b32_e32 v1, 0
	global_load_ushort v2, v1, s[4:5]
	s_waitcnt vmcnt(0)
	v_xor_b32_e32 v2, 1, v2
	global_store_short v1, v2, s[4:5]
.LBB70_66:
	s_mov_b64 s[4:5], exec
	v_mbcnt_lo_u32_b32 v1, s4, 0
	v_mbcnt_hi_u32_b32 v1, s5, v1
	v_cmp_eq_u32_e32 vcc, 0, v1
	s_and_b64 s[6:7], exec, vcc
	s_mov_b64 exec, s[6:7]
	s_cbranch_execz .LBB70_68
; %bb.67:
	v_mov_b32_e32 v1, 0
	ds_read_b32 v2, v1
	s_lshl_b64 s[6:7], s[36:37], 2
	s_add_u32 s6, s34, s6
	s_addc_u32 s7, s35, s7
	s_bcnt1_i32_b64 s4, s[4:5]
	v_cvt_f32_ubyte0_e32 v3, s4
	s_waitcnt lgkmcnt(0)
	v_mul_f32_e32 v2, v2, v3
	global_atomic_add_f32 v1, v2, s[6:7]
.LBB70_68:
	s_or_b64 exec, exec, s[2:3]
.LBB70_69:
	s_mov_b64 s[6:7], 0
.LBB70_70:
	s_andn2_b64 vcc, exec, s[6:7]
	s_cbranch_vccnz .LBB70_114
; %bb.71:
	s_load_dwordx2 s[0:1], s[0:1], 0x8
	v_subrev_co_u32_e32 v2, vcc, s48, v0
	v_mov_b32_e32 v1, 0
	s_nop 0
	v_subb_co_u32_e64 v3, s[2:3], 0, 0, vcc
	s_waitcnt lgkmcnt(0)
	v_lshl_add_u64 v[2:3], s[42:43], 0, v[2:3]
	s_mov_b64 s[2:3], 0x300
	v_lshl_add_u64 v[4:5], v[2:3], 0, s[2:3]
	v_cmp_le_i64_e32 vcc, s[0:1], v[4:5]
	s_and_saveexec_b64 s[0:1], vcc
	s_xor_b64 s[0:1], exec, s[0:1]
	s_cbranch_execz .LBB70_76
; %bb.72:
	s_lshl_b64 s[2:3], s[38:39], 3
	s_add_u32 s2, s24, s2
	s_addc_u32 s3, s25, s3
	s_load_dwordx2 s[2:3], s[2:3], 0x0
	s_waitcnt lgkmcnt(0)
	s_sub_u32 s2, s2, s48
	s_subb_u32 s3, s3, 0
	v_cmp_gt_i64_e32 vcc, s[2:3], v[2:3]
	s_and_saveexec_b64 s[4:5], vcc
	s_cbranch_execz .LBB70_75
; %bb.73:
	s_waitcnt vmcnt(0)
	v_lshlrev_b32_e32 v8, 2, v0
	v_lshl_add_u64 v[4:5], v[2:3], 1, s[28:29]
	v_lshl_add_u64 v[6:7], v[2:3], 3, s[26:27]
	s_mov_b64 s[6:7], 0
	s_mov_b64 s[8:9], 0x100
	;; [unrolled: 1-line block ×4, first 2 shown]
.LBB70_74:                              ; =>This Inner Loop Header: Depth=1
	global_load_dwordx2 v[10:11], v[6:7], off
	global_load_ushort v9, v[4:5], off
	v_lshl_add_u64 v[2:3], v[2:3], 0, s[8:9]
	v_lshl_add_u64 v[4:5], v[4:5], 0, s[10:11]
	;; [unrolled: 1-line block ×3, first 2 shown]
	s_waitcnt vmcnt(1)
	v_subrev_co_u32_e32 v10, vcc, s48, v10
	s_nop 1
	v_subbrev_co_u32_e32 v11, vcc, 0, v11, vcc
	v_lshl_add_u64 v[10:11], v[10:11], 1, s[30:31]
	global_load_ushort v10, v[10:11], off
	s_waitcnt vmcnt(1)
	v_cvt_f32_f16_e32 v9, v9
	v_cmp_le_i64_e32 vcc, s[2:3], v[2:3]
	s_or_b64 s[6:7], vcc, s[6:7]
	v_mul_f32_e32 v9, s46, v9
	s_waitcnt vmcnt(0)
	v_cvt_f32_f16_e32 v10, v10
	v_mul_f32_e32 v9, v9, v10
	ds_write_b32 v8, v9
	v_add_u32_e32 v8, 0x400, v8
	s_andn2_b64 exec, exec, s[6:7]
	s_cbranch_execnz .LBB70_74
.LBB70_75:
	s_or_b64 exec, exec, s[4:5]
                                        ; implicit-def: $vgpr2_vgpr3
.LBB70_76:
	s_or_saveexec_b64 s[0:1], s[0:1]
	v_lshlrev_b32_e32 v10, 2, v0
	s_xor_b64 exec, exec, s[0:1]
	s_cbranch_execz .LBB70_78
; %bb.77:
	v_lshl_add_u64 v[4:5], v[2:3], 3, s[26:27]
	global_load_dwordx2 v[6:7], v[4:5], off
	global_load_dwordx2 v[8:9], v[4:5], off offset:2048
	s_movk_i32 s2, 0x1000
	v_add_co_u32_e32 v4, vcc, s2, v4
	v_lshl_add_u64 v[2:3], v[2:3], 1, s[28:29]
	s_nop 0
	v_addc_co_u32_e32 v5, vcc, 0, v5, vcc
	global_load_dwordx2 v[12:13], v[4:5], off
	global_load_dwordx2 v[14:15], v[4:5], off offset:2048
	global_load_ushort v11, v[2:3], off
	global_load_ushort v16, v[2:3], off offset:512
	global_load_ushort v17, v[2:3], off offset:1024
	;; [unrolled: 1-line block ×3, first 2 shown]
	s_waitcnt vmcnt(7)
	v_subrev_co_u32_e32 v2, vcc, s48, v6
	s_nop 1
	v_subbrev_co_u32_e32 v3, vcc, 0, v7, vcc
	s_waitcnt vmcnt(6)
	v_subrev_co_u32_e32 v4, vcc, s48, v8
	v_lshl_add_u64 v[2:3], v[2:3], 1, s[30:31]
	s_nop 0
	v_subbrev_co_u32_e32 v5, vcc, 0, v9, vcc
	s_waitcnt vmcnt(5)
	v_subrev_co_u32_e32 v6, vcc, s48, v12
	v_lshl_add_u64 v[4:5], v[4:5], 1, s[30:31]
	s_nop 0
	v_subbrev_co_u32_e32 v7, vcc, 0, v13, vcc
	s_waitcnt vmcnt(4)
	v_subrev_co_u32_e32 v8, vcc, s48, v14
	global_load_ushort v12, v[2:3], off
	global_load_ushort v13, v[4:5], off
	v_subbrev_co_u32_e32 v9, vcc, 0, v15, vcc
	v_lshl_add_u64 v[2:3], v[6:7], 1, s[30:31]
	v_lshl_add_u64 v[4:5], v[8:9], 1, s[30:31]
	global_load_ushort v6, v[2:3], off
	global_load_ushort v7, v[4:5], off
	s_waitcnt vmcnt(7)
	v_cvt_f32_f16_e32 v2, v11
	s_waitcnt vmcnt(6)
	v_cvt_f32_f16_e32 v3, v16
	;; [unrolled: 2-line block ×4, first 2 shown]
	v_mul_f32_e32 v2, s46, v2
	v_mul_f32_e32 v3, s46, v3
	;; [unrolled: 1-line block ×4, first 2 shown]
	s_waitcnt vmcnt(3)
	v_cvt_f32_f16_e32 v8, v12
	s_waitcnt vmcnt(2)
	v_cvt_f32_f16_e32 v9, v13
	v_mul_f32_e32 v2, v2, v8
	s_waitcnt vmcnt(1)
	v_cvt_f32_f16_e32 v6, v6
	s_waitcnt vmcnt(0)
	v_cvt_f32_f16_e32 v7, v7
	v_mul_f32_e32 v3, v3, v9
	ds_write2st64_b32 v10, v2, v3 offset1:4
	v_mul_f32_e32 v2, v4, v6
	v_mul_f32_e32 v3, v5, v7
	ds_write2st64_b32 v10, v2, v3 offset0:8 offset1:12
.LBB70_78:
	s_or_b64 exec, exec, s[0:1]
	v_cmp_lt_i64_e64 s[2:3], s[40:41], 2
	s_mov_b64 s[0:1], -1
	s_and_b64 vcc, exec, s[2:3]
	s_waitcnt lgkmcnt(0)
	s_barrier
	s_cbranch_vccz .LBB70_89
; %bb.79:
	v_lshl_add_u64 v[6:7], s[36:37], 0, v[0:1]
	v_cmp_gt_i64_e32 vcc, s[38:39], v[6:7]
	s_and_saveexec_b64 s[0:1], vcc
	s_cbranch_execz .LBB70_88
; %bb.80:
	s_lshl_b32 s4, s42, 2
	v_cmp_neq_f32_e64 s[2:3], s22, 0
	s_sub_i32 s12, 0, s4
	s_mov_b64 s[4:5], 0
	s_mov_b64 s[6:7], 0x100
	s_branch .LBB70_82
.LBB70_81:                              ;   in Loop: Header=BB70_82 Depth=1
	v_lshl_add_u64 v[6:7], v[6:7], 0, s[6:7]
	v_cmp_le_i64_e32 vcc, s[38:39], v[6:7]
	s_or_b64 s[4:5], vcc, s[4:5]
	global_store_dword v[2:3], v1, off
	s_andn2_b64 exec, exec, s[4:5]
	s_cbranch_execz .LBB70_88
.LBB70_82:                              ; =>This Loop Header: Depth=1
                                        ;     Child Loop BB70_84 Depth 2
	v_lshl_add_u64 v[2:3], v[6:7], 3, s[24:25]
	global_load_dwordx4 v[2:5], v[2:3], off
	v_mov_b32_e32 v1, 0
	s_waitcnt vmcnt(0)
	v_cmp_lt_i64_e32 vcc, v[2:3], v[4:5]
	s_and_saveexec_b64 s[8:9], vcc
	s_cbranch_execz .LBB70_86
; %bb.83:                               ;   in Loop: Header=BB70_82 Depth=1
	v_mov_b32_e32 v1, s43
	v_subrev_co_u32_e32 v4, vcc, s42, v4
	s_mov_b64 s[10:11], 0
	s_nop 0
	v_subb_co_u32_e32 v5, vcc, v5, v1, vcc
	v_subrev_co_u32_e32 v8, vcc, s42, v2
	v_lshl_add_u32 v2, v2, 2, s12
	s_nop 0
	v_subb_co_u32_e32 v9, vcc, v3, v1, vcc
	v_mov_b32_e32 v1, 0
.LBB70_84:                              ;   Parent Loop BB70_82 Depth=1
                                        ; =>  This Inner Loop Header: Depth=2
	ds_read_b32 v3, v2
	v_lshl_add_u64 v[8:9], v[8:9], 0, 1
	v_cmp_ge_i64_e32 vcc, v[8:9], v[4:5]
	v_add_u32_e32 v2, 4, v2
	s_or_b64 s[10:11], vcc, s[10:11]
	s_waitcnt lgkmcnt(0)
	v_add_f32_e32 v1, v1, v3
	s_andn2_b64 exec, exec, s[10:11]
	s_cbranch_execnz .LBB70_84
; %bb.85:                               ;   in Loop: Header=BB70_82 Depth=1
	s_or_b64 exec, exec, s[10:11]
.LBB70_86:                              ;   in Loop: Header=BB70_82 Depth=1
	s_or_b64 exec, exec, s[8:9]
	s_and_b64 vcc, exec, s[2:3]
	v_lshl_add_u64 v[2:3], v[6:7], 2, s[34:35]
	s_cbranch_vccz .LBB70_81
; %bb.87:                               ;   in Loop: Header=BB70_82 Depth=1
	global_load_dword v4, v[2:3], off
	s_waitcnt vmcnt(0)
	v_fmac_f32_e32 v1, s22, v4
	s_branch .LBB70_81
.LBB70_88:
	s_or_b64 exec, exec, s[0:1]
	s_mov_b64 s[0:1], 0
.LBB70_89:
	s_andn2_b64 vcc, exec, s[0:1]
	s_cbranch_vccnz .LBB70_114
; %bb.90:
	s_flbit_i32_b32 s0, s40
	s_min_u32 s0, s0, 32
	s_sub_i32 s0, 31, s0
	v_lshrrev_b32_e32 v4, s0, v0
	v_mov_b32_e32 v5, 0
	v_lshl_add_u64 v[2:3], s[36:37], 0, v[4:5]
	s_add_i32 s0, s40, -1
	v_and_b32_e32 v0, s0, v0
	v_mov_b32_e32 v1, v5
	v_cmp_le_i64_e64 s[0:1], s[38:39], v[2:3]
	v_cmp_gt_i64_e32 vcc, s[38:39], v[2:3]
	s_and_saveexec_b64 s[2:3], vcc
	s_cbranch_execz .LBB70_96
; %bb.91:
	v_lshlrev_b32_e32 v4, 3, v4
	global_load_dwordx4 v[4:7], v4, s[44:45]
	v_mov_b32_e32 v9, s43
	s_waitcnt vmcnt(1)
	v_subrev_co_u32_e32 v8, vcc, s42, v0
	v_mov_b32_e32 v11, s43
	s_nop 0
	v_subb_co_u32_e32 v9, vcc, 0, v9, vcc
	s_waitcnt vmcnt(0)
	v_subrev_co_u32_e32 v6, vcc, s42, v6
	s_nop 1
	v_subb_co_u32_e32 v7, vcc, v7, v11, vcc
	v_lshl_add_u64 v[8:9], v[4:5], 0, v[8:9]
	v_cmp_lt_i64_e32 vcc, v[8:9], v[6:7]
	v_mov_b32_e32 v5, 0
	s_and_saveexec_b64 s[4:5], vcc
	s_cbranch_execz .LBB70_95
; %bb.92:
	v_lshlrev_b32_e32 v4, 2, v8
	s_lshl_b32 s8, s40, 2
	v_mov_b32_e32 v5, 0
	s_mov_b64 s[6:7], 0
.LBB70_93:                              ; =>This Inner Loop Header: Depth=1
	ds_read_b32 v11, v4
	v_lshl_add_u64 v[8:9], v[8:9], 0, s[40:41]
	v_cmp_ge_i64_e32 vcc, v[8:9], v[6:7]
	v_add_u32_e32 v4, s8, v4
	s_or_b64 s[6:7], vcc, s[6:7]
	s_waitcnt lgkmcnt(0)
	v_add_f32_e32 v5, v5, v11
	s_andn2_b64 exec, exec, s[6:7]
	s_cbranch_execnz .LBB70_93
; %bb.94:
	s_or_b64 exec, exec, s[6:7]
.LBB70_95:
	s_or_b64 exec, exec, s[4:5]
.LBB70_96:
	s_or_b64 exec, exec, s[2:3]
	v_mov_b64_e32 v[6:7], 0x81
	v_cmp_lt_u64_e32 vcc, s[40:41], v[6:7]
	s_and_b64 vcc, exec, vcc
	s_barrier
	ds_write_b32 v10, v5
	s_waitcnt lgkmcnt(0)
	s_barrier
	s_cbranch_vccnz .LBB70_98
; %bb.97:
	ds_read_b32 v4, v10 offset:512
	s_waitcnt lgkmcnt(0)
	s_barrier
	v_add_f32_e32 v5, v5, v4
	ds_write_b32 v10, v5
.LBB70_98:
	v_mov_b64_e32 v[6:7], 0x41
	v_cmp_lt_u64_e32 vcc, s[40:41], v[6:7]
	s_waitcnt lgkmcnt(0)
	s_barrier
	s_cbranch_vccnz .LBB70_100
; %bb.99:
	ds_read_b32 v4, v10 offset:256
	s_waitcnt lgkmcnt(0)
	s_barrier
	v_add_f32_e32 v5, v5, v4
	ds_write_b32 v10, v5
.LBB70_100:
	v_cmp_lt_u64_e64 s[2:3], s[40:41], 33
	s_and_b64 vcc, exec, s[2:3]
	s_waitcnt lgkmcnt(0)
	s_barrier
	s_cbranch_vccnz .LBB70_102
; %bb.101:
	ds_read_b32 v4, v10 offset:128
	s_waitcnt lgkmcnt(0)
	s_barrier
	v_add_f32_e32 v5, v5, v4
	ds_write_b32 v10, v5
.LBB70_102:
	v_cmp_lt_u64_e64 s[2:3], s[40:41], 17
	s_and_b64 vcc, exec, s[2:3]
	;; [unrolled: 12-line block ×4, first 2 shown]
	s_waitcnt lgkmcnt(0)
	s_barrier
	s_cbranch_vccnz .LBB70_108
; %bb.107:
	ds_read_b32 v4, v10 offset:16
	s_waitcnt lgkmcnt(0)
	s_barrier
	v_add_f32_e32 v5, v5, v4
	ds_write_b32 v10, v5
.LBB70_108:
	s_cmp_eq_u64 s[40:41], 2
	s_waitcnt lgkmcnt(0)
	s_barrier
	s_cbranch_scc1 .LBB70_110
; %bb.109:
	ds_read_b32 v4, v10 offset:8
	s_waitcnt lgkmcnt(0)
	s_barrier
	v_add_f32_e32 v5, v5, v4
	ds_write_b32 v10, v5
.LBB70_110:
	s_waitcnt lgkmcnt(0)
	s_barrier
	ds_read_b32 v4, v10 offset:4
	v_cmp_eq_u64_e32 vcc, 0, v[0:1]
	s_xor_b64 s[0:1], s[0:1], -1
	s_and_b64 s[0:1], vcc, s[0:1]
	s_waitcnt lgkmcnt(0)
	v_add_f32_e32 v4, v5, v4
	s_barrier
	ds_write_b32 v10, v4
	s_and_saveexec_b64 s[2:3], s[0:1]
	s_cbranch_execz .LBB70_114
; %bb.111:
	v_cmp_eq_f32_e64 s[0:1], s22, 0
	s_and_b64 vcc, exec, s[0:1]
	v_lshl_add_u64 v[0:1], v[2:3], 2, s[34:35]
	s_cbranch_vccnz .LBB70_113
; %bb.112:
	global_load_dword v2, v[0:1], off
	s_waitcnt vmcnt(0)
	v_fmac_f32_e32 v4, s22, v2
.LBB70_113:
	global_store_dword v[0:1], v4, off
.LBB70_114:
	s_endpgm
	.section	.rodata,"a",@progbits
	.p2align	6, 0x0
	.amdhsa_kernel _ZN9rocsparseL22csrmvn_adaptive_kernelIllDF16_DF16_ffEEvbT_PKS1_PjPKT0_NS_24const_host_device_scalarIT4_EES3_S7_PKT1_PKT2_SA_PT3_21rocsparse_index_base_b
		.amdhsa_group_segment_fixed_size 4096
		.amdhsa_private_segment_fixed_size 0
		.amdhsa_kernarg_size 104
		.amdhsa_user_sgpr_count 2
		.amdhsa_user_sgpr_dispatch_ptr 0
		.amdhsa_user_sgpr_queue_ptr 0
		.amdhsa_user_sgpr_kernarg_segment_ptr 1
		.amdhsa_user_sgpr_dispatch_id 0
		.amdhsa_user_sgpr_kernarg_preload_length 0
		.amdhsa_user_sgpr_kernarg_preload_offset 0
		.amdhsa_user_sgpr_private_segment_size 0
		.amdhsa_uses_dynamic_stack 0
		.amdhsa_enable_private_segment 0
		.amdhsa_system_sgpr_workgroup_id_x 1
		.amdhsa_system_sgpr_workgroup_id_y 0
		.amdhsa_system_sgpr_workgroup_id_z 0
		.amdhsa_system_sgpr_workgroup_info 0
		.amdhsa_system_vgpr_workitem_id 0
		.amdhsa_next_free_vgpr 19
		.amdhsa_next_free_sgpr 64
		.amdhsa_accum_offset 20
		.amdhsa_reserve_vcc 1
		.amdhsa_float_round_mode_32 0
		.amdhsa_float_round_mode_16_64 0
		.amdhsa_float_denorm_mode_32 3
		.amdhsa_float_denorm_mode_16_64 3
		.amdhsa_dx10_clamp 1
		.amdhsa_ieee_mode 1
		.amdhsa_fp16_overflow 0
		.amdhsa_tg_split 0
		.amdhsa_exception_fp_ieee_invalid_op 0
		.amdhsa_exception_fp_denorm_src 0
		.amdhsa_exception_fp_ieee_div_zero 0
		.amdhsa_exception_fp_ieee_overflow 0
		.amdhsa_exception_fp_ieee_underflow 0
		.amdhsa_exception_fp_ieee_inexact 0
		.amdhsa_exception_int_div_zero 0
	.end_amdhsa_kernel
	.section	.text._ZN9rocsparseL22csrmvn_adaptive_kernelIllDF16_DF16_ffEEvbT_PKS1_PjPKT0_NS_24const_host_device_scalarIT4_EES3_S7_PKT1_PKT2_SA_PT3_21rocsparse_index_base_b,"axG",@progbits,_ZN9rocsparseL22csrmvn_adaptive_kernelIllDF16_DF16_ffEEvbT_PKS1_PjPKT0_NS_24const_host_device_scalarIT4_EES3_S7_PKT1_PKT2_SA_PT3_21rocsparse_index_base_b,comdat
.Lfunc_end70:
	.size	_ZN9rocsparseL22csrmvn_adaptive_kernelIllDF16_DF16_ffEEvbT_PKS1_PjPKT0_NS_24const_host_device_scalarIT4_EES3_S7_PKT1_PKT2_SA_PT3_21rocsparse_index_base_b, .Lfunc_end70-_ZN9rocsparseL22csrmvn_adaptive_kernelIllDF16_DF16_ffEEvbT_PKS1_PjPKT0_NS_24const_host_device_scalarIT4_EES3_S7_PKT1_PKT2_SA_PT3_21rocsparse_index_base_b
                                        ; -- End function
	.set _ZN9rocsparseL22csrmvn_adaptive_kernelIllDF16_DF16_ffEEvbT_PKS1_PjPKT0_NS_24const_host_device_scalarIT4_EES3_S7_PKT1_PKT2_SA_PT3_21rocsparse_index_base_b.num_vgpr, 19
	.set _ZN9rocsparseL22csrmvn_adaptive_kernelIllDF16_DF16_ffEEvbT_PKS1_PjPKT0_NS_24const_host_device_scalarIT4_EES3_S7_PKT1_PKT2_SA_PT3_21rocsparse_index_base_b.num_agpr, 0
	.set _ZN9rocsparseL22csrmvn_adaptive_kernelIllDF16_DF16_ffEEvbT_PKS1_PjPKT0_NS_24const_host_device_scalarIT4_EES3_S7_PKT1_PKT2_SA_PT3_21rocsparse_index_base_b.numbered_sgpr, 64
	.set _ZN9rocsparseL22csrmvn_adaptive_kernelIllDF16_DF16_ffEEvbT_PKS1_PjPKT0_NS_24const_host_device_scalarIT4_EES3_S7_PKT1_PKT2_SA_PT3_21rocsparse_index_base_b.num_named_barrier, 0
	.set _ZN9rocsparseL22csrmvn_adaptive_kernelIllDF16_DF16_ffEEvbT_PKS1_PjPKT0_NS_24const_host_device_scalarIT4_EES3_S7_PKT1_PKT2_SA_PT3_21rocsparse_index_base_b.private_seg_size, 0
	.set _ZN9rocsparseL22csrmvn_adaptive_kernelIllDF16_DF16_ffEEvbT_PKS1_PjPKT0_NS_24const_host_device_scalarIT4_EES3_S7_PKT1_PKT2_SA_PT3_21rocsparse_index_base_b.uses_vcc, 1
	.set _ZN9rocsparseL22csrmvn_adaptive_kernelIllDF16_DF16_ffEEvbT_PKS1_PjPKT0_NS_24const_host_device_scalarIT4_EES3_S7_PKT1_PKT2_SA_PT3_21rocsparse_index_base_b.uses_flat_scratch, 0
	.set _ZN9rocsparseL22csrmvn_adaptive_kernelIllDF16_DF16_ffEEvbT_PKS1_PjPKT0_NS_24const_host_device_scalarIT4_EES3_S7_PKT1_PKT2_SA_PT3_21rocsparse_index_base_b.has_dyn_sized_stack, 0
	.set _ZN9rocsparseL22csrmvn_adaptive_kernelIllDF16_DF16_ffEEvbT_PKS1_PjPKT0_NS_24const_host_device_scalarIT4_EES3_S7_PKT1_PKT2_SA_PT3_21rocsparse_index_base_b.has_recursion, 0
	.set _ZN9rocsparseL22csrmvn_adaptive_kernelIllDF16_DF16_ffEEvbT_PKS1_PjPKT0_NS_24const_host_device_scalarIT4_EES3_S7_PKT1_PKT2_SA_PT3_21rocsparse_index_base_b.has_indirect_call, 0
	.section	.AMDGPU.csdata,"",@progbits
; Kernel info:
; codeLenInByte = 3896
; TotalNumSgprs: 70
; NumVgprs: 19
; NumAgprs: 0
; TotalNumVgprs: 19
; ScratchSize: 0
; MemoryBound: 0
; FloatMode: 240
; IeeeMode: 1
; LDSByteSize: 4096 bytes/workgroup (compile time only)
; SGPRBlocks: 8
; VGPRBlocks: 2
; NumSGPRsForWavesPerEU: 70
; NumVGPRsForWavesPerEU: 19
; AccumOffset: 20
; Occupancy: 8
; WaveLimiterHint : 1
; COMPUTE_PGM_RSRC2:SCRATCH_EN: 0
; COMPUTE_PGM_RSRC2:USER_SGPR: 2
; COMPUTE_PGM_RSRC2:TRAP_HANDLER: 0
; COMPUTE_PGM_RSRC2:TGID_X_EN: 1
; COMPUTE_PGM_RSRC2:TGID_Y_EN: 0
; COMPUTE_PGM_RSRC2:TGID_Z_EN: 0
; COMPUTE_PGM_RSRC2:TIDIG_COMP_CNT: 0
; COMPUTE_PGM_RSRC3_GFX90A:ACCUM_OFFSET: 4
; COMPUTE_PGM_RSRC3_GFX90A:TG_SPLIT: 0
	.section	.text._ZN9rocsparseL27csrmvn_symm_adaptive_kernelIllDF16_DF16_ffEEvbT_S1_PKS1_NS_24const_host_device_scalarIT4_EES3_PKT0_PKT1_PKT2_S6_PT3_21rocsparse_index_base_b,"axG",@progbits,_ZN9rocsparseL27csrmvn_symm_adaptive_kernelIllDF16_DF16_ffEEvbT_S1_PKS1_NS_24const_host_device_scalarIT4_EES3_PKT0_PKT1_PKT2_S6_PT3_21rocsparse_index_base_b,comdat
	.globl	_ZN9rocsparseL27csrmvn_symm_adaptive_kernelIllDF16_DF16_ffEEvbT_S1_PKS1_NS_24const_host_device_scalarIT4_EES3_PKT0_PKT1_PKT2_S6_PT3_21rocsparse_index_base_b ; -- Begin function _ZN9rocsparseL27csrmvn_symm_adaptive_kernelIllDF16_DF16_ffEEvbT_S1_PKS1_NS_24const_host_device_scalarIT4_EES3_PKT0_PKT1_PKT2_S6_PT3_21rocsparse_index_base_b
	.p2align	8
	.type	_ZN9rocsparseL27csrmvn_symm_adaptive_kernelIllDF16_DF16_ffEEvbT_S1_PKS1_NS_24const_host_device_scalarIT4_EES3_PKT0_PKT1_PKT2_S6_PT3_21rocsparse_index_base_b,@function
_ZN9rocsparseL27csrmvn_symm_adaptive_kernelIllDF16_DF16_ffEEvbT_S1_PKS1_NS_24const_host_device_scalarIT4_EES3_PKT0_PKT1_PKT2_S6_PT3_21rocsparse_index_base_b: ; @_ZN9rocsparseL27csrmvn_symm_adaptive_kernelIllDF16_DF16_ffEEvbT_S1_PKS1_NS_24const_host_device_scalarIT4_EES3_PKT0_PKT1_PKT2_S6_PT3_21rocsparse_index_base_b
; %bb.0:
	s_load_dwordx2 s[28:29], s[0:1], 0x58
	s_load_dwordx2 s[36:37], s[0:1], 0x20
	;; [unrolled: 1-line block ×3, first 2 shown]
	s_waitcnt lgkmcnt(0)
	s_bitcmp1_b32 s29, 0
	s_cselect_b64 s[8:9], -1, 0
	s_xor_b64 s[6:7], s[8:9], -1
	s_and_b64 vcc, exec, s[8:9]
	s_cbranch_vccnz .LBB71_2
; %bb.1:
	s_load_dword s36, s[36:37], 0x0
.LBB71_2:
	s_andn2_b64 vcc, exec, s[6:7]
	s_cbranch_vccnz .LBB71_4
; %bb.3:
	s_load_dword s4, s[4:5], 0x0
.LBB71_4:
	s_waitcnt lgkmcnt(0)
	v_cmp_neq_f32_e64 s[6:7], s36, 0
	v_cmp_neq_f32_e64 s[4:5], s4, 1.0
	s_or_b64 s[4:5], s[6:7], s[4:5]
	s_andn2_b64 vcc, exec, s[4:5]
	s_cbranch_vccnz .LBB71_149
; %bb.5:
	s_load_dwordx2 s[4:5], s[0:1], 0x18
	s_ashr_i32 s3, s2, 31
	s_lshl_b64 s[2:3], s[2:3], 3
	v_lshlrev_b32_e32 v18, 2, v0
	v_mov_b32_e32 v1, 0
	s_waitcnt lgkmcnt(0)
	s_add_u32 s2, s4, s2
	s_addc_u32 s3, s5, s3
	ds_write2st64_b32 v18, v1, v1 offset1:4
	ds_write2st64_b32 v18, v1, v1 offset0:8 offset1:12
	s_waitcnt lgkmcnt(0)
	s_barrier
	s_load_dwordx4 s[20:23], s[2:3], 0x0
	s_load_dwordx8 s[12:19], s[0:1], 0x28
	s_load_dwordx2 s[24:25], s[0:1], 0x50
	s_mov_b64 s[2:3], -1
	s_waitcnt lgkmcnt(0)
	s_sub_u32 s26, s22, s20
	s_subb_u32 s27, s23, s21
	v_cmp_gt_i64_e64 s[4:5], s[26:27], 2
	s_and_b64 vcc, exec, s[4:5]
	s_cbranch_vccnz .LBB71_36
; %bb.6:
	v_mov_b64_e32 v[2:3], s[20:21]
	v_cmp_le_i64_e32 vcc, s[22:23], v[2:3]
	v_subrev_co_u32_e64 v2, s[2:3], s28, v0
	s_nop 1
	v_subb_co_u32_e64 v3, s[2:3], 0, 0, s[2:3]
	s_cbranch_vccnz .LBB71_26
; %bb.7:
	s_movk_i32 s2, 0x100
	v_cmp_gt_u32_e64 s[2:3], s2, v0
	v_cmp_gt_u32_e64 s[4:5], 64, v0
	v_cmp_gt_u32_e64 s[6:7], 16, v0
	v_cmp_gt_u32_e64 s[8:9], 4, v0
	v_cmp_eq_u32_e64 s[10:11], 0, v0
	s_mov_b64 s[30:31], 0x100
	s_mov_b64 s[34:35], 0x800
	;; [unrolled: 1-line block ×3, first 2 shown]
	v_mov_b32_e32 v1, 0
	v_mov_b64_e32 v[4:5], s[22:23]
	s_mov_b64 s[40:41], s[20:21]
	s_branch .LBB71_9
.LBB71_8:                               ;   in Loop: Header=BB71_9 Depth=1
	s_or_b64 exec, exec, s[42:43]
	s_add_u32 s40, s40, 1
	s_addc_u32 s41, s41, 0
	v_cmp_ge_i64_e32 vcc, s[40:41], v[4:5]
	s_cbranch_vccnz .LBB71_26
.LBB71_9:                               ; =>This Loop Header: Depth=1
                                        ;     Child Loop BB71_11 Depth 2
	s_lshl_b64 s[42:43], s[40:41], 3
	s_add_u32 s42, s12, s42
	s_addc_u32 s43, s13, s43
	s_load_dwordx4 s[44:47], s[42:43], 0x0
	v_mov_b32_e32 v12, 0
	s_waitcnt lgkmcnt(0)
	s_sub_u32 s42, s46, s28
	v_lshl_add_u64 v[6:7], s[44:45], 0, v[2:3]
	s_subb_u32 s43, s47, 0
	v_cmp_gt_i64_e32 vcc, s[42:43], v[6:7]
	s_and_saveexec_b64 s[44:45], vcc
	s_cbranch_execz .LBB71_13
; %bb.10:                               ;   in Loop: Header=BB71_9 Depth=1
	v_lshl_add_u64 v[8:9], v[6:7], 3, s[14:15]
	v_lshl_add_u64 v[10:11], v[6:7], 1, s[16:17]
	v_mov_b32_e32 v12, 0
	s_mov_b64 s[46:47], 0
.LBB71_11:                              ;   Parent Loop BB71_9 Depth=1
                                        ; =>  This Inner Loop Header: Depth=2
	global_load_dwordx2 v[14:15], v[8:9], off
	global_load_ushort v13, v[10:11], off
	v_lshl_add_u64 v[6:7], v[6:7], 0, s[30:31]
	v_lshl_add_u64 v[8:9], v[8:9], 0, s[34:35]
	;; [unrolled: 1-line block ×3, first 2 shown]
	s_waitcnt vmcnt(1)
	v_subrev_co_u32_e32 v14, vcc, s28, v14
	s_nop 1
	v_subbrev_co_u32_e32 v15, vcc, 0, v15, vcc
	v_lshl_add_u64 v[14:15], v[14:15], 1, s[18:19]
	global_load_ushort v14, v[14:15], off
	v_cmp_le_i64_e32 vcc, s[42:43], v[6:7]
	s_or_b64 s[46:47], vcc, s[46:47]
	s_waitcnt vmcnt(0)
	v_fma_mix_f32 v12, v13, v14, v12 op_sel_hi:[1,1,0]
	s_andn2_b64 exec, exec, s[46:47]
	s_cbranch_execnz .LBB71_11
; %bb.12:                               ;   in Loop: Header=BB71_9 Depth=1
	s_or_b64 exec, exec, s[46:47]
.LBB71_13:                              ;   in Loop: Header=BB71_9 Depth=1
	s_or_b64 exec, exec, s[44:45]
	ds_write_b32 v18, v12
	s_waitcnt lgkmcnt(0)
	s_barrier
	s_and_saveexec_b64 s[42:43], s[2:3]
	s_cbranch_execz .LBB71_15
; %bb.14:                               ;   in Loop: Header=BB71_9 Depth=1
	ds_read2st64_b32 v[6:7], v18 offset1:4
	ds_read2st64_b32 v[8:9], v18 offset0:8 offset1:12
	s_waitcnt lgkmcnt(0)
	v_add_f32_e32 v7, v7, v8
	v_add_f32_e32 v7, v7, v9
	;; [unrolled: 1-line block ×3, first 2 shown]
	ds_write_b32 v18, v6
.LBB71_15:                              ;   in Loop: Header=BB71_9 Depth=1
	s_or_b64 exec, exec, s[42:43]
	s_waitcnt lgkmcnt(0)
	s_barrier
	s_and_saveexec_b64 s[42:43], s[4:5]
	s_cbranch_execz .LBB71_17
; %bb.16:                               ;   in Loop: Header=BB71_9 Depth=1
	ds_read2st64_b32 v[6:7], v18 offset1:1
	ds_read2st64_b32 v[8:9], v18 offset0:2 offset1:3
	s_waitcnt lgkmcnt(0)
	v_add_f32_e32 v7, v7, v8
	v_add_f32_e32 v7, v7, v9
	;; [unrolled: 1-line block ×3, first 2 shown]
	ds_write_b32 v18, v6
.LBB71_17:                              ;   in Loop: Header=BB71_9 Depth=1
	s_or_b64 exec, exec, s[42:43]
	s_waitcnt lgkmcnt(0)
	s_barrier
	s_and_saveexec_b64 s[42:43], s[6:7]
	s_cbranch_execz .LBB71_19
; %bb.18:                               ;   in Loop: Header=BB71_9 Depth=1
	ds_read2_b32 v[6:7], v18 offset1:16
	ds_read2_b32 v[8:9], v18 offset0:32 offset1:48
	s_waitcnt lgkmcnt(0)
	v_add_f32_e32 v7, v7, v8
	v_add_f32_e32 v7, v7, v9
	;; [unrolled: 1-line block ×3, first 2 shown]
	ds_write_b32 v18, v6
.LBB71_19:                              ;   in Loop: Header=BB71_9 Depth=1
	s_or_b64 exec, exec, s[42:43]
	s_waitcnt lgkmcnt(0)
	s_barrier
	s_and_saveexec_b64 s[42:43], s[8:9]
	s_cbranch_execz .LBB71_21
; %bb.20:                               ;   in Loop: Header=BB71_9 Depth=1
	ds_read2_b32 v[6:7], v18 offset1:4
	ds_read2_b32 v[8:9], v18 offset0:8 offset1:12
	s_waitcnt lgkmcnt(0)
	v_add_f32_e32 v7, v7, v8
	v_add_f32_e32 v7, v7, v9
	v_add_f32_e32 v6, v6, v7
	ds_write_b32 v18, v6
.LBB71_21:                              ;   in Loop: Header=BB71_9 Depth=1
	s_or_b64 exec, exec, s[42:43]
	s_waitcnt lgkmcnt(0)
	s_barrier
	s_and_saveexec_b64 s[42:43], s[10:11]
	s_cbranch_execz .LBB71_23
; %bb.22:                               ;   in Loop: Header=BB71_9 Depth=1
	ds_read2_b32 v[6:7], v1 offset0:1 offset1:2
	ds_read_b32 v8, v1 offset:12
	ds_read_b32 v9, v18
	s_waitcnt lgkmcnt(2)
	v_add_f32_e32 v6, v6, v7
	s_waitcnt lgkmcnt(1)
	v_add_f32_e32 v6, v6, v8
	s_waitcnt lgkmcnt(0)
	v_add_f32_e32 v6, v9, v6
	ds_write_b32 v18, v6
.LBB71_23:                              ;   in Loop: Header=BB71_9 Depth=1
	s_or_b64 exec, exec, s[42:43]
	s_waitcnt lgkmcnt(0)
	s_barrier
	s_and_saveexec_b64 s[42:43], s[10:11]
	s_cbranch_execz .LBB71_8
; %bb.24:                               ;   in Loop: Header=BB71_9 Depth=1
	s_mov_b64 s[44:45], exec
	v_mbcnt_lo_u32_b32 v6, s44, 0
	v_mbcnt_hi_u32_b32 v6, s45, v6
	v_cmp_eq_u32_e32 vcc, 0, v6
	s_and_b64 s[46:47], exec, vcc
	s_mov_b64 exec, s[46:47]
	s_cbranch_execz .LBB71_8
; %bb.25:                               ;   in Loop: Header=BB71_9 Depth=1
	ds_read_b32 v6, v1
	s_lshl_b64 s[46:47], s[40:41], 2
	s_add_u32 s46, s24, s46
	s_addc_u32 s47, s25, s47
	s_bcnt1_i32_b64 s29, s[44:45]
	s_waitcnt lgkmcnt(0)
	v_mul_f32_e32 v6, s36, v6
	v_cvt_f32_ubyte0_e32 v7, s29
	v_mul_f32_e32 v6, v6, v7
	global_atomic_add_f32 v1, v6, s[46:47]
	s_branch .LBB71_8
.LBB71_26:
	s_lshl_b64 s[2:3], s[20:21], 3
	s_add_u32 s2, s12, s2
	s_addc_u32 s3, s13, s3
	s_lshl_b64 s[4:5], s[22:23], 3
	s_add_u32 s4, s12, s4
	s_addc_u32 s5, s13, s5
	s_load_dwordx2 s[6:7], s[4:5], 0x0
	s_load_dwordx2 s[8:9], s[2:3], 0x0
	s_waitcnt lgkmcnt(0)
	s_sub_u32 s6, s6, s28
	s_subb_u32 s7, s7, 0
	v_lshl_add_u64 v[2:3], s[8:9], 0, v[2:3]
	v_cmp_gt_i64_e32 vcc, s[6:7], v[2:3]
	s_and_saveexec_b64 s[8:9], vcc
	s_cbranch_execz .LBB71_35
; %bb.27:
	s_add_u32 s10, s22, -1
	s_addc_u32 s11, s23, -1
	s_add_u32 s2, s22, -2
	s_addc_u32 s3, s23, -1
	v_mov_b64_e32 v[4:5], s[10:11]
	s_cmp_lg_u64 s[20:21], s[2:3]
	v_cmp_lt_i64_e32 vcc, s[20:21], v[4:5]
	s_cselect_b64 s[2:3], -1, 0
	s_and_b64 s[2:3], vcc, s[2:3]
	v_cndmask_b32_e64 v1, 0, 1, s[2:3]
	s_mov_b64 s[30:31], 0
	v_cmp_ne_u32_e64 s[2:3], 1, v1
	v_mov_b32_e32 v5, 0
	s_mov_b64 s[34:35], 0x100
	s_branch .LBB71_29
.LBB71_28:                              ;   in Loop: Header=BB71_29 Depth=1
	s_or_b64 exec, exec, s[4:5]
	v_lshl_add_u64 v[2:3], v[2:3], 0, s[34:35]
	v_cmp_le_i64_e32 vcc, s[6:7], v[2:3]
	s_or_b64 s[30:31], vcc, s[30:31]
	s_andn2_b64 exec, exec, s[30:31]
	s_cbranch_execz .LBB71_35
.LBB71_29:                              ; =>This Loop Header: Depth=1
                                        ;     Child Loop BB71_31 Depth 2
	s_and_b64 vcc, exec, s[2:3]
	v_mov_b64_e32 v[6:7], s[20:21]
	v_mov_b64_e32 v[8:9], s[10:11]
	s_cbranch_vccnz .LBB71_33
; %bb.30:                               ;   in Loop: Header=BB71_29 Depth=1
	s_mov_b64 s[38:39], 0
	v_mov_b64_e32 v[6:7], s[20:21]
	v_mov_b64_e32 v[8:9], s[10:11]
.LBB71_31:                              ;   Parent Loop BB71_29 Depth=1
                                        ; =>  This Inner Loop Header: Depth=2
	v_lshl_add_u64 v[10:11], v[8:9], 0, v[6:7]
	v_lshrrev_b32_e32 v4, 31, v11
	v_lshl_add_u64 v[10:11], v[10:11], 0, v[4:5]
	v_ashrrev_i64 v[10:11], 1, v[10:11]
	v_lshl_add_u64 v[12:13], v[10:11], 3, s[12:13]
	global_load_dwordx2 v[12:13], v[12:13], off
	s_waitcnt vmcnt(0)
	v_subrev_co_u32_e32 v12, vcc, s28, v12
	s_nop 1
	v_subbrev_co_u32_e32 v13, vcc, 0, v13, vcc
	v_cmp_lt_i64_e32 vcc, v[2:3], v[12:13]
	s_nop 1
	v_cndmask_b32_e32 v9, v9, v11, vcc
	v_cndmask_b32_e32 v8, v8, v10, vcc
	;; [unrolled: 1-line block ×4, first 2 shown]
	v_lshl_add_u64 v[10:11], v[8:9], 0, -1
	v_cmp_ge_i64_e32 vcc, v[6:7], v[8:9]
	v_cmp_eq_u64_e64 s[4:5], v[6:7], v[10:11]
	s_or_b64 s[4:5], vcc, s[4:5]
	s_and_b64 s[4:5], exec, s[4:5]
	s_or_b64 s[38:39], s[4:5], s[38:39]
	s_andn2_b64 exec, exec, s[38:39]
	s_cbranch_execnz .LBB71_31
; %bb.32:                               ;   in Loop: Header=BB71_29 Depth=1
	s_or_b64 exec, exec, s[38:39]
.LBB71_33:                              ;   in Loop: Header=BB71_29 Depth=1
	v_lshl_add_u64 v[10:11], v[8:9], 3, s[12:13]
	global_load_dwordx2 v[10:11], v[10:11], off
	v_lshl_add_u64 v[12:13], v[2:3], 3, s[14:15]
	global_load_dwordx2 v[12:13], v[12:13], off
	s_waitcnt vmcnt(1)
	v_subrev_co_u32_e32 v10, vcc, s28, v10
	s_nop 1
	v_subbrev_co_u32_e32 v11, vcc, 0, v11, vcc
	v_cmp_lt_i64_e32 vcc, v[2:3], v[10:11]
	s_nop 1
	v_cndmask_b32_e32 v9, v9, v7, vcc
	v_cndmask_b32_e32 v8, v8, v6, vcc
	s_waitcnt vmcnt(0)
	v_subrev_co_u32_e32 v6, vcc, s28, v12
	s_nop 1
	v_subbrev_co_u32_e32 v7, vcc, 0, v13, vcc
	v_cmp_ne_u64_e32 vcc, v[6:7], v[8:9]
	s_and_saveexec_b64 s[4:5], vcc
	s_cbranch_execz .LBB71_28
; %bb.34:                               ;   in Loop: Header=BB71_29 Depth=1
	v_lshl_add_u64 v[10:11], v[2:3], 1, s[16:17]
	global_load_ushort v1, v[10:11], off
	v_lshl_add_u64 v[8:9], v[8:9], 1, s[18:19]
	global_load_ushort v4, v[8:9], off
	v_lshl_add_u64 v[6:7], v[6:7], 2, s[24:25]
	s_waitcnt vmcnt(1)
	v_cvt_f32_f16_e32 v1, v1
	s_waitcnt vmcnt(0)
	v_cvt_f32_f16_e32 v4, v4
	v_mul_f32_e32 v1, s36, v1
	v_mul_f32_e32 v1, v1, v4
	global_atomic_add_f32 v[6:7], v1, off
	s_branch .LBB71_28
.LBB71_35:
	s_or_b64 exec, exec, s[8:9]
	s_mov_b64 s[2:3], 0
.LBB71_36:
	s_and_b64 vcc, exec, s[2:3]
	s_cbranch_vccz .LBB71_149
; %bb.37:
	s_load_dword s2, s[0:1], 0x6c
	s_mov_b32 s31, 0
	v_mov_b64_e32 v[2:3], s[26:27]
	s_mov_b64 s[34:35], 0
	s_waitcnt lgkmcnt(0)
	s_and_b32 s30, s2, 0xffff
	v_cmp_lt_u64_e32 vcc, s[30:31], v[2:3]
	s_cbranch_vccnz .LBB71_39
; %bb.38:
	v_cvt_f32_u32_e32 v1, s26
	s_sub_i32 s2, 0, s26
	v_rcp_iflag_f32_e32 v1, v1
	s_nop 0
	v_mul_f32_e32 v1, 0x4f7ffffe, v1
	v_cvt_u32_f32_e32 v1, v1
	s_nop 0
	v_readfirstlane_b32 s3, v1
	s_mul_i32 s2, s2, s3
	s_mul_hi_u32 s2, s3, s2
	s_add_i32 s3, s3, s2
	s_mul_hi_u32 s2, s30, s3
	s_mul_i32 s4, s2, s26
	s_sub_i32 s4, s30, s4
	s_add_i32 s3, s2, 1
	s_sub_i32 s5, s4, s26
	s_cmp_ge_u32 s4, s26
	s_cselect_b32 s2, s3, s2
	s_cselect_b32 s4, s5, s4
	s_add_i32 s3, s2, 1
	s_cmp_ge_u32 s4, s26
	s_cselect_b32 s34, s3, s2
.LBB71_39:
	s_load_dwordx4 s[4:7], s[0:1], 0x8
	s_lshl_b64 s[0:1], s[20:21], 3
	s_add_u32 s10, s12, s0
	s_addc_u32 s11, s13, s1
	s_load_dwordx2 s[8:9], s[10:11], 0x0
	v_subrev_co_u32_e32 v2, vcc, s28, v0
	v_mov_b32_e32 v1, 0
	s_nop 0
	v_subb_co_u32_e64 v3, s[0:1], 0, 0, vcc
	s_waitcnt lgkmcnt(0)
	v_lshl_add_u64 v[10:11], s[8:9], 0, v[2:3]
	s_mov_b64 s[0:1], 0x300
	v_lshl_add_u64 v[8:9], v[10:11], 0, s[0:1]
	v_cmp_le_i64_e32 vcc, s[4:5], v[8:9]
	s_and_saveexec_b64 s[0:1], vcc
	s_xor_b64 s[2:3], exec, s[0:1]
	s_cbranch_execnz .LBB71_42
; %bb.40:
	s_andn2_saveexec_b64 s[0:1], s[2:3]
	s_cbranch_execnz .LBB71_53
.LBB71_41:
	s_or_b64 exec, exec, s[0:1]
	v_cmp_gt_i64_e64 s[0:1], s[6:7], v[0:1]
	s_and_saveexec_b64 s[2:3], s[0:1]
	s_cbranch_execnz .LBB71_54
	s_branch .LBB71_61
.LBB71_42:
	s_lshl_b64 s[0:1], s[22:23], 3
	s_add_u32 s0, s12, s0
	s_addc_u32 s1, s13, s1
	s_load_dwordx2 s[40:41], s[0:1], 0x0
	s_waitcnt lgkmcnt(0)
	s_sub_u32 s4, s40, s8
	s_subb_u32 s5, s41, s9
	v_cmp_gt_i64_e64 s[0:1], s[4:5], v[0:1]
	s_and_saveexec_b64 s[38:39], s[0:1]
	s_cbranch_execz .LBB71_52
; %bb.43:
	s_not_b64 s[0:1], s[8:9]
	s_add_u32 s0, s40, s0
	s_addc_u32 s1, s41, s1
	v_mov_b32_e32 v2, s1
	v_sub_co_u32_e64 v4, s[0:1], s0, v0
	s_mov_b64 s[42:43], 0
	s_nop 0
	v_subbrev_co_u32_e64 v5, s[0:1], 0, v2, s[0:1]
	s_mov_b64 s[0:1], 0xff
	s_nop 0
	v_cmp_lt_u64_e64 s[0:1], s[0:1], v[4:5]
	v_lshlrev_b64 v[2:3], 1, v[10:11]
                                        ; implicit-def: $vgpr12_vgpr13
	s_and_saveexec_b64 s[40:41], s[0:1]
	s_xor_b64 s[40:41], exec, s[40:41]
	s_cbranch_execnz .LBB71_46
; %bb.44:
	s_andn2_saveexec_b64 s[0:1], s[40:41]
	s_cbranch_execnz .LBB71_49
.LBB71_45:
	s_or_b64 exec, exec, s[0:1]
	s_and_b64 exec, exec, s[42:43]
	s_cbranch_execnz .LBB71_50
	s_branch .LBB71_52
.LBB71_46:
	v_lshrrev_b64 v[2:3], 8, v[4:5]
	v_lshl_add_u64 v[4:5], v[2:3], 0, 1
	v_lshlrev_b64 v[2:3], 1, v[10:11]
	v_and_b32_e32 v6, -2, v4
	v_mov_b32_e32 v7, v5
	v_lshl_add_u64 v[12:13], s[16:17], 0, v[2:3]
	s_mov_b64 s[0:1], 0x200
	s_mov_b32 s37, s36
	v_lshl_add_u64 v[12:13], v[12:13], 0, s[0:1]
	s_mov_b64 s[44:45], 0x100
	s_mov_b64 s[46:47], 0x400
	v_mov_b64_e32 v[14:15], v[6:7]
	s_mov_b64 s[48:49], 0
.LBB71_47:                              ; =>This Inner Loop Header: Depth=1
	global_load_ushort v16, v[12:13], off
	global_load_ushort v19, v[12:13], off offset:-512
	v_lshl_add_u32 v20, s48, 2, v18
	s_add_u32 s48, s48, 0x200
	s_addc_u32 s49, s49, 0
	v_lshl_add_u32 v21, s44, 2, v18
	v_lshl_add_u64 v[14:15], v[14:15], 0, -2
	s_add_u32 s44, s44, 0x200
	v_cmp_eq_u64_e64 s[0:1], 0, v[14:15]
	s_addc_u32 s45, s45, 0
	v_lshl_add_u64 v[12:13], v[12:13], 0, s[46:47]
	s_or_b64 s[42:43], s[0:1], s[42:43]
	s_waitcnt vmcnt(1)
	v_cvt_f32_f16_e32 v17, v16
	s_waitcnt vmcnt(0)
	v_cvt_f32_f16_e32 v16, v19
	v_pk_mul_f32 v[16:17], s[36:37], v[16:17]
	ds_write_b32 v20, v16
	ds_write_b32 v21, v17
	s_andn2_b64 exec, exec, s[42:43]
	s_cbranch_execnz .LBB71_47
; %bb.48:
	s_or_b64 exec, exec, s[42:43]
	v_cmp_ne_u64_e64 s[0:1], v[4:5], v[6:7]
	v_lshlrev_b64 v[12:13], 8, v[6:7]
	s_and_b64 s[42:43], s[0:1], exec
	s_andn2_saveexec_b64 s[0:1], s[40:41]
	s_cbranch_execz .LBB71_45
.LBB71_49:
	v_mov_b64_e32 v[12:13], 0
	s_or_b64 s[42:43], s[42:43], exec
	s_or_b64 exec, exec, s[0:1]
	s_and_b64 exec, exec, s[42:43]
	s_cbranch_execz .LBB71_52
.LBB71_50:
	v_lshl_add_u64 v[2:3], v[12:13], 1, v[2:3]
	v_lshlrev_b32_e32 v6, 2, v12
	v_lshl_add_u64 v[2:3], s[16:17], 0, v[2:3]
	v_lshl_add_u64 v[4:5], v[12:13], 0, v[0:1]
	v_lshl_add_u32 v6, v0, 2, v6
	s_mov_b64 s[40:41], 0
	s_mov_b64 s[42:43], 0x200
	;; [unrolled: 1-line block ×3, first 2 shown]
.LBB71_51:                              ; =>This Inner Loop Header: Depth=1
	global_load_ushort v7, v[2:3], off
	v_lshl_add_u64 v[4:5], v[4:5], 0, s[44:45]
	v_cmp_le_i64_e64 s[0:1], s[4:5], v[4:5]
	v_lshl_add_u64 v[2:3], v[2:3], 0, s[42:43]
	s_or_b64 s[40:41], s[0:1], s[40:41]
	s_waitcnt vmcnt(0)
	v_cvt_f32_f16_e32 v7, v7
	v_mul_f32_e32 v7, s36, v7
	ds_write_b32 v6, v7
	v_add_u32_e32 v6, 0x400, v6
	s_andn2_b64 exec, exec, s[40:41]
	s_cbranch_execnz .LBB71_51
.LBB71_52:
	s_or_b64 exec, exec, s[38:39]
	s_andn2_saveexec_b64 s[0:1], s[2:3]
	s_cbranch_execz .LBB71_41
.LBB71_53:
	v_lshl_add_u64 v[2:3], v[10:11], 1, s[16:17]
	global_load_ushort v4, v[2:3], off
	global_load_ushort v5, v[2:3], off offset:512
	global_load_ushort v6, v[2:3], off offset:1024
	;; [unrolled: 1-line block ×3, first 2 shown]
	s_waitcnt vmcnt(3)
	v_cvt_f32_f16_e32 v2, v4
	s_waitcnt vmcnt(2)
	v_cvt_f32_f16_e32 v3, v5
	s_waitcnt vmcnt(1)
	v_cvt_f32_f16_e32 v4, v6
	s_waitcnt vmcnt(0)
	v_cvt_f32_f16_e32 v5, v7
	v_mul_f32_e32 v2, s36, v2
	v_mul_f32_e32 v3, s36, v3
	;; [unrolled: 1-line block ×4, first 2 shown]
	ds_write2st64_b32 v18, v2, v3 offset1:4
	ds_write2st64_b32 v18, v4, v5 offset0:8 offset1:12
	s_or_b64 exec, exec, s[0:1]
	v_cmp_gt_i64_e64 s[0:1], s[6:7], v[0:1]
	s_and_saveexec_b64 s[2:3], s[0:1]
	s_cbranch_execz .LBB71_61
.LBB71_54:
	v_mov_b32_e32 v3, -1
	v_not_b32_e32 v2, v0
	v_lshl_add_u64 v[4:5], s[6:7], 0, v[2:3]
	s_mov_b64 s[0:1], 0xff
	v_cmp_lt_u64_e64 s[0:1], s[0:1], v[4:5]
	s_mov_b64 s[16:17], -1
	v_mov_b64_e32 v[2:3], v[0:1]
	s_and_saveexec_b64 s[4:5], s[0:1]
	s_cbranch_execz .LBB71_58
; %bb.55:
	v_lshrrev_b64 v[2:3], 8, v[4:5]
	v_lshl_add_u64 v[12:13], v[2:3], 0, 1
	v_mov_b32_e32 v3, 0
	v_or_b32_e32 v4, 0x100, v0
	v_mov_b32_e32 v5, v3
	v_and_b32_e32 v14, -2, v12
	v_mov_b32_e32 v15, v13
	v_mov_b32_e32 v2, v0
	v_mov_b64_e32 v[6:7], v[4:5]
	s_mov_b64 s[16:17], 0
	v_mov_b32_e32 v19, 0x1000
	s_mov_b64 s[36:37], 0x200
	v_mov_b64_e32 v[16:17], v[14:15]
	v_mov_b64_e32 v[4:5], v[2:3]
.LBB71_56:                              ; =>This Inner Loop Header: Depth=1
	v_lshl_add_u64 v[16:17], v[16:17], 0, -2
	v_cmp_eq_u64_e64 s[0:1], 0, v[16:17]
	v_lshl_add_u32 v2, v4, 2, v19
	v_lshl_add_u32 v20, v6, 2, v19
	v_lshl_add_u64 v[6:7], v[6:7], 0, s[36:37]
	v_lshl_add_u64 v[4:5], v[4:5], 0, s[36:37]
	s_or_b64 s[16:17], s[0:1], s[16:17]
	ds_write_b32 v2, v3
	ds_write_b32 v20, v3
	s_andn2_b64 exec, exec, s[16:17]
	s_cbranch_execnz .LBB71_56
; %bb.57:
	s_or_b64 exec, exec, s[16:17]
	v_lshlrev_b64 v[2:3], 8, v[14:15]
	v_cmp_ne_u64_e64 s[0:1], v[12:13], v[14:15]
	v_or_b32_e32 v2, v2, v0
	s_orn2_b64 s[16:17], s[0:1], exec
.LBB71_58:
	s_or_b64 exec, exec, s[4:5]
	s_and_b64 exec, exec, s[16:17]
	s_cbranch_execz .LBB71_61
; %bb.59:
	v_mov_b32_e32 v4, 0x1000
	v_lshl_add_u32 v4, v2, 2, v4
	s_mov_b64 s[4:5], 0
	v_mov_b32_e32 v5, 0
	s_mov_b64 s[16:17], 0x100
.LBB71_60:                              ; =>This Inner Loop Header: Depth=1
	v_lshl_add_u64 v[2:3], v[2:3], 0, s[16:17]
	v_cmp_le_i64_e64 s[0:1], s[6:7], v[2:3]
	ds_write_b32 v4, v5
	s_or_b64 s[4:5], s[0:1], s[4:5]
	v_add_u32_e32 v4, 0x400, v4
	s_andn2_b64 exec, exec, s[4:5]
	s_cbranch_execnz .LBB71_60
.LBB71_61:
	s_or_b64 exec, exec, s[2:3]
	s_sub_u32 s2, s22, s6
	v_mov_b64_e32 v[2:3], s[6:7]
	s_subb_u32 s3, s23, s7
	v_cmp_ge_i64_e64 s[0:1], s[22:23], v[2:3]
	s_and_b64 s[0:1], s[0:1], exec
	s_cselect_b32 s5, s3, 0
	s_cselect_b32 s4, s2, 0
	s_waitcnt lgkmcnt(0)
	s_barrier
	s_and_saveexec_b64 s[0:1], vcc
	s_xor_b64 s[16:17], exec, s[0:1]
	s_cbranch_execz .LBB71_78
; %bb.62:
	s_lshl_b64 s[0:1], s[22:23], 3
	s_add_u32 s0, s12, s0
	s_addc_u32 s1, s13, s1
	s_load_dwordx2 s[0:1], s[0:1], 0x0
	s_waitcnt lgkmcnt(0)
	s_sub_u32 s36, s0, s8
	s_subb_u32 s37, s1, s9
	v_cmp_gt_i64_e32 vcc, s[36:37], v[0:1]
	s_and_saveexec_b64 s[38:39], vcc
	s_cbranch_execz .LBB71_77
; %bb.63:
	s_add_u32 s40, s22, -1
	s_addc_u32 s41, s23, -1
	s_add_u32 s2, s22, -2
	s_addc_u32 s3, s23, -1
	s_cmp_lg_u64 s[20:21], s[2:3]
	s_cselect_b64 s[2:3], -1, 0
	s_sub_u32 s42, s0, s28
	v_cndmask_b32_e64 v2, 0, 1, s[2:3]
	s_subb_u32 s43, s1, 0
	s_mov_b64 s[44:45], 0
	v_cmp_ne_u32_e64 s[0:1], 1, v2
	v_mov_b32_e32 v3, 0
	v_mov_b32_e32 v16, 0x1000
	s_mov_b64 s[46:47], 0
	s_branch .LBB71_66
.LBB71_64:                              ;   in Loop: Header=BB71_66 Depth=1
	s_or_b64 exec, exec, s[2:3]
.LBB71_65:                              ;   in Loop: Header=BB71_66 Depth=1
	s_or_b64 exec, exec, s[48:49]
	v_lshl_add_u64 v[6:7], v[6:7], 1, s[18:19]
	global_load_ushort v5, v[6:7], off
	s_add_u32 s46, s46, 0x100
	s_addc_u32 s47, s47, 0
	v_lshlrev_b32_e32 v6, 2, v4
	s_waitcnt vmcnt(0)
	v_cvt_f32_f16_e32 v7, v5
	v_lshl_add_u64 v[4:5], s[46:47], 0, v[0:1]
	v_cmp_le_i64_e32 vcc, s[36:37], v[4:5]
	s_or_b64 s[44:45], vcc, s[44:45]
	s_waitcnt lgkmcnt(0)
	v_mul_f32_e32 v2, v2, v7
	ds_write_b32 v6, v2
	s_andn2_b64 exec, exec, s[44:45]
	s_cbranch_execz .LBB71_77
.LBB71_66:                              ; =>This Loop Header: Depth=1
                                        ;     Child Loop BB71_68 Depth 2
	v_lshl_add_u64 v[8:9], s[46:47], 0, v[10:11]
	s_and_b64 vcc, exec, s[0:1]
	v_mov_b64_e32 v[12:13], s[20:21]
	v_mov_b64_e32 v[14:15], s[40:41]
	s_cbranch_vccnz .LBB71_70
; %bb.67:                               ;   in Loop: Header=BB71_66 Depth=1
	s_mov_b64 s[48:49], 0
	v_mov_b64_e32 v[12:13], s[20:21]
	v_mov_b64_e32 v[14:15], s[40:41]
.LBB71_68:                              ;   Parent Loop BB71_66 Depth=1
                                        ; =>  This Inner Loop Header: Depth=2
	v_lshl_add_u64 v[4:5], v[14:15], 0, v[12:13]
	v_lshrrev_b32_e32 v2, 31, v5
	v_lshl_add_u64 v[4:5], v[4:5], 0, v[2:3]
	v_ashrrev_i64 v[4:5], 1, v[4:5]
	v_lshl_add_u64 v[6:7], v[4:5], 3, s[12:13]
	global_load_dwordx2 v[6:7], v[6:7], off
	s_waitcnt vmcnt(0)
	v_subrev_co_u32_e32 v6, vcc, s28, v6
	s_nop 1
	v_subbrev_co_u32_e32 v7, vcc, 0, v7, vcc
	v_cmp_lt_i64_e32 vcc, v[8:9], v[6:7]
	s_nop 1
	v_cndmask_b32_e32 v15, v15, v5, vcc
	v_cndmask_b32_e32 v14, v14, v4, vcc
	;; [unrolled: 1-line block ×4, first 2 shown]
	v_lshl_add_u64 v[4:5], v[14:15], 0, -1
	v_cmp_ge_i64_e32 vcc, v[12:13], v[14:15]
	v_cmp_eq_u64_e64 s[2:3], v[12:13], v[4:5]
	s_or_b64 s[2:3], vcc, s[2:3]
	s_and_b64 s[2:3], exec, s[2:3]
	s_or_b64 s[48:49], s[2:3], s[48:49]
	s_andn2_b64 exec, exec, s[48:49]
	s_cbranch_execnz .LBB71_68
; %bb.69:                               ;   in Loop: Header=BB71_66 Depth=1
	s_or_b64 exec, exec, s[48:49]
.LBB71_70:                              ;   in Loop: Header=BB71_66 Depth=1
	v_lshl_add_u64 v[4:5], v[14:15], 3, s[12:13]
	global_load_dwordx2 v[6:7], v[4:5], off
	v_lshl_add_u64 v[4:5], v[8:9], 3, s[14:15]
	global_load_dwordx2 v[20:21], v[4:5], off
	v_cmp_le_i64_e32 vcc, s[42:43], v[8:9]
	v_lshl_add_u64 v[4:5], s[46:47], 0, v[0:1]
	v_lshlrev_b32_e32 v5, 2, v4
                                        ; implicit-def: $vgpr2
	s_waitcnt vmcnt(1)
	v_subrev_co_u32_e64 v22, s[2:3], s28, v6
	s_nop 1
	v_subbrev_co_u32_e64 v23, s[2:3], 0, v7, s[2:3]
	s_waitcnt vmcnt(0)
	v_subrev_co_u32_e64 v6, s[2:3], s28, v20
	s_nop 1
	v_subbrev_co_u32_e64 v7, s[2:3], 0, v21, s[2:3]
	v_cmp_lt_i64_e64 s[2:3], v[8:9], v[22:23]
	s_nop 1
	v_cndmask_b32_e64 v9, v15, v13, s[2:3]
	v_cndmask_b32_e64 v8, v14, v12, s[2:3]
	v_cmp_eq_u64_e64 s[2:3], v[6:7], v[8:9]
	s_or_b64 s[2:3], s[2:3], vcc
	s_and_saveexec_b64 s[48:49], s[2:3]
	s_xor_b64 s[2:3], exec, s[48:49]
; %bb.71:                               ;   in Loop: Header=BB71_66 Depth=1
	ds_read_b32 v2, v5
                                        ; implicit-def: $vgpr5
                                        ; implicit-def: $vgpr8_vgpr9
; %bb.72:                               ;   in Loop: Header=BB71_66 Depth=1
	s_andn2_saveexec_b64 s[48:49], s[2:3]
	s_cbranch_execz .LBB71_65
; %bb.73:                               ;   in Loop: Header=BB71_66 Depth=1
	v_cmp_gt_i64_e32 vcc, s[4:5], v[6:7]
	v_cmp_le_i64_e64 s[2:3], s[22:23], v[6:7]
	s_or_b64 s[2:3], vcc, s[2:3]
	v_lshl_add_u64 v[8:9], v[8:9], 1, s[18:19]
                                        ; implicit-def: $vgpr2
	s_and_saveexec_b64 s[50:51], s[2:3]
	s_xor_b64 s[2:3], exec, s[50:51]
	s_cbranch_execz .LBB71_75
; %bb.74:                               ;   in Loop: Header=BB71_66 Depth=1
	global_load_ushort v8, v[8:9], off
	s_waitcnt lgkmcnt(0)
	ds_read_b32 v2, v5
	s_waitcnt vmcnt(0)
	v_cvt_f32_f16_e32 v5, v8
	v_lshl_add_u64 v[8:9], v[6:7], 2, s[24:25]
	s_waitcnt lgkmcnt(0)
	v_mul_f32_e32 v5, v2, v5
	global_atomic_add_f32 v[8:9], v5, off
                                        ; implicit-def: $vgpr5
                                        ; implicit-def: $vgpr8_vgpr9
.LBB71_75:                              ;   in Loop: Header=BB71_66 Depth=1
	s_andn2_saveexec_b64 s[2:3], s[2:3]
	s_cbranch_execz .LBB71_64
; %bb.76:                               ;   in Loop: Header=BB71_66 Depth=1
	global_load_ushort v8, v[8:9], off
	s_waitcnt lgkmcnt(0)
	ds_read_b32 v2, v5
	s_waitcnt vmcnt(0)
	v_cvt_f32_f16_e32 v5, v8
	v_subrev_u32_e32 v8, s4, v6
	v_lshl_add_u32 v8, v8, 2, v16
	s_waitcnt lgkmcnt(0)
	v_mul_f32_e32 v5, v2, v5
	ds_add_f32 v8, v5
	s_branch .LBB71_64
.LBB71_77:
	s_or_b64 exec, exec, s[38:39]
                                        ; implicit-def: $vgpr8_vgpr9
                                        ; implicit-def: $vgpr10_vgpr11
.LBB71_78:
	s_andn2_saveexec_b64 s[16:17], s[16:17]
	s_cbranch_execz .LBB71_120
; %bb.79:
	s_add_u32 s36, s22, -1
	s_addc_u32 s37, s23, -1
	s_add_u32 s0, s22, -2
	s_addc_u32 s1, s23, -1
	s_cmp_lg_u64 s[20:21], s[0:1]
	s_cselect_b64 s[2:3], -1, 0
	s_cmp_eq_u64 s[20:21], s[0:1]
	v_mov_b64_e32 v[4:5], s[20:21]
	v_mov_b64_e32 v[6:7], s[36:37]
	s_cbranch_scc1 .LBB71_83
; %bb.80:
	s_mov_b64 s[38:39], 0
	v_mov_b64_e32 v[4:5], s[20:21]
	v_mov_b64_e32 v[6:7], s[36:37]
	v_mov_b32_e32 v3, 0
.LBB71_81:                              ; =>This Inner Loop Header: Depth=1
	v_lshl_add_u64 v[12:13], v[6:7], 0, v[4:5]
	v_lshrrev_b32_e32 v2, 31, v13
	v_lshl_add_u64 v[12:13], v[12:13], 0, v[2:3]
	v_ashrrev_i64 v[12:13], 1, v[12:13]
	v_lshl_add_u64 v[14:15], v[12:13], 3, s[12:13]
	global_load_dwordx2 v[14:15], v[14:15], off
	s_waitcnt vmcnt(0)
	v_subrev_co_u32_e32 v14, vcc, s28, v14
	s_nop 1
	v_subbrev_co_u32_e32 v15, vcc, 0, v15, vcc
	v_cmp_lt_i64_e32 vcc, v[10:11], v[14:15]
	s_nop 1
	v_cndmask_b32_e32 v7, v7, v13, vcc
	v_cndmask_b32_e32 v6, v6, v12, vcc
	;; [unrolled: 1-line block ×4, first 2 shown]
	v_lshl_add_u64 v[12:13], v[6:7], 0, -1
	v_cmp_ge_i64_e32 vcc, v[4:5], v[6:7]
	v_cmp_eq_u64_e64 s[0:1], v[4:5], v[12:13]
	s_or_b64 s[0:1], vcc, s[0:1]
	s_and_b64 s[0:1], exec, s[0:1]
	s_or_b64 s[38:39], s[0:1], s[38:39]
	s_andn2_b64 exec, exec, s[38:39]
	s_cbranch_execnz .LBB71_81
; %bb.82:
	s_or_b64 exec, exec, s[38:39]
.LBB71_83:
	v_lshl_add_u64 v[2:3], v[6:7], 3, s[12:13]
	global_load_dwordx2 v[12:13], v[2:3], off
	v_lshl_add_u64 v[2:3], v[10:11], 3, s[14:15]
	global_load_dwordx2 v[14:15], v[2:3], off
	s_lshl_b64 s[0:1], s[22:23], 3
	s_add_u32 s14, s12, s0
	s_addc_u32 s15, s13, s1
	s_waitcnt vmcnt(1)
	v_subrev_co_u32_e32 v12, vcc, s28, v12
	s_nop 1
	v_subbrev_co_u32_e32 v13, vcc, 0, v13, vcc
	v_cmp_lt_i64_e32 vcc, v[10:11], v[12:13]
	s_nop 1
	v_cndmask_b32_e32 v7, v7, v5, vcc
	v_cndmask_b32_e32 v6, v6, v4, vcc
	s_waitcnt vmcnt(0)
	v_subrev_co_u32_e32 v4, vcc, s28, v14
	s_nop 1
	v_subbrev_co_u32_e32 v5, vcc, 0, v15, vcc
	v_cmp_ne_u64_e32 vcc, v[4:5], v[6:7]
	s_and_saveexec_b64 s[38:39], vcc
	s_cbranch_execz .LBB71_89
; %bb.84:
	s_load_dwordx2 s[0:1], s[14:15], 0x0
	s_waitcnt lgkmcnt(0)
	s_sub_u32 s0, s0, s28
	s_subb_u32 s1, s1, 0
	v_cmp_gt_i64_e32 vcc, s[0:1], v[10:11]
	s_and_b64 exec, exec, vcc
	s_cbranch_execz .LBB71_89
; %bb.85:
	v_cmp_gt_i64_e32 vcc, s[4:5], v[4:5]
	v_cmp_le_i64_e64 s[0:1], s[22:23], v[4:5]
	s_or_b64 s[0:1], vcc, s[0:1]
	v_lshl_add_u64 v[6:7], v[6:7], 1, s[18:19]
	s_and_saveexec_b64 s[40:41], s[0:1]
	s_xor_b64 s[0:1], exec, s[40:41]
	s_cbranch_execz .LBB71_87
; %bb.86:
	global_load_ushort v6, v[6:7], off
	ds_read_b32 v12, v18
	s_waitcnt vmcnt(0)
	v_cvt_f32_f16_e32 v13, v6
	v_lshl_add_u64 v[6:7], v[4:5], 2, s[24:25]
	s_waitcnt lgkmcnt(0)
	v_mul_f32_e32 v12, v12, v13
	global_atomic_add_f32 v[6:7], v12, off
                                        ; implicit-def: $vgpr6_vgpr7
.LBB71_87:
	s_andn2_saveexec_b64 s[0:1], s[0:1]
	s_cbranch_execz .LBB71_89
; %bb.88:
	global_load_ushort v6, v[6:7], off
	ds_read_b32 v7, v18
	v_subrev_u32_e32 v12, s4, v4
	v_mov_b32_e32 v13, 0x1000
	v_lshl_add_u32 v12, v12, 2, v13
	s_waitcnt vmcnt(0)
	v_cvt_f32_f16_e32 v6, v6
	s_waitcnt lgkmcnt(0)
	v_mul_f32_e32 v6, v7, v6
	ds_add_f32 v12, v6
.LBB71_89:
	s_or_b64 exec, exec, s[38:39]
	v_lshl_add_u64 v[4:5], v[4:5], 1, s[18:19]
	global_load_ushort v4, v[4:5], off
	ds_read_b32 v12, v18
	s_mov_b64 s[0:1], 0x100
	v_cndmask_b32_e64 v13, 0, 1, s[2:3]
	v_mov_b64_e32 v[6:7], s[20:21]
	s_andn2_b64 vcc, exec, s[2:3]
	s_waitcnt vmcnt(0)
	v_cvt_f32_f16_e32 v14, v4
	v_lshl_add_u64 v[4:5], v[10:11], 0, s[0:1]
	v_cmp_ne_u32_e64 s[0:1], 1, v13
	s_waitcnt lgkmcnt(0)
	v_mul_f32_e32 v12, v12, v14
	ds_write_b32 v18, v12
	v_mov_b64_e32 v[12:13], s[36:37]
	s_cbranch_vccnz .LBB71_93
; %bb.90:
	s_mov_b64 s[38:39], 0
	v_mov_b64_e32 v[6:7], s[20:21]
	v_mov_b64_e32 v[12:13], s[36:37]
	v_mov_b32_e32 v15, 0
.LBB71_91:                              ; =>This Inner Loop Header: Depth=1
	v_lshl_add_u64 v[16:17], v[12:13], 0, v[6:7]
	v_lshrrev_b32_e32 v14, 31, v17
	v_lshl_add_u64 v[16:17], v[16:17], 0, v[14:15]
	v_ashrrev_i64 v[16:17], 1, v[16:17]
	v_lshl_add_u64 v[20:21], v[16:17], 3, s[12:13]
	global_load_dwordx2 v[20:21], v[20:21], off
	s_waitcnt vmcnt(0)
	v_subrev_co_u32_e32 v20, vcc, s28, v20
	s_nop 1
	v_subbrev_co_u32_e32 v21, vcc, 0, v21, vcc
	v_cmp_lt_i64_e32 vcc, v[4:5], v[20:21]
	s_nop 1
	v_cndmask_b32_e32 v13, v13, v17, vcc
	v_cndmask_b32_e32 v12, v12, v16, vcc
	;; [unrolled: 1-line block ×4, first 2 shown]
	v_lshl_add_u64 v[16:17], v[12:13], 0, -1
	v_cmp_ge_i64_e32 vcc, v[6:7], v[12:13]
	v_cmp_eq_u64_e64 s[2:3], v[6:7], v[16:17]
	s_or_b64 s[2:3], vcc, s[2:3]
	s_and_b64 s[2:3], exec, s[2:3]
	s_or_b64 s[38:39], s[2:3], s[38:39]
	s_andn2_b64 exec, exec, s[38:39]
	s_cbranch_execnz .LBB71_91
; %bb.92:
	s_or_b64 exec, exec, s[38:39]
.LBB71_93:
	v_lshl_add_u64 v[14:15], v[12:13], 3, s[12:13]
	global_load_dwordx2 v[16:17], v[14:15], off
	global_load_dwordx2 v[20:21], v[2:3], off offset:2048
	s_waitcnt vmcnt(1)
	v_subrev_co_u32_e32 v14, vcc, s28, v16
	s_nop 1
	v_subbrev_co_u32_e32 v15, vcc, 0, v17, vcc
	v_cmp_lt_i64_e32 vcc, v[4:5], v[14:15]
	s_nop 1
	v_cndmask_b32_e32 v13, v13, v7, vcc
	v_cndmask_b32_e32 v12, v12, v6, vcc
	s_waitcnt vmcnt(0)
	v_subrev_co_u32_e32 v6, vcc, s28, v20
	s_nop 1
	v_subbrev_co_u32_e32 v7, vcc, 0, v21, vcc
	v_cmp_ne_u64_e32 vcc, v[6:7], v[12:13]
	s_and_saveexec_b64 s[38:39], vcc
	s_cbranch_execz .LBB71_99
; %bb.94:
	s_load_dwordx2 s[2:3], s[14:15], 0x0
	s_waitcnt lgkmcnt(0)
	s_sub_u32 s2, s2, s28
	s_subb_u32 s3, s3, 0
	v_cmp_gt_i64_e32 vcc, s[2:3], v[4:5]
	s_and_b64 exec, exec, vcc
	s_cbranch_execz .LBB71_99
; %bb.95:
	v_cmp_gt_i64_e32 vcc, s[4:5], v[6:7]
	v_cmp_le_i64_e64 s[2:3], s[22:23], v[6:7]
	s_or_b64 s[2:3], vcc, s[2:3]
	v_lshl_add_u64 v[4:5], v[12:13], 1, s[18:19]
	s_and_saveexec_b64 s[40:41], s[2:3]
	s_xor_b64 s[2:3], exec, s[40:41]
	s_cbranch_execz .LBB71_97
; %bb.96:
	global_load_ushort v4, v[4:5], off
	ds_read_b32 v12, v18 offset:1024
	s_waitcnt vmcnt(0)
	v_cvt_f32_f16_e32 v13, v4
	v_lshl_add_u64 v[4:5], v[6:7], 2, s[24:25]
	s_waitcnt lgkmcnt(0)
	v_mul_f32_e32 v12, v12, v13
	global_atomic_add_f32 v[4:5], v12, off
                                        ; implicit-def: $vgpr4_vgpr5
.LBB71_97:
	s_andn2_saveexec_b64 s[2:3], s[2:3]
	s_cbranch_execz .LBB71_99
; %bb.98:
	global_load_ushort v4, v[4:5], off
	ds_read_b32 v5, v18 offset:1024
	v_subrev_u32_e32 v12, s4, v6
	v_mov_b32_e32 v13, 0x1000
	v_lshl_add_u32 v12, v12, 2, v13
	s_waitcnt vmcnt(0)
	v_cvt_f32_f16_e32 v4, v4
	s_waitcnt lgkmcnt(0)
	v_mul_f32_e32 v4, v5, v4
	ds_add_f32 v12, v4
.LBB71_99:
	s_or_b64 exec, exec, s[38:39]
	v_lshl_add_u64 v[4:5], v[6:7], 1, s[18:19]
	global_load_ushort v4, v[4:5], off
	ds_read_b32 v12, v18 offset:1024
	s_mov_b64 s[2:3], 0x200
	s_and_b64 vcc, exec, s[0:1]
	v_mov_b64_e32 v[6:7], s[20:21]
	s_waitcnt vmcnt(0)
	v_cvt_f32_f16_e32 v13, v4
	v_lshl_add_u64 v[4:5], v[10:11], 0, s[2:3]
	s_waitcnt lgkmcnt(0)
	v_mul_f32_e32 v10, v12, v13
	ds_write_b32 v18, v10 offset:1024
	v_mov_b64_e32 v[10:11], s[36:37]
	s_cbranch_vccnz .LBB71_103
; %bb.100:
	s_mov_b64 s[38:39], 0
	v_mov_b64_e32 v[6:7], s[20:21]
	v_mov_b64_e32 v[10:11], s[36:37]
	v_mov_b32_e32 v13, 0
.LBB71_101:                             ; =>This Inner Loop Header: Depth=1
	v_lshl_add_u64 v[14:15], v[10:11], 0, v[6:7]
	v_lshrrev_b32_e32 v12, 31, v15
	v_lshl_add_u64 v[14:15], v[14:15], 0, v[12:13]
	v_ashrrev_i64 v[14:15], 1, v[14:15]
	v_lshl_add_u64 v[16:17], v[14:15], 3, s[12:13]
	global_load_dwordx2 v[16:17], v[16:17], off
	s_waitcnt vmcnt(0)
	v_subrev_co_u32_e32 v16, vcc, s28, v16
	s_nop 1
	v_subbrev_co_u32_e32 v17, vcc, 0, v17, vcc
	v_cmp_lt_i64_e32 vcc, v[4:5], v[16:17]
	s_nop 1
	v_cndmask_b32_e32 v11, v11, v15, vcc
	v_cndmask_b32_e32 v10, v10, v14, vcc
	;; [unrolled: 1-line block ×4, first 2 shown]
	v_lshl_add_u64 v[14:15], v[10:11], 0, -1
	v_cmp_ge_i64_e32 vcc, v[6:7], v[10:11]
	v_cmp_eq_u64_e64 s[2:3], v[6:7], v[14:15]
	s_or_b64 s[2:3], vcc, s[2:3]
	s_and_b64 s[2:3], exec, s[2:3]
	s_or_b64 s[38:39], s[2:3], s[38:39]
	s_andn2_b64 exec, exec, s[38:39]
	s_cbranch_execnz .LBB71_101
; %bb.102:
	s_or_b64 exec, exec, s[38:39]
.LBB71_103:
	v_lshl_add_u64 v[12:13], v[10:11], 3, s[12:13]
	global_load_dwordx2 v[12:13], v[12:13], off
	v_add_co_u32_e32 v14, vcc, 0x1000, v2
	s_nop 1
	v_addc_co_u32_e32 v15, vcc, 0, v3, vcc
	global_load_dwordx2 v[14:15], v[14:15], off
	s_waitcnt vmcnt(1)
	v_subrev_co_u32_e32 v12, vcc, s28, v12
	s_nop 1
	v_subbrev_co_u32_e32 v13, vcc, 0, v13, vcc
	v_cmp_lt_i64_e32 vcc, v[4:5], v[12:13]
	s_nop 1
	v_cndmask_b32_e32 v11, v11, v7, vcc
	v_cndmask_b32_e32 v10, v10, v6, vcc
	s_waitcnt vmcnt(0)
	v_subrev_co_u32_e32 v6, vcc, s28, v14
	s_nop 1
	v_subbrev_co_u32_e32 v7, vcc, 0, v15, vcc
	v_cmp_ne_u64_e32 vcc, v[6:7], v[10:11]
	s_and_saveexec_b64 s[38:39], vcc
	s_cbranch_execz .LBB71_109
; %bb.104:
	s_load_dwordx2 s[2:3], s[14:15], 0x0
	s_waitcnt lgkmcnt(0)
	s_sub_u32 s2, s2, s28
	s_subb_u32 s3, s3, 0
	v_cmp_gt_i64_e32 vcc, s[2:3], v[4:5]
	s_and_b64 exec, exec, vcc
	s_cbranch_execz .LBB71_109
; %bb.105:
	v_cmp_gt_i64_e32 vcc, s[4:5], v[6:7]
	v_cmp_le_i64_e64 s[2:3], s[22:23], v[6:7]
	s_or_b64 s[2:3], vcc, s[2:3]
	v_lshl_add_u64 v[4:5], v[10:11], 1, s[18:19]
	s_and_saveexec_b64 s[40:41], s[2:3]
	s_xor_b64 s[2:3], exec, s[40:41]
	s_cbranch_execz .LBB71_107
; %bb.106:
	global_load_ushort v4, v[4:5], off
	ds_read_b32 v10, v18 offset:2048
	s_waitcnt vmcnt(0)
	v_cvt_f32_f16_e32 v11, v4
	v_lshl_add_u64 v[4:5], v[6:7], 2, s[24:25]
	s_waitcnt lgkmcnt(0)
	v_mul_f32_e32 v10, v10, v11
	global_atomic_add_f32 v[4:5], v10, off
                                        ; implicit-def: $vgpr4_vgpr5
.LBB71_107:
	s_andn2_saveexec_b64 s[2:3], s[2:3]
	s_cbranch_execz .LBB71_109
; %bb.108:
	global_load_ushort v4, v[4:5], off
	ds_read_b32 v5, v18 offset:2048
	v_subrev_u32_e32 v10, s4, v6
	v_mov_b32_e32 v11, 0x1000
	v_lshl_add_u32 v10, v10, 2, v11
	s_waitcnt vmcnt(0)
	v_cvt_f32_f16_e32 v4, v4
	s_waitcnt lgkmcnt(0)
	v_mul_f32_e32 v4, v5, v4
	ds_add_f32 v10, v4
.LBB71_109:
	s_or_b64 exec, exec, s[38:39]
	v_lshl_add_u64 v[4:5], v[6:7], 1, s[18:19]
	global_load_ushort v4, v[4:5], off
	ds_read_b32 v6, v18 offset:2048
	s_and_b64 vcc, exec, s[0:1]
	s_waitcnt vmcnt(0)
	v_cvt_f32_f16_e32 v7, v4
	v_mov_b64_e32 v[4:5], s[20:21]
	s_waitcnt lgkmcnt(0)
	v_mul_f32_e32 v6, v6, v7
	ds_write_b32 v18, v6 offset:2048
	v_mov_b64_e32 v[6:7], s[36:37]
	s_cbranch_vccnz .LBB71_113
; %bb.110:
	s_mov_b64 s[2:3], 0
	v_mov_b64_e32 v[4:5], s[20:21]
	v_mov_b64_e32 v[6:7], s[36:37]
	v_mov_b32_e32 v11, 0
.LBB71_111:                             ; =>This Inner Loop Header: Depth=1
	v_lshl_add_u64 v[12:13], v[6:7], 0, v[4:5]
	v_lshrrev_b32_e32 v10, 31, v13
	v_lshl_add_u64 v[12:13], v[12:13], 0, v[10:11]
	v_ashrrev_i64 v[12:13], 1, v[12:13]
	v_lshl_add_u64 v[14:15], v[12:13], 3, s[12:13]
	global_load_dwordx2 v[14:15], v[14:15], off
	s_waitcnt vmcnt(0)
	v_subrev_co_u32_e32 v14, vcc, s28, v14
	s_nop 1
	v_subbrev_co_u32_e32 v15, vcc, 0, v15, vcc
	v_cmp_lt_i64_e32 vcc, v[8:9], v[14:15]
	s_nop 1
	v_cndmask_b32_e32 v7, v7, v13, vcc
	v_cndmask_b32_e32 v6, v6, v12, vcc
	;; [unrolled: 1-line block ×4, first 2 shown]
	v_lshl_add_u64 v[12:13], v[6:7], 0, -1
	v_cmp_ge_i64_e32 vcc, v[4:5], v[6:7]
	v_cmp_eq_u64_e64 s[0:1], v[4:5], v[12:13]
	s_or_b64 s[0:1], vcc, s[0:1]
	s_and_b64 s[0:1], exec, s[0:1]
	s_or_b64 s[2:3], s[0:1], s[2:3]
	s_andn2_b64 exec, exec, s[2:3]
	s_cbranch_execnz .LBB71_111
; %bb.112:
	s_or_b64 exec, exec, s[2:3]
.LBB71_113:
	v_lshl_add_u64 v[10:11], v[6:7], 3, s[12:13]
	global_load_dwordx2 v[10:11], v[10:11], off
	v_add_co_u32_e32 v2, vcc, 0x1000, v2
	s_nop 1
	v_addc_co_u32_e32 v3, vcc, 0, v3, vcc
	global_load_dwordx2 v[2:3], v[2:3], off offset:2048
	s_waitcnt vmcnt(1)
	v_subrev_co_u32_e32 v10, vcc, s28, v10
	s_nop 1
	v_subbrev_co_u32_e32 v11, vcc, 0, v11, vcc
	v_cmp_lt_i64_e32 vcc, v[8:9], v[10:11]
	s_nop 1
	v_cndmask_b32_e32 v5, v7, v5, vcc
	v_cndmask_b32_e32 v4, v6, v4, vcc
	s_waitcnt vmcnt(0)
	v_subrev_co_u32_e32 v2, vcc, s28, v2
	s_nop 1
	v_subbrev_co_u32_e32 v3, vcc, 0, v3, vcc
	v_cmp_ne_u64_e32 vcc, v[2:3], v[4:5]
	s_and_saveexec_b64 s[2:3], vcc
	s_cbranch_execz .LBB71_119
; %bb.114:
	s_load_dwordx2 s[0:1], s[14:15], 0x0
	s_waitcnt lgkmcnt(0)
	s_sub_u32 s0, s0, s28
	s_subb_u32 s1, s1, 0
	v_cmp_gt_i64_e32 vcc, s[0:1], v[8:9]
	s_and_b64 exec, exec, vcc
	s_cbranch_execz .LBB71_119
; %bb.115:
	v_cmp_gt_i64_e32 vcc, s[4:5], v[2:3]
	v_cmp_le_i64_e64 s[0:1], s[22:23], v[2:3]
	s_or_b64 s[0:1], vcc, s[0:1]
	v_lshl_add_u64 v[4:5], v[4:5], 1, s[18:19]
	s_and_saveexec_b64 s[14:15], s[0:1]
	s_xor_b64 s[0:1], exec, s[14:15]
	s_cbranch_execz .LBB71_117
; %bb.116:
	global_load_ushort v4, v[4:5], off
	ds_read_b32 v6, v18 offset:3072
	s_waitcnt vmcnt(0)
	v_cvt_f32_f16_e32 v7, v4
	v_lshl_add_u64 v[4:5], v[2:3], 2, s[24:25]
	s_waitcnt lgkmcnt(0)
	v_mul_f32_e32 v6, v6, v7
	global_atomic_add_f32 v[4:5], v6, off
                                        ; implicit-def: $vgpr4_vgpr5
.LBB71_117:
	s_andn2_saveexec_b64 s[0:1], s[0:1]
	s_cbranch_execz .LBB71_119
; %bb.118:
	global_load_ushort v4, v[4:5], off
	ds_read_b32 v5, v18 offset:3072
	v_subrev_u32_e32 v6, s4, v2
	v_mov_b32_e32 v7, 0x1000
	v_lshl_add_u32 v6, v6, 2, v7
	s_waitcnt vmcnt(0)
	v_cvt_f32_f16_e32 v4, v4
	s_waitcnt lgkmcnt(0)
	v_mul_f32_e32 v4, v5, v4
	ds_add_f32 v6, v4
.LBB71_119:
	s_or_b64 exec, exec, s[2:3]
	v_lshl_add_u64 v[2:3], v[2:3], 1, s[18:19]
	global_load_ushort v2, v[2:3], off
	ds_read_b32 v3, v18 offset:3072
	s_waitcnt vmcnt(0)
	v_cvt_f32_f16_e32 v2, v2
	s_waitcnt lgkmcnt(0)
	v_mul_f32_e32 v2, v3, v2
	ds_write_b32 v18, v2 offset:3072
.LBB71_120:
	s_or_b64 exec, exec, s[16:17]
	v_mov_b64_e32 v[2:3], s[6:7]
	v_cmp_lt_i64_e32 vcc, s[22:23], v[2:3]
	s_and_b64 s[0:1], vcc, exec
	s_cselect_b32 s16, s22, s6
	s_cselect_b32 s0, s23, s7
	s_sub_u32 s2, s16, s26
	s_subb_u32 s3, s0, s27
	v_cmp_gt_i64_e32 vcc, s[2:3], v[0:1]
	s_waitcnt lgkmcnt(0)
	s_barrier
	s_and_saveexec_b64 s[0:1], vcc
	s_cbranch_execz .LBB71_123
; %bb.121:
	v_mov_b64_e32 v[2:3], s[6:7]
	v_cmp_gt_i64_e32 vcc, s[22:23], v[2:3]
	s_and_b64 s[4:5], vcc, exec
	s_cselect_b32 s5, s23, s7
	s_cselect_b32 s4, s22, s6
	v_lshlrev_b32_e32 v2, 2, v0
	v_mov_b32_e32 v3, 0
	v_lshl_add_u64 v[2:3], s[4:5], 2, v[2:3]
	s_lshl_b64 s[4:5], s[6:7], 2
	v_mov_b32_e32 v4, s5
	v_subrev_co_u32_e32 v2, vcc, s4, v2
	s_mov_b64 s[4:5], 0
	s_nop 0
	v_subb_co_u32_e32 v3, vcc, v3, v4, vcc
	v_mov_b32_e32 v4, 0x1000
	v_lshl_add_u64 v[2:3], s[24:25], 0, v[2:3]
	v_lshl_add_u32 v6, v0, 2, v4
	s_mov_b64 s[6:7], 0x100
	s_mov_b64 s[14:15], 0x400
	v_mov_b64_e32 v[4:5], v[0:1]
.LBB71_122:                             ; =>This Inner Loop Header: Depth=1
	ds_read_b32 v7, v6
	v_lshl_add_u64 v[4:5], v[4:5], 0, s[6:7]
	v_cmp_le_i64_e32 vcc, s[2:3], v[4:5]
	v_add_u32_e32 v6, 0x400, v6
	s_or_b64 s[4:5], vcc, s[4:5]
	s_waitcnt lgkmcnt(0)
	global_atomic_add_f32 v[2:3], v7, off
	v_lshl_add_u64 v[2:3], v[2:3], 0, s[14:15]
	s_andn2_b64 exec, exec, s[4:5]
	s_cbranch_execnz .LBB71_122
.LBB71_123:
	s_or_b64 exec, exec, s[0:1]
	s_add_i32 s0, s34, -1
	s_ashr_i32 s1, s0, 1
	s_or_b32 s0, s1, s0
	s_ashr_i32 s1, s0, 2
	s_or_b32 s0, s1, s0
	;; [unrolled: 2-line block ×5, first 2 shown]
	s_add_i32 s0, s0, 1
	s_ashr_i32 s3, s0, 1
	v_lshl_add_u64 v[6:7], s[20:21], 0, v[0:1]
	s_cmp_gt_i32 s3, 1
	s_mov_b64 s[0:1], -1
	s_barrier
	s_cbranch_scc1 .LBB71_132
; %bb.124:
	v_cmp_gt_i64_e32 vcc, s[22:23], v[6:7]
	s_and_saveexec_b64 s[0:1], vcc
	s_cbranch_execz .LBB71_131
; %bb.125:
	s_sub_i32 s4, s16, s22
	s_lshl_b32 s4, s4, 2
	s_add_i32 s16, s4, 0x1000
	s_lshl_b32 s4, s8, 2
	s_sub_i32 s17, 0, s4
	s_mov_b64 s[4:5], 0
	v_mov_b64_e32 v[8:9], v[6:7]
	s_branch .LBB71_127
.LBB71_126:                             ;   in Loop: Header=BB71_127 Depth=1
	s_or_b64 exec, exec, s[6:7]
	v_lshl_add_u32 v2, v8, 2, s16
	ds_read_b32 v2, v2
	s_waitcnt lgkmcnt(0)
	v_add_f32_e32 v4, v12, v2
	v_lshl_add_u64 v[2:3], v[8:9], 2, s[24:25]
	global_atomic_add_f32 v[2:3], v4, off
	v_lshl_add_u64 v[8:9], v[8:9], 0, s[30:31]
	v_cmp_le_i64_e32 vcc, s[22:23], v[8:9]
	s_or_b64 s[4:5], vcc, s[4:5]
	s_andn2_b64 exec, exec, s[4:5]
	s_cbranch_execz .LBB71_131
.LBB71_127:                             ; =>This Loop Header: Depth=1
                                        ;     Child Loop BB71_129 Depth 2
	v_lshl_add_u64 v[2:3], v[8:9], 3, s[12:13]
	global_load_dwordx4 v[2:5], v[2:3], off
	v_mov_b32_e32 v12, 0
	s_waitcnt vmcnt(0)
	v_cmp_lt_i64_e32 vcc, v[2:3], v[4:5]
	s_and_saveexec_b64 s[6:7], vcc
	s_cbranch_execz .LBB71_126
; %bb.128:                              ;   in Loop: Header=BB71_127 Depth=1
	v_mov_b32_e32 v10, s9
	v_subrev_co_u32_e32 v4, vcc, s8, v4
	v_mov_b32_e32 v11, s9
	s_nop 0
	v_subb_co_u32_e32 v5, vcc, v5, v10, vcc
	v_subrev_co_u32_e32 v10, vcc, s8, v2
	v_lshl_add_u32 v2, v2, 2, s17
	s_nop 0
	v_subb_co_u32_e32 v11, vcc, v3, v11, vcc
	v_mov_b32_e32 v12, 0
	s_mov_b64 s[14:15], 0
.LBB71_129:                             ;   Parent Loop BB71_127 Depth=1
                                        ; =>  This Inner Loop Header: Depth=2
	ds_read_b32 v3, v2
	v_lshl_add_u64 v[10:11], v[10:11], 0, 1
	v_cmp_ge_i64_e32 vcc, v[10:11], v[4:5]
	v_add_u32_e32 v2, 4, v2
	s_or_b64 s[14:15], vcc, s[14:15]
	s_waitcnt lgkmcnt(0)
	v_add_f32_e32 v12, v12, v3
	s_andn2_b64 exec, exec, s[14:15]
	s_cbranch_execnz .LBB71_129
; %bb.130:                              ;   in Loop: Header=BB71_127 Depth=1
	s_or_b64 exec, exec, s[14:15]
	s_branch .LBB71_126
.LBB71_131:
	s_or_b64 exec, exec, s[0:1]
	s_mov_b64 s[0:1], 0
.LBB71_132:
	s_andn2_b64 vcc, exec, s[0:1]
	s_cbranch_vccnz .LBB71_149
; %bb.133:
	v_cvt_f32_u32_e32 v2, s3
	s_sub_i32 s12, 0, s3
	v_mov_b32_e32 v5, 0
	v_mov_b32_e32 v13, s9
	v_rcp_iflag_f32_e32 v2, v2
	s_nop 0
	v_mul_f32_e32 v2, 0x4f7ffffe, v2
	v_cvt_u32_f32_e32 v2, v2
	v_mul_lo_u32 v3, s12, v2
	v_mul_hi_u32 v3, v2, v3
	v_add_u32_e32 v2, v2, v3
	v_mul_hi_u32 v2, v0, v2
	v_mul_lo_u32 v3, v2, s3
	v_sub_u32_e32 v3, v0, v3
	v_add_u32_e32 v4, 1, v2
	v_cmp_le_u32_e32 vcc, s3, v3
	s_nop 1
	v_cndmask_b32_e32 v2, v2, v4, vcc
	v_subrev_u32_e32 v4, s3, v3
	v_cndmask_b32_e32 v3, v3, v4, vcc
	v_add_u32_e32 v4, 1, v2
	v_cmp_le_u32_e32 vcc, s3, v3
	s_nop 1
	v_cndmask_b32_e32 v4, v2, v4, vcc
	v_lshl_add_u64 v[2:3], v[4:5], 3, s[10:11]
	global_load_dwordx4 v[8:11], v[2:3], off
	v_mov_b32_e32 v3, s9
	s_waitcnt vmcnt(0)
	v_subrev_co_u32_e32 v2, vcc, s8, v8
	s_nop 1
	v_subb_co_u32_e32 v3, vcc, v9, v3, vcc
	v_subrev_co_u32_e32 v12, vcc, s8, v10
	v_mov_b32_e32 v10, v5
	s_nop 0
	v_subb_co_u32_e32 v13, vcc, v11, v13, vcc
	v_sub_co_u32_e32 v8, vcc, v12, v2
	s_nop 1
	v_subb_co_u32_e32 v9, vcc, v13, v3, vcc
	v_mov_b32_e32 v11, v9
	v_cmp_ne_u64_e32 vcc, 0, v[10:11]
                                        ; implicit-def: $vgpr10_vgpr11
	s_and_saveexec_b64 s[0:1], vcc
	s_xor_b64 s[4:5], exec, s[0:1]
	s_cbranch_execz .LBB71_135
; %bb.134:
	s_add_u32 s0, s3, 0
	s_addc_u32 s1, 0, 0
	s_xor_b64 s[6:7], s[0:1], 0
	v_cvt_f32_u32_e32 v10, s6
	v_cvt_f32_u32_e32 v11, s7
	s_sub_u32 s8, 0, s6
	s_subb_u32 s9, 0, s7
	v_ashrrev_i32_e32 v14, 31, v9
	v_fmamk_f32 v10, v11, 0x4f800000, v10
	v_rcp_f32_e32 v10, v10
	v_mov_b32_e32 v15, v14
	v_lshl_add_u64 v[8:9], v[8:9], 0, v[14:15]
	v_xor_b32_e32 v19, v8, v14
	v_mul_f32_e32 v10, 0x5f7ffffc, v10
	v_mul_f32_e32 v11, 0x2f800000, v10
	v_trunc_f32_e32 v11, v11
	v_fmamk_f32 v10, v11, 0xcf800000, v10
	v_cvt_u32_f32_e32 v11, v11
	v_cvt_u32_f32_e32 v10, v10
	v_xor_b32_e32 v15, v9, v14
	v_readfirstlane_b32 s10, v11
	v_readfirstlane_b32 s0, v10
	s_mul_i32 s1, s8, s10
	s_mul_hi_u32 s13, s8, s0
	s_mul_i32 s11, s9, s0
	s_add_i32 s1, s13, s1
	s_mul_i32 s14, s8, s0
	s_add_i32 s1, s1, s11
	s_mul_i32 s13, s0, s1
	s_mul_hi_u32 s15, s0, s14
	s_mul_hi_u32 s11, s0, s1
	s_add_u32 s13, s15, s13
	s_addc_u32 s11, 0, s11
	s_mul_hi_u32 s16, s10, s14
	s_mul_i32 s14, s10, s14
	s_add_u32 s13, s13, s14
	s_mul_hi_u32 s15, s10, s1
	s_addc_u32 s11, s11, s16
	s_addc_u32 s13, s15, 0
	s_mul_i32 s1, s10, s1
	s_add_u32 s1, s11, s1
	s_addc_u32 s11, 0, s13
	s_add_u32 s13, s0, s1
	s_cselect_b64 s[0:1], -1, 0
	s_cmp_lg_u64 s[0:1], 0
	s_addc_u32 s10, s10, s11
	s_mul_i32 s0, s8, s10
	s_mul_hi_u32 s1, s8, s13
	s_add_i32 s0, s1, s0
	s_mul_i32 s9, s9, s13
	s_add_i32 s0, s0, s9
	s_mul_i32 s8, s8, s13
	s_mul_hi_u32 s9, s10, s8
	s_mul_i32 s11, s10, s8
	s_mul_i32 s15, s13, s0
	s_mul_hi_u32 s8, s13, s8
	s_mul_hi_u32 s14, s13, s0
	s_add_u32 s8, s8, s15
	s_addc_u32 s14, 0, s14
	s_add_u32 s8, s8, s11
	s_mul_hi_u32 s1, s10, s0
	s_addc_u32 s8, s14, s9
	s_addc_u32 s1, s1, 0
	s_mul_i32 s0, s10, s0
	s_add_u32 s0, s8, s0
	s_addc_u32 s8, 0, s1
	s_add_u32 s9, s13, s0
	s_cselect_b64 s[0:1], -1, 0
	s_cmp_lg_u64 s[0:1], 0
	s_addc_u32 s8, s10, s8
	v_mad_u64_u32 v[8:9], s[0:1], v19, s8, 0
	v_mul_hi_u32 v10, v19, s9
	v_mov_b32_e32 v11, v5
	v_lshl_add_u64 v[8:9], v[10:11], 0, v[8:9]
	v_mad_u64_u32 v[16:17], s[0:1], v15, s9, 0
	v_add_co_u32_e32 v8, vcc, v8, v16
	v_mad_u64_u32 v[10:11], s[0:1], v15, s8, 0
	s_nop 0
	v_addc_co_u32_e32 v8, vcc, v9, v17, vcc
	v_mov_b32_e32 v9, v5
	s_nop 0
	v_addc_co_u32_e32 v11, vcc, 0, v11, vcc
	v_lshl_add_u64 v[8:9], v[8:9], 0, v[10:11]
	v_mul_lo_u32 v16, s7, v8
	v_mul_lo_u32 v17, s6, v9
	v_mad_u64_u32 v[10:11], s[0:1], s6, v8, 0
	v_add3_u32 v20, v11, v17, v16
	v_sub_u32_e32 v11, v15, v20
	v_mov_b32_e32 v16, s7
	v_sub_co_u32_e32 v19, vcc, v19, v10
	s_nop 1
	v_subb_co_u32_e64 v10, s[0:1], v11, v16, vcc
	v_subrev_co_u32_e64 v11, s[0:1], s6, v19
	v_subb_co_u32_e32 v15, vcc, v15, v20, vcc
	s_nop 0
	v_subbrev_co_u32_e64 v10, s[0:1], 0, v10, s[0:1]
	v_cmp_le_u32_e64 s[0:1], s7, v10
	v_cmp_le_u32_e32 vcc, s7, v15
	s_nop 0
	v_cndmask_b32_e64 v16, 0, -1, s[0:1]
	v_cmp_le_u32_e64 s[0:1], s6, v11
	s_nop 1
	v_cndmask_b32_e64 v11, 0, -1, s[0:1]
	v_cmp_eq_u32_e64 s[0:1], s7, v10
	s_nop 1
	v_cndmask_b32_e64 v21, v16, v11, s[0:1]
	v_lshl_add_u64 v[10:11], v[8:9], 0, 2
	v_lshl_add_u64 v[16:17], v[8:9], 0, 1
	v_cmp_ne_u32_e64 s[0:1], 0, v21
	s_nop 1
	v_cndmask_b32_e64 v11, v17, v11, s[0:1]
	v_cndmask_b32_e64 v17, 0, -1, vcc
	v_cmp_le_u32_e32 vcc, s6, v19
	v_cndmask_b32_e64 v10, v16, v10, s[0:1]
	s_nop 0
	v_cndmask_b32_e64 v19, 0, -1, vcc
	v_cmp_eq_u32_e32 vcc, s7, v15
	s_nop 1
	v_cndmask_b32_e32 v15, v17, v19, vcc
	v_cmp_ne_u32_e32 vcc, 0, v15
	s_nop 1
	v_cndmask_b32_e32 v8, v8, v10, vcc
	v_cndmask_b32_e32 v9, v9, v11, vcc
	v_xor_b32_e32 v8, v8, v14
	v_xor_b32_e32 v9, v9, v14
	v_sub_co_u32_e32 v10, vcc, v8, v14
                                        ; implicit-def: $vgpr8
	s_nop 1
	v_subb_co_u32_e32 v11, vcc, v9, v14, vcc
.LBB71_135:
	s_andn2_saveexec_b64 s[0:1], s[4:5]
	s_cbranch_execz .LBB71_137
; %bb.136:
	v_cvt_f32_u32_e32 v9, s3
	v_rcp_iflag_f32_e32 v9, v9
	s_nop 0
	v_mul_f32_e32 v9, 0x4f7ffffe, v9
	v_cvt_u32_f32_e32 v9, v9
	v_mul_lo_u32 v10, s12, v9
	v_mul_hi_u32 v10, v9, v10
	v_add_u32_e32 v9, v9, v10
	v_mul_hi_u32 v9, v8, v9
	v_mul_lo_u32 v10, v9, s3
	v_sub_u32_e32 v8, v8, v10
	v_add_u32_e32 v11, 1, v9
	v_subrev_u32_e32 v10, s3, v8
	v_cmp_le_u32_e32 vcc, s3, v8
	s_nop 1
	v_cndmask_b32_e32 v8, v8, v10, vcc
	v_cndmask_b32_e32 v9, v9, v11, vcc
	v_add_u32_e32 v10, 1, v9
	v_cmp_le_u32_e32 vcc, s3, v8
	v_mov_b32_e32 v11, 0
	s_nop 0
	v_cndmask_b32_e32 v10, v9, v10, vcc
.LBB71_137:
	s_or_b64 exec, exec, s[0:1]
	v_cmp_gt_i64_e32 vcc, s[26:27], v[4:5]
	v_mov_b32_e32 v14, 0
	s_and_saveexec_b64 s[0:1], vcc
	s_cbranch_execz .LBB71_145
; %bb.138:
	s_add_i32 s4, s3, -1
	v_and_b32_e32 v4, s4, v0
	s_mov_b64 s[4:5], 0
	v_cmp_lt_i64_e32 vcc, 0, v[10:11]
	v_mov_b32_e32 v14, 0
	v_lshlrev_b32_e32 v15, 2, v4
	s_and_saveexec_b64 s[6:7], vcc
	s_cbranch_execz .LBB71_142
; %bb.139:
	v_lshl_add_u32 v5, v2, 2, v15
	s_lshl_b32 s8, s3, 2
	v_mov_b32_e32 v14, 0
	v_mov_b64_e32 v[8:9], v[10:11]
.LBB71_140:                             ; =>This Inner Loop Header: Depth=1
	ds_read_b32 v16, v5
	v_lshl_add_u64 v[8:9], v[8:9], 0, -1
	v_cmp_eq_u64_e32 vcc, 0, v[8:9]
	v_add_u32_e32 v5, s8, v5
	s_or_b64 s[4:5], vcc, s[4:5]
	s_waitcnt lgkmcnt(0)
	v_add_f32_e32 v14, v14, v16
	s_andn2_b64 exec, exec, s[4:5]
	s_cbranch_execnz .LBB71_140
; %bb.141:
	s_or_b64 exec, exec, s[4:5]
.LBB71_142:
	s_or_b64 exec, exec, s[6:7]
	v_mad_u64_u32 v[2:3], s[4:5], v10, s3, v[2:3]
	v_mov_b32_e32 v8, v3
	v_mad_u64_u32 v[8:9], s[4:5], v11, s3, v[8:9]
	v_sub_co_u32_e32 v10, vcc, v12, v2
	v_mov_b32_e32 v5, 0
	s_nop 0
	v_subb_co_u32_e32 v11, vcc, v13, v8, vcc
	v_cmp_gt_i64_e32 vcc, v[10:11], v[4:5]
	s_and_saveexec_b64 s[4:5], vcc
	s_cbranch_execz .LBB71_144
; %bb.143:
	v_lshl_add_u32 v2, v2, 2, v15
	ds_read_b32 v2, v2
	s_waitcnt lgkmcnt(0)
	v_add_f32_e32 v14, v14, v2
.LBB71_144:
	s_or_b64 exec, exec, s[4:5]
.LBB71_145:
	s_or_b64 exec, exec, s[0:1]
	v_cmp_gt_i64_e32 vcc, s[26:27], v[0:1]
	s_barrier
	ds_write_b32 v18, v14
	s_waitcnt lgkmcnt(0)
	s_barrier
	s_and_saveexec_b64 s[0:1], vcc
	s_cbranch_execz .LBB71_149
; %bb.146:
	v_mul_lo_u32 v1, s3, v0
	v_lshlrev_b32_e32 v2, 2, v1
	v_mov_b32_e32 v1, 0
.LBB71_147:                             ; =>This Inner Loop Header: Depth=1
	ds_read_b32 v3, v2
	s_add_i32 s3, s3, -1
	v_add_u32_e32 v2, 4, v2
	s_cmp_eq_u32 s3, 0
	s_waitcnt lgkmcnt(0)
	v_add_f32_e32 v1, v1, v3
	s_cbranch_scc0 .LBB71_147
; %bb.148:
	s_lshl_b32 s0, s2, 2
	s_addk_i32 s0, 0x1000
	v_lshl_add_u32 v0, v0, 2, s0
	ds_read_b32 v0, v0
	s_waitcnt lgkmcnt(0)
	v_add_f32_e32 v2, v1, v0
	v_lshl_add_u64 v[0:1], v[6:7], 2, s[24:25]
	global_atomic_add_f32 v[0:1], v2, off
.LBB71_149:
	s_endpgm
	.section	.rodata,"a",@progbits
	.p2align	6, 0x0
	.amdhsa_kernel _ZN9rocsparseL27csrmvn_symm_adaptive_kernelIllDF16_DF16_ffEEvbT_S1_PKS1_NS_24const_host_device_scalarIT4_EES3_PKT0_PKT1_PKT2_S6_PT3_21rocsparse_index_base_b
		.amdhsa_group_segment_fixed_size 4096
		.amdhsa_private_segment_fixed_size 0
		.amdhsa_kernarg_size 352
		.amdhsa_user_sgpr_count 2
		.amdhsa_user_sgpr_dispatch_ptr 0
		.amdhsa_user_sgpr_queue_ptr 0
		.amdhsa_user_sgpr_kernarg_segment_ptr 1
		.amdhsa_user_sgpr_dispatch_id 0
		.amdhsa_user_sgpr_kernarg_preload_length 0
		.amdhsa_user_sgpr_kernarg_preload_offset 0
		.amdhsa_user_sgpr_private_segment_size 0
		.amdhsa_uses_dynamic_stack 0
		.amdhsa_enable_private_segment 0
		.amdhsa_system_sgpr_workgroup_id_x 1
		.amdhsa_system_sgpr_workgroup_id_y 0
		.amdhsa_system_sgpr_workgroup_id_z 0
		.amdhsa_system_sgpr_workgroup_info 0
		.amdhsa_system_vgpr_workitem_id 0
		.amdhsa_next_free_vgpr 24
		.amdhsa_next_free_sgpr 52
		.amdhsa_accum_offset 24
		.amdhsa_reserve_vcc 1
		.amdhsa_float_round_mode_32 0
		.amdhsa_float_round_mode_16_64 0
		.amdhsa_float_denorm_mode_32 3
		.amdhsa_float_denorm_mode_16_64 3
		.amdhsa_dx10_clamp 1
		.amdhsa_ieee_mode 1
		.amdhsa_fp16_overflow 0
		.amdhsa_tg_split 0
		.amdhsa_exception_fp_ieee_invalid_op 0
		.amdhsa_exception_fp_denorm_src 0
		.amdhsa_exception_fp_ieee_div_zero 0
		.amdhsa_exception_fp_ieee_overflow 0
		.amdhsa_exception_fp_ieee_underflow 0
		.amdhsa_exception_fp_ieee_inexact 0
		.amdhsa_exception_int_div_zero 0
	.end_amdhsa_kernel
	.section	.text._ZN9rocsparseL27csrmvn_symm_adaptive_kernelIllDF16_DF16_ffEEvbT_S1_PKS1_NS_24const_host_device_scalarIT4_EES3_PKT0_PKT1_PKT2_S6_PT3_21rocsparse_index_base_b,"axG",@progbits,_ZN9rocsparseL27csrmvn_symm_adaptive_kernelIllDF16_DF16_ffEEvbT_S1_PKS1_NS_24const_host_device_scalarIT4_EES3_PKT0_PKT1_PKT2_S6_PT3_21rocsparse_index_base_b,comdat
.Lfunc_end71:
	.size	_ZN9rocsparseL27csrmvn_symm_adaptive_kernelIllDF16_DF16_ffEEvbT_S1_PKS1_NS_24const_host_device_scalarIT4_EES3_PKT0_PKT1_PKT2_S6_PT3_21rocsparse_index_base_b, .Lfunc_end71-_ZN9rocsparseL27csrmvn_symm_adaptive_kernelIllDF16_DF16_ffEEvbT_S1_PKS1_NS_24const_host_device_scalarIT4_EES3_PKT0_PKT1_PKT2_S6_PT3_21rocsparse_index_base_b
                                        ; -- End function
	.set _ZN9rocsparseL27csrmvn_symm_adaptive_kernelIllDF16_DF16_ffEEvbT_S1_PKS1_NS_24const_host_device_scalarIT4_EES3_PKT0_PKT1_PKT2_S6_PT3_21rocsparse_index_base_b.num_vgpr, 24
	.set _ZN9rocsparseL27csrmvn_symm_adaptive_kernelIllDF16_DF16_ffEEvbT_S1_PKS1_NS_24const_host_device_scalarIT4_EES3_PKT0_PKT1_PKT2_S6_PT3_21rocsparse_index_base_b.num_agpr, 0
	.set _ZN9rocsparseL27csrmvn_symm_adaptive_kernelIllDF16_DF16_ffEEvbT_S1_PKS1_NS_24const_host_device_scalarIT4_EES3_PKT0_PKT1_PKT2_S6_PT3_21rocsparse_index_base_b.numbered_sgpr, 52
	.set _ZN9rocsparseL27csrmvn_symm_adaptive_kernelIllDF16_DF16_ffEEvbT_S1_PKS1_NS_24const_host_device_scalarIT4_EES3_PKT0_PKT1_PKT2_S6_PT3_21rocsparse_index_base_b.num_named_barrier, 0
	.set _ZN9rocsparseL27csrmvn_symm_adaptive_kernelIllDF16_DF16_ffEEvbT_S1_PKS1_NS_24const_host_device_scalarIT4_EES3_PKT0_PKT1_PKT2_S6_PT3_21rocsparse_index_base_b.private_seg_size, 0
	.set _ZN9rocsparseL27csrmvn_symm_adaptive_kernelIllDF16_DF16_ffEEvbT_S1_PKS1_NS_24const_host_device_scalarIT4_EES3_PKT0_PKT1_PKT2_S6_PT3_21rocsparse_index_base_b.uses_vcc, 1
	.set _ZN9rocsparseL27csrmvn_symm_adaptive_kernelIllDF16_DF16_ffEEvbT_S1_PKS1_NS_24const_host_device_scalarIT4_EES3_PKT0_PKT1_PKT2_S6_PT3_21rocsparse_index_base_b.uses_flat_scratch, 0
	.set _ZN9rocsparseL27csrmvn_symm_adaptive_kernelIllDF16_DF16_ffEEvbT_S1_PKS1_NS_24const_host_device_scalarIT4_EES3_PKT0_PKT1_PKT2_S6_PT3_21rocsparse_index_base_b.has_dyn_sized_stack, 0
	.set _ZN9rocsparseL27csrmvn_symm_adaptive_kernelIllDF16_DF16_ffEEvbT_S1_PKS1_NS_24const_host_device_scalarIT4_EES3_PKT0_PKT1_PKT2_S6_PT3_21rocsparse_index_base_b.has_recursion, 0
	.set _ZN9rocsparseL27csrmvn_symm_adaptive_kernelIllDF16_DF16_ffEEvbT_S1_PKS1_NS_24const_host_device_scalarIT4_EES3_PKT0_PKT1_PKT2_S6_PT3_21rocsparse_index_base_b.has_indirect_call, 0
	.section	.AMDGPU.csdata,"",@progbits
; Kernel info:
; codeLenInByte = 7388
; TotalNumSgprs: 58
; NumVgprs: 24
; NumAgprs: 0
; TotalNumVgprs: 24
; ScratchSize: 0
; MemoryBound: 0
; FloatMode: 240
; IeeeMode: 1
; LDSByteSize: 4096 bytes/workgroup (compile time only)
; SGPRBlocks: 7
; VGPRBlocks: 2
; NumSGPRsForWavesPerEU: 58
; NumVGPRsForWavesPerEU: 24
; AccumOffset: 24
; Occupancy: 8
; WaveLimiterHint : 1
; COMPUTE_PGM_RSRC2:SCRATCH_EN: 0
; COMPUTE_PGM_RSRC2:USER_SGPR: 2
; COMPUTE_PGM_RSRC2:TRAP_HANDLER: 0
; COMPUTE_PGM_RSRC2:TGID_X_EN: 1
; COMPUTE_PGM_RSRC2:TGID_Y_EN: 0
; COMPUTE_PGM_RSRC2:TGID_Z_EN: 0
; COMPUTE_PGM_RSRC2:TIDIG_COMP_CNT: 0
; COMPUTE_PGM_RSRC3_GFX90A:ACCUM_OFFSET: 5
; COMPUTE_PGM_RSRC3_GFX90A:TG_SPLIT: 0
	.section	.text._ZL33csrmvn_symm_large_adaptive_kernelIllDF16_DF16_ffEvbT_PKS0_N9rocsparse24const_host_device_scalarIT4_EES2_PKT0_PKT1_PKT2_S6_PT3_21rocsparse_index_base_b,"axG",@progbits,_ZL33csrmvn_symm_large_adaptive_kernelIllDF16_DF16_ffEvbT_PKS0_N9rocsparse24const_host_device_scalarIT4_EES2_PKT0_PKT1_PKT2_S6_PT3_21rocsparse_index_base_b,comdat
	.globl	_ZL33csrmvn_symm_large_adaptive_kernelIllDF16_DF16_ffEvbT_PKS0_N9rocsparse24const_host_device_scalarIT4_EES2_PKT0_PKT1_PKT2_S6_PT3_21rocsparse_index_base_b ; -- Begin function _ZL33csrmvn_symm_large_adaptive_kernelIllDF16_DF16_ffEvbT_PKS0_N9rocsparse24const_host_device_scalarIT4_EES2_PKT0_PKT1_PKT2_S6_PT3_21rocsparse_index_base_b
	.p2align	8
	.type	_ZL33csrmvn_symm_large_adaptive_kernelIllDF16_DF16_ffEvbT_PKS0_N9rocsparse24const_host_device_scalarIT4_EES2_PKT0_PKT1_PKT2_S6_PT3_21rocsparse_index_base_b,@function
_ZL33csrmvn_symm_large_adaptive_kernelIllDF16_DF16_ffEvbT_PKS0_N9rocsparse24const_host_device_scalarIT4_EES2_PKT0_PKT1_PKT2_S6_PT3_21rocsparse_index_base_b: ; @_ZL33csrmvn_symm_large_adaptive_kernelIllDF16_DF16_ffEvbT_PKS0_N9rocsparse24const_host_device_scalarIT4_EES2_PKT0_PKT1_PKT2_S6_PT3_21rocsparse_index_base_b
; %bb.0:
	s_load_dwordx2 s[10:11], s[0:1], 0x50
	s_load_dwordx2 s[24:25], s[0:1], 0x18
	;; [unrolled: 1-line block ×3, first 2 shown]
	s_waitcnt lgkmcnt(0)
	s_bitcmp1_b32 s11, 0
	s_cselect_b64 s[8:9], -1, 0
	s_xor_b64 s[6:7], s[8:9], -1
	s_and_b64 vcc, exec, s[8:9]
	s_cbranch_vccnz .LBB72_2
; %bb.1:
	s_load_dword s24, s[24:25], 0x0
.LBB72_2:
	s_andn2_b64 vcc, exec, s[6:7]
	s_cbranch_vccnz .LBB72_4
; %bb.3:
	s_load_dword s4, s[4:5], 0x0
.LBB72_4:
	s_waitcnt lgkmcnt(0)
	v_cmp_neq_f32_e64 s[6:7], s24, 0
	v_cmp_neq_f32_e64 s[4:5], s4, 1.0
	s_or_b64 s[4:5], s[6:7], s[4:5]
	s_andn2_b64 vcc, exec, s[4:5]
	s_cbranch_vccnz .LBB72_34
; %bb.5:
	s_load_dwordx2 s[4:5], s[0:1], 0x10
	s_ashr_i32 s3, s2, 31
	s_lshl_b64 s[2:3], s[2:3], 3
	v_lshlrev_b32_e32 v10, 2, v0
	v_mov_b32_e32 v11, 0
	s_waitcnt lgkmcnt(0)
	s_add_u32 s2, s4, s2
	s_addc_u32 s3, s5, s3
	ds_write2st64_b32 v10, v11, v11 offset1:4
	ds_write2st64_b32 v10, v11, v11 offset0:8 offset1:12
	s_waitcnt lgkmcnt(0)
	s_barrier
	s_load_dwordx4 s[20:23], s[2:3], 0x0
	s_load_dwordx8 s[12:19], s[0:1], 0x20
	s_load_dwordx2 s[26:27], s[0:1], 0x48
	s_waitcnt lgkmcnt(0)
	v_mov_b64_e32 v[2:3], s[22:23]
	v_cmp_ge_i64_e32 vcc, s[20:21], v[2:3]
	v_subrev_co_u32_e64 v2, s[0:1], s10, v0
	s_nop 1
	v_subb_co_u32_e64 v3, s[0:1], 0, 0, s[0:1]
	s_cbranch_vccnz .LBB72_25
; %bb.6:
	s_movk_i32 s0, 0x100
	v_cmp_gt_u32_e64 s[0:1], s0, v0
	v_cmp_gt_u32_e64 s[2:3], 64, v0
	;; [unrolled: 1-line block ×4, first 2 shown]
	v_cmp_eq_u32_e64 s[8:9], 0, v0
	s_mov_b64 s[28:29], 0x100
	s_mov_b64 s[30:31], 0x800
	;; [unrolled: 1-line block ×3, first 2 shown]
	v_mov_b64_e32 v[0:1], s[22:23]
	s_mov_b64 s[36:37], s[20:21]
	s_branch .LBB72_8
.LBB72_7:                               ;   in Loop: Header=BB72_8 Depth=1
	s_or_b64 exec, exec, s[38:39]
	s_add_u32 s36, s36, 1
	s_addc_u32 s37, s37, 0
	v_cmp_ge_i64_e32 vcc, s[36:37], v[0:1]
	s_cbranch_vccnz .LBB72_25
.LBB72_8:                               ; =>This Loop Header: Depth=1
                                        ;     Child Loop BB72_10 Depth 2
	s_lshl_b64 s[38:39], s[36:37], 3
	s_add_u32 s38, s12, s38
	s_addc_u32 s39, s13, s39
	s_load_dwordx4 s[40:43], s[38:39], 0x0
	v_mov_b32_e32 v12, 0
	s_waitcnt lgkmcnt(0)
	s_sub_u32 s38, s42, s10
	v_lshl_add_u64 v[4:5], s[40:41], 0, v[2:3]
	s_subb_u32 s39, s43, 0
	v_cmp_gt_i64_e32 vcc, s[38:39], v[4:5]
	s_and_saveexec_b64 s[40:41], vcc
	s_cbranch_execz .LBB72_12
; %bb.9:                                ;   in Loop: Header=BB72_8 Depth=1
	v_lshl_add_u64 v[6:7], v[4:5], 3, s[14:15]
	v_lshl_add_u64 v[8:9], v[4:5], 1, s[16:17]
	v_mov_b32_e32 v12, 0
	s_mov_b64 s[42:43], 0
.LBB72_10:                              ;   Parent Loop BB72_8 Depth=1
                                        ; =>  This Inner Loop Header: Depth=2
	global_load_dwordx2 v[14:15], v[6:7], off
	global_load_ushort v13, v[8:9], off
	v_lshl_add_u64 v[4:5], v[4:5], 0, s[28:29]
	v_lshl_add_u64 v[6:7], v[6:7], 0, s[30:31]
	;; [unrolled: 1-line block ×3, first 2 shown]
	s_waitcnt vmcnt(1)
	v_subrev_co_u32_e32 v14, vcc, s10, v14
	s_nop 1
	v_subbrev_co_u32_e32 v15, vcc, 0, v15, vcc
	v_lshl_add_u64 v[14:15], v[14:15], 1, s[18:19]
	global_load_ushort v14, v[14:15], off
	v_cmp_le_i64_e32 vcc, s[38:39], v[4:5]
	s_or_b64 s[42:43], vcc, s[42:43]
	s_waitcnt vmcnt(0)
	v_fma_mix_f32 v12, v13, v14, v12 op_sel_hi:[1,1,0]
	s_andn2_b64 exec, exec, s[42:43]
	s_cbranch_execnz .LBB72_10
; %bb.11:                               ;   in Loop: Header=BB72_8 Depth=1
	s_or_b64 exec, exec, s[42:43]
.LBB72_12:                              ;   in Loop: Header=BB72_8 Depth=1
	s_or_b64 exec, exec, s[40:41]
	ds_write_b32 v10, v12
	s_waitcnt lgkmcnt(0)
	s_barrier
	s_and_saveexec_b64 s[38:39], s[0:1]
	s_cbranch_execz .LBB72_14
; %bb.13:                               ;   in Loop: Header=BB72_8 Depth=1
	ds_read2st64_b32 v[4:5], v10 offset1:4
	ds_read2st64_b32 v[6:7], v10 offset0:8 offset1:12
	s_waitcnt lgkmcnt(0)
	v_add_f32_e32 v5, v5, v6
	v_add_f32_e32 v5, v5, v7
	;; [unrolled: 1-line block ×3, first 2 shown]
	ds_write_b32 v10, v4
.LBB72_14:                              ;   in Loop: Header=BB72_8 Depth=1
	s_or_b64 exec, exec, s[38:39]
	s_waitcnt lgkmcnt(0)
	s_barrier
	s_and_saveexec_b64 s[38:39], s[2:3]
	s_cbranch_execz .LBB72_16
; %bb.15:                               ;   in Loop: Header=BB72_8 Depth=1
	ds_read2st64_b32 v[4:5], v10 offset1:1
	ds_read2st64_b32 v[6:7], v10 offset0:2 offset1:3
	s_waitcnt lgkmcnt(0)
	v_add_f32_e32 v5, v5, v6
	v_add_f32_e32 v5, v5, v7
	;; [unrolled: 1-line block ×3, first 2 shown]
	ds_write_b32 v10, v4
.LBB72_16:                              ;   in Loop: Header=BB72_8 Depth=1
	s_or_b64 exec, exec, s[38:39]
	s_waitcnt lgkmcnt(0)
	s_barrier
	s_and_saveexec_b64 s[38:39], s[4:5]
	s_cbranch_execz .LBB72_18
; %bb.17:                               ;   in Loop: Header=BB72_8 Depth=1
	ds_read2_b32 v[4:5], v10 offset1:16
	ds_read2_b32 v[6:7], v10 offset0:32 offset1:48
	s_waitcnt lgkmcnt(0)
	v_add_f32_e32 v5, v5, v6
	v_add_f32_e32 v5, v5, v7
	;; [unrolled: 1-line block ×3, first 2 shown]
	ds_write_b32 v10, v4
.LBB72_18:                              ;   in Loop: Header=BB72_8 Depth=1
	s_or_b64 exec, exec, s[38:39]
	s_waitcnt lgkmcnt(0)
	s_barrier
	s_and_saveexec_b64 s[38:39], s[6:7]
	s_cbranch_execz .LBB72_20
; %bb.19:                               ;   in Loop: Header=BB72_8 Depth=1
	ds_read2_b32 v[4:5], v10 offset1:4
	ds_read2_b32 v[6:7], v10 offset0:8 offset1:12
	s_waitcnt lgkmcnt(0)
	v_add_f32_e32 v5, v5, v6
	v_add_f32_e32 v5, v5, v7
	;; [unrolled: 1-line block ×3, first 2 shown]
	ds_write_b32 v10, v4
.LBB72_20:                              ;   in Loop: Header=BB72_8 Depth=1
	s_or_b64 exec, exec, s[38:39]
	s_waitcnt lgkmcnt(0)
	s_barrier
	s_and_saveexec_b64 s[38:39], s[8:9]
	s_cbranch_execz .LBB72_22
; %bb.21:                               ;   in Loop: Header=BB72_8 Depth=1
	ds_read2_b32 v[4:5], v11 offset0:1 offset1:2
	ds_read_b32 v6, v11 offset:12
	ds_read_b32 v7, v10
	s_waitcnt lgkmcnt(2)
	v_add_f32_e32 v4, v4, v5
	s_waitcnt lgkmcnt(1)
	v_add_f32_e32 v4, v4, v6
	;; [unrolled: 2-line block ×3, first 2 shown]
	ds_write_b32 v10, v4
.LBB72_22:                              ;   in Loop: Header=BB72_8 Depth=1
	s_or_b64 exec, exec, s[38:39]
	s_waitcnt lgkmcnt(0)
	s_barrier
	s_and_saveexec_b64 s[38:39], s[8:9]
	s_cbranch_execz .LBB72_7
; %bb.23:                               ;   in Loop: Header=BB72_8 Depth=1
	s_mov_b64 s[40:41], exec
	v_mbcnt_lo_u32_b32 v4, s40, 0
	v_mbcnt_hi_u32_b32 v4, s41, v4
	v_cmp_eq_u32_e32 vcc, 0, v4
	s_and_b64 s[42:43], exec, vcc
	s_mov_b64 exec, s[42:43]
	s_cbranch_execz .LBB72_7
; %bb.24:                               ;   in Loop: Header=BB72_8 Depth=1
	ds_read_b32 v4, v11
	s_lshl_b64 s[42:43], s[36:37], 2
	s_add_u32 s42, s26, s42
	s_addc_u32 s43, s27, s43
	s_bcnt1_i32_b64 s11, s[40:41]
	s_waitcnt lgkmcnt(0)
	v_mul_f32_e32 v4, s24, v4
	v_cvt_f32_ubyte0_e32 v5, s11
	v_mul_f32_e32 v4, v4, v5
	global_atomic_add_f32 v11, v4, s[42:43]
	s_branch .LBB72_7
.LBB72_25:
	s_lshl_b64 s[0:1], s[20:21], 3
	s_add_u32 s0, s12, s0
	s_addc_u32 s1, s13, s1
	s_lshl_b64 s[2:3], s[22:23], 3
	s_add_u32 s2, s12, s2
	s_addc_u32 s3, s13, s3
	s_load_dwordx2 s[4:5], s[2:3], 0x0
	s_load_dwordx2 s[6:7], s[0:1], 0x0
	s_waitcnt lgkmcnt(0)
	s_sub_u32 s4, s4, s10
	s_subb_u32 s5, s5, 0
	v_lshl_add_u64 v[0:1], s[6:7], 0, v[2:3]
	v_cmp_gt_i64_e32 vcc, s[4:5], v[0:1]
	s_and_saveexec_b64 s[0:1], vcc
	s_cbranch_execz .LBB72_34
; %bb.26:
	s_add_u32 s6, s22, -1
	s_addc_u32 s7, s23, -1
	s_add_u32 s0, s22, -2
	s_addc_u32 s1, s23, -1
	v_mov_b64_e32 v[2:3], s[6:7]
	s_cmp_lg_u64 s[20:21], s[0:1]
	v_cmp_lt_i64_e32 vcc, s[20:21], v[2:3]
	s_cselect_b64 s[0:1], -1, 0
	s_and_b64 s[0:1], vcc, s[0:1]
	v_cndmask_b32_e64 v2, 0, 1, s[0:1]
	s_mov_b64 s[8:9], 0
	v_cmp_ne_u32_e64 s[0:1], 1, v2
	v_mov_b32_e32 v3, 0
	s_mov_b64 s[22:23], 0x100
	s_branch .LBB72_28
.LBB72_27:                              ;   in Loop: Header=BB72_28 Depth=1
	s_or_b64 exec, exec, s[2:3]
	v_lshl_add_u64 v[0:1], v[0:1], 0, s[22:23]
	v_cmp_le_i64_e32 vcc, s[4:5], v[0:1]
	s_or_b64 s[8:9], vcc, s[8:9]
	s_andn2_b64 exec, exec, s[8:9]
	s_cbranch_execz .LBB72_34
.LBB72_28:                              ; =>This Loop Header: Depth=1
                                        ;     Child Loop BB72_30 Depth 2
	s_and_b64 vcc, exec, s[0:1]
	v_mov_b64_e32 v[4:5], s[20:21]
	v_mov_b64_e32 v[6:7], s[6:7]
	s_cbranch_vccnz .LBB72_32
; %bb.29:                               ;   in Loop: Header=BB72_28 Depth=1
	s_mov_b64 s[28:29], 0
	v_mov_b64_e32 v[4:5], s[20:21]
	v_mov_b64_e32 v[6:7], s[6:7]
.LBB72_30:                              ;   Parent Loop BB72_28 Depth=1
                                        ; =>  This Inner Loop Header: Depth=2
	v_lshl_add_u64 v[8:9], v[6:7], 0, v[4:5]
	v_lshrrev_b32_e32 v2, 31, v9
	v_lshl_add_u64 v[8:9], v[8:9], 0, v[2:3]
	v_ashrrev_i64 v[8:9], 1, v[8:9]
	v_lshl_add_u64 v[10:11], v[8:9], 3, s[12:13]
	global_load_dwordx2 v[10:11], v[10:11], off
	s_waitcnt vmcnt(0)
	v_subrev_co_u32_e32 v10, vcc, s10, v10
	s_nop 1
	v_subbrev_co_u32_e32 v11, vcc, 0, v11, vcc
	v_cmp_lt_i64_e32 vcc, v[0:1], v[10:11]
	s_nop 1
	v_cndmask_b32_e32 v7, v7, v9, vcc
	v_cndmask_b32_e32 v6, v6, v8, vcc
	;; [unrolled: 1-line block ×4, first 2 shown]
	v_lshl_add_u64 v[8:9], v[6:7], 0, -1
	v_cmp_ge_i64_e32 vcc, v[4:5], v[6:7]
	v_cmp_eq_u64_e64 s[2:3], v[4:5], v[8:9]
	s_or_b64 s[2:3], vcc, s[2:3]
	s_and_b64 s[2:3], exec, s[2:3]
	s_or_b64 s[28:29], s[2:3], s[28:29]
	s_andn2_b64 exec, exec, s[28:29]
	s_cbranch_execnz .LBB72_30
; %bb.31:                               ;   in Loop: Header=BB72_28 Depth=1
	s_or_b64 exec, exec, s[28:29]
.LBB72_32:                              ;   in Loop: Header=BB72_28 Depth=1
	v_lshl_add_u64 v[8:9], v[6:7], 3, s[12:13]
	global_load_dwordx2 v[8:9], v[8:9], off
	v_lshl_add_u64 v[10:11], v[0:1], 3, s[14:15]
	global_load_dwordx2 v[10:11], v[10:11], off
	s_waitcnt vmcnt(1)
	v_subrev_co_u32_e32 v8, vcc, s10, v8
	s_nop 1
	v_subbrev_co_u32_e32 v9, vcc, 0, v9, vcc
	v_cmp_lt_i64_e32 vcc, v[0:1], v[8:9]
	s_nop 1
	v_cndmask_b32_e32 v7, v7, v5, vcc
	v_cndmask_b32_e32 v6, v6, v4, vcc
	s_waitcnt vmcnt(0)
	v_subrev_co_u32_e32 v4, vcc, s10, v10
	s_nop 1
	v_subbrev_co_u32_e32 v5, vcc, 0, v11, vcc
	v_cmp_ne_u64_e32 vcc, v[4:5], v[6:7]
	s_and_saveexec_b64 s[2:3], vcc
	s_cbranch_execz .LBB72_27
; %bb.33:                               ;   in Loop: Header=BB72_28 Depth=1
	v_lshl_add_u64 v[8:9], v[0:1], 1, s[16:17]
	global_load_ushort v2, v[8:9], off
	v_lshl_add_u64 v[6:7], v[6:7], 1, s[18:19]
	global_load_ushort v6, v[6:7], off
	v_lshl_add_u64 v[4:5], v[4:5], 2, s[26:27]
	s_waitcnt vmcnt(1)
	v_cvt_f32_f16_e32 v2, v2
	s_waitcnt vmcnt(0)
	v_cvt_f32_f16_e32 v6, v6
	v_mul_f32_e32 v2, s24, v2
	v_mul_f32_e32 v2, v2, v6
	global_atomic_add_f32 v[4:5], v2, off
	s_branch .LBB72_27
.LBB72_34:
	s_endpgm
	.section	.rodata,"a",@progbits
	.p2align	6, 0x0
	.amdhsa_kernel _ZL33csrmvn_symm_large_adaptive_kernelIllDF16_DF16_ffEvbT_PKS0_N9rocsparse24const_host_device_scalarIT4_EES2_PKT0_PKT1_PKT2_S6_PT3_21rocsparse_index_base_b
		.amdhsa_group_segment_fixed_size 4096
		.amdhsa_private_segment_fixed_size 0
		.amdhsa_kernarg_size 88
		.amdhsa_user_sgpr_count 2
		.amdhsa_user_sgpr_dispatch_ptr 0
		.amdhsa_user_sgpr_queue_ptr 0
		.amdhsa_user_sgpr_kernarg_segment_ptr 1
		.amdhsa_user_sgpr_dispatch_id 0
		.amdhsa_user_sgpr_kernarg_preload_length 0
		.amdhsa_user_sgpr_kernarg_preload_offset 0
		.amdhsa_user_sgpr_private_segment_size 0
		.amdhsa_uses_dynamic_stack 0
		.amdhsa_enable_private_segment 0
		.amdhsa_system_sgpr_workgroup_id_x 1
		.amdhsa_system_sgpr_workgroup_id_y 0
		.amdhsa_system_sgpr_workgroup_id_z 0
		.amdhsa_system_sgpr_workgroup_info 0
		.amdhsa_system_vgpr_workitem_id 0
		.amdhsa_next_free_vgpr 16
		.amdhsa_next_free_sgpr 44
		.amdhsa_accum_offset 16
		.amdhsa_reserve_vcc 1
		.amdhsa_float_round_mode_32 0
		.amdhsa_float_round_mode_16_64 0
		.amdhsa_float_denorm_mode_32 3
		.amdhsa_float_denorm_mode_16_64 3
		.amdhsa_dx10_clamp 1
		.amdhsa_ieee_mode 1
		.amdhsa_fp16_overflow 0
		.amdhsa_tg_split 0
		.amdhsa_exception_fp_ieee_invalid_op 0
		.amdhsa_exception_fp_denorm_src 0
		.amdhsa_exception_fp_ieee_div_zero 0
		.amdhsa_exception_fp_ieee_overflow 0
		.amdhsa_exception_fp_ieee_underflow 0
		.amdhsa_exception_fp_ieee_inexact 0
		.amdhsa_exception_int_div_zero 0
	.end_amdhsa_kernel
	.section	.text._ZL33csrmvn_symm_large_adaptive_kernelIllDF16_DF16_ffEvbT_PKS0_N9rocsparse24const_host_device_scalarIT4_EES2_PKT0_PKT1_PKT2_S6_PT3_21rocsparse_index_base_b,"axG",@progbits,_ZL33csrmvn_symm_large_adaptive_kernelIllDF16_DF16_ffEvbT_PKS0_N9rocsparse24const_host_device_scalarIT4_EES2_PKT0_PKT1_PKT2_S6_PT3_21rocsparse_index_base_b,comdat
.Lfunc_end72:
	.size	_ZL33csrmvn_symm_large_adaptive_kernelIllDF16_DF16_ffEvbT_PKS0_N9rocsparse24const_host_device_scalarIT4_EES2_PKT0_PKT1_PKT2_S6_PT3_21rocsparse_index_base_b, .Lfunc_end72-_ZL33csrmvn_symm_large_adaptive_kernelIllDF16_DF16_ffEvbT_PKS0_N9rocsparse24const_host_device_scalarIT4_EES2_PKT0_PKT1_PKT2_S6_PT3_21rocsparse_index_base_b
                                        ; -- End function
	.set _ZL33csrmvn_symm_large_adaptive_kernelIllDF16_DF16_ffEvbT_PKS0_N9rocsparse24const_host_device_scalarIT4_EES2_PKT0_PKT1_PKT2_S6_PT3_21rocsparse_index_base_b.num_vgpr, 16
	.set _ZL33csrmvn_symm_large_adaptive_kernelIllDF16_DF16_ffEvbT_PKS0_N9rocsparse24const_host_device_scalarIT4_EES2_PKT0_PKT1_PKT2_S6_PT3_21rocsparse_index_base_b.num_agpr, 0
	.set _ZL33csrmvn_symm_large_adaptive_kernelIllDF16_DF16_ffEvbT_PKS0_N9rocsparse24const_host_device_scalarIT4_EES2_PKT0_PKT1_PKT2_S6_PT3_21rocsparse_index_base_b.numbered_sgpr, 44
	.set _ZL33csrmvn_symm_large_adaptive_kernelIllDF16_DF16_ffEvbT_PKS0_N9rocsparse24const_host_device_scalarIT4_EES2_PKT0_PKT1_PKT2_S6_PT3_21rocsparse_index_base_b.num_named_barrier, 0
	.set _ZL33csrmvn_symm_large_adaptive_kernelIllDF16_DF16_ffEvbT_PKS0_N9rocsparse24const_host_device_scalarIT4_EES2_PKT0_PKT1_PKT2_S6_PT3_21rocsparse_index_base_b.private_seg_size, 0
	.set _ZL33csrmvn_symm_large_adaptive_kernelIllDF16_DF16_ffEvbT_PKS0_N9rocsparse24const_host_device_scalarIT4_EES2_PKT0_PKT1_PKT2_S6_PT3_21rocsparse_index_base_b.uses_vcc, 1
	.set _ZL33csrmvn_symm_large_adaptive_kernelIllDF16_DF16_ffEvbT_PKS0_N9rocsparse24const_host_device_scalarIT4_EES2_PKT0_PKT1_PKT2_S6_PT3_21rocsparse_index_base_b.uses_flat_scratch, 0
	.set _ZL33csrmvn_symm_large_adaptive_kernelIllDF16_DF16_ffEvbT_PKS0_N9rocsparse24const_host_device_scalarIT4_EES2_PKT0_PKT1_PKT2_S6_PT3_21rocsparse_index_base_b.has_dyn_sized_stack, 0
	.set _ZL33csrmvn_symm_large_adaptive_kernelIllDF16_DF16_ffEvbT_PKS0_N9rocsparse24const_host_device_scalarIT4_EES2_PKT0_PKT1_PKT2_S6_PT3_21rocsparse_index_base_b.has_recursion, 0
	.set _ZL33csrmvn_symm_large_adaptive_kernelIllDF16_DF16_ffEvbT_PKS0_N9rocsparse24const_host_device_scalarIT4_EES2_PKT0_PKT1_PKT2_S6_PT3_21rocsparse_index_base_b.has_indirect_call, 0
	.section	.AMDGPU.csdata,"",@progbits
; Kernel info:
; codeLenInByte = 1440
; TotalNumSgprs: 50
; NumVgprs: 16
; NumAgprs: 0
; TotalNumVgprs: 16
; ScratchSize: 0
; MemoryBound: 0
; FloatMode: 240
; IeeeMode: 1
; LDSByteSize: 4096 bytes/workgroup (compile time only)
; SGPRBlocks: 6
; VGPRBlocks: 1
; NumSGPRsForWavesPerEU: 50
; NumVGPRsForWavesPerEU: 16
; AccumOffset: 16
; Occupancy: 8
; WaveLimiterHint : 1
; COMPUTE_PGM_RSRC2:SCRATCH_EN: 0
; COMPUTE_PGM_RSRC2:USER_SGPR: 2
; COMPUTE_PGM_RSRC2:TRAP_HANDLER: 0
; COMPUTE_PGM_RSRC2:TGID_X_EN: 1
; COMPUTE_PGM_RSRC2:TGID_Y_EN: 0
; COMPUTE_PGM_RSRC2:TGID_Z_EN: 0
; COMPUTE_PGM_RSRC2:TIDIG_COMP_CNT: 0
; COMPUTE_PGM_RSRC3_GFX90A:ACCUM_OFFSET: 3
; COMPUTE_PGM_RSRC3_GFX90A:TG_SPLIT: 0
	.section	.text._ZN9rocsparseL22csrmvn_adaptive_kernelIii18rocsparse_bfloat16S1_ffEEvbT_PKS2_PjPKT0_NS_24const_host_device_scalarIT4_EES4_S8_PKT1_PKT2_SB_PT3_21rocsparse_index_base_b,"axG",@progbits,_ZN9rocsparseL22csrmvn_adaptive_kernelIii18rocsparse_bfloat16S1_ffEEvbT_PKS2_PjPKT0_NS_24const_host_device_scalarIT4_EES4_S8_PKT1_PKT2_SB_PT3_21rocsparse_index_base_b,comdat
	.globl	_ZN9rocsparseL22csrmvn_adaptive_kernelIii18rocsparse_bfloat16S1_ffEEvbT_PKS2_PjPKT0_NS_24const_host_device_scalarIT4_EES4_S8_PKT1_PKT2_SB_PT3_21rocsparse_index_base_b ; -- Begin function _ZN9rocsparseL22csrmvn_adaptive_kernelIii18rocsparse_bfloat16S1_ffEEvbT_PKS2_PjPKT0_NS_24const_host_device_scalarIT4_EES4_S8_PKT1_PKT2_SB_PT3_21rocsparse_index_base_b
	.p2align	8
	.type	_ZN9rocsparseL22csrmvn_adaptive_kernelIii18rocsparse_bfloat16S1_ffEEvbT_PKS2_PjPKT0_NS_24const_host_device_scalarIT4_EES4_S8_PKT1_PKT2_SB_PT3_21rocsparse_index_base_b,@function
_ZN9rocsparseL22csrmvn_adaptive_kernelIii18rocsparse_bfloat16S1_ffEEvbT_PKS2_PjPKT0_NS_24const_host_device_scalarIT4_EES4_S8_PKT1_PKT2_SB_PT3_21rocsparse_index_base_b: ; @_ZN9rocsparseL22csrmvn_adaptive_kernelIii18rocsparse_bfloat16S1_ffEEvbT_PKS2_PjPKT0_NS_24const_host_device_scalarIT4_EES4_S8_PKT1_PKT2_SB_PT3_21rocsparse_index_base_b
; %bb.0:
	s_load_dwordx2 s[42:43], s[0:1], 0x58
	s_load_dwordx2 s[40:41], s[0:1], 0x20
	;; [unrolled: 1-line block ×3, first 2 shown]
	s_waitcnt lgkmcnt(0)
	s_bitcmp1_b32 s43, 0
	s_cselect_b64 s[6:7], -1, 0
	s_xor_b64 s[4:5], s[6:7], -1
	s_and_b64 vcc, exec, s[6:7]
	s_cbranch_vccnz .LBB73_2
; %bb.1:
	s_load_dword s40, s[40:41], 0x0
.LBB73_2:
	s_andn2_b64 vcc, exec, s[4:5]
	s_cbranch_vccnz .LBB73_4
; %bb.3:
	s_load_dword s22, s[22:23], 0x0
.LBB73_4:
	s_waitcnt lgkmcnt(0)
	v_cmp_neq_f32_e64 s[4:5], s40, 0
	v_cmp_neq_f32_e64 s[6:7], s22, 1.0
	s_or_b64 s[4:5], s[4:5], s[6:7]
	s_andn2_b64 vcc, exec, s[4:5]
	s_cbranch_vccnz .LBB73_121
; %bb.5:
	s_load_dwordx2 s[4:5], s[0:1], 0x8
	s_load_dwordx2 s[6:7], s[0:1], 0x18
	s_ashr_i32 s3, s2, 31
	s_lshl_b64 s[46:47], s[2:3], 2
	s_waitcnt lgkmcnt(0)
	s_add_u32 s4, s4, s46
	s_addc_u32 s5, s5, s47
	s_load_dwordx2 s[36:37], s[4:5], 0x0
	s_load_dwordx2 s[34:35], s[0:1], 0x50
	s_load_dwordx8 s[24:31], s[0:1], 0x28
	s_waitcnt lgkmcnt(0)
	s_sub_i32 s3, s37, s36
	s_add_u32 s6, s6, s46
	s_mov_b32 s4, s36
	s_addc_u32 s7, s7, s47
	s_ashr_i32 s5, s36, 31
	s_lshl_b64 s[44:45], s[4:5], 2
	s_add_u32 s38, s24, s44
	s_addc_u32 s39, s25, s45
	s_load_dword s23, s[6:7], 0x0
	s_load_dword s33, s[38:39], 0x0
	s_cmp_lt_i32 s3, 2
	s_mov_b64 s[4:5], -1
	s_cbranch_scc0 .LBB73_70
; %bb.6:
	s_cmp_lg_u32 s3, 1
	s_cselect_b64 s[4:5], -1, 0
	s_waitcnt lgkmcnt(0)
	s_cmp_lg_u32 s23, 0
	s_cselect_b64 s[6:7], -1, 0
	s_or_b64 s[4:5], s[4:5], s[6:7]
	s_mov_b64 s[18:19], -1
	s_and_b64 vcc, exec, s[4:5]
	v_cmp_gt_u32_e64 s[4:5], 64, v0
	v_cmp_gt_u32_e64 s[6:7], 32, v0
	;; [unrolled: 1-line block ×6, first 2 shown]
	v_cmp_eq_u32_e64 s[16:17], 0, v0
	s_cbranch_vccnz .LBB73_34
; %bb.7:
	v_cmp_neq_f32_e64 s[20:21], s22, 0
	s_movk_i32 s3, 0x80
	v_subrev_u32_e32 v1, s42, v0
	v_cndmask_b32_e64 v2, 0, 1, s[20:21]
	v_lshlrev_b32_e32 v8, 2, v0
	v_cmp_gt_u32_e64 s[18:19], s3, v0
	s_mov_b64 s[48:49], 0x200
	s_mov_b64 s[50:51], 0x400
	v_mov_b32_e32 v9, 0
	v_cmp_ne_u32_e64 s[20:21], 1, v2
	s_mov_b32 s52, s36
	s_branch .LBB73_10
.LBB73_8:                               ;   in Loop: Header=BB73_10 Depth=1
	s_add_u32 s54, s34, s54
	s_addc_u32 s55, s35, s55
	s_waitcnt lgkmcnt(0)
	global_store_dword v9, v2, s[54:55]
.LBB73_9:                               ;   in Loop: Header=BB73_10 Depth=1
	s_or_b64 exec, exec, s[56:57]
	s_add_i32 s52, s52, 1
	s_cmp_ge_i32 s52, s37
	s_cbranch_scc1 .LBB73_33
.LBB73_10:                              ; =>This Loop Header: Depth=1
                                        ;     Child Loop BB73_12 Depth 2
	s_ashr_i32 s53, s52, 31
	s_lshl_b64 s[54:55], s[52:53], 2
	s_add_u32 s56, s24, s54
	s_addc_u32 s57, s25, s55
	s_load_dwordx2 s[58:59], s[56:57], 0x0
	v_mov_b32_e32 v3, 0
	s_waitcnt lgkmcnt(0)
	s_sub_i32 s3, s59, s42
	v_add_u32_e32 v2, s58, v1
	v_cmp_gt_i32_e32 vcc, s3, v2
	s_and_saveexec_b64 s[56:57], vcc
	s_cbranch_execz .LBB73_14
; %bb.11:                               ;   in Loop: Header=BB73_10 Depth=1
	v_ashrrev_i32_e32 v3, 31, v2
	v_lshl_add_u64 v[4:5], v[2:3], 1, s[28:29]
	v_lshl_add_u64 v[6:7], v[2:3], 2, s[26:27]
	v_mov_b32_e32 v3, 0
	s_mov_b64 s[58:59], 0
.LBB73_12:                              ;   Parent Loop BB73_10 Depth=1
                                        ; =>  This Inner Loop Header: Depth=2
	global_load_dword v10, v[6:7], off
	global_load_ushort v12, v[4:5], off
	v_add_u32_e32 v2, 0x100, v2
	v_cmp_le_i32_e32 vcc, s3, v2
	v_lshl_add_u64 v[4:5], v[4:5], 0, s[48:49]
	v_lshl_add_u64 v[6:7], v[6:7], 0, s[50:51]
	s_or_b64 s[58:59], vcc, s[58:59]
	s_waitcnt vmcnt(1)
	v_subrev_u32_e32 v10, s42, v10
	v_ashrrev_i32_e32 v11, 31, v10
	v_lshl_add_u64 v[10:11], v[10:11], 1, s[30:31]
	global_load_ushort v10, v[10:11], off
	s_waitcnt vmcnt(1)
	v_lshlrev_b32_e32 v11, 16, v12
	v_mul_f32_e32 v11, s40, v11
	s_waitcnt vmcnt(0)
	v_lshlrev_b32_e32 v10, 16, v10
	v_fmac_f32_e32 v3, v11, v10
	s_andn2_b64 exec, exec, s[58:59]
	s_cbranch_execnz .LBB73_12
; %bb.13:                               ;   in Loop: Header=BB73_10 Depth=1
	s_or_b64 exec, exec, s[58:59]
.LBB73_14:                              ;   in Loop: Header=BB73_10 Depth=1
	s_or_b64 exec, exec, s[56:57]
	ds_write_b32 v8, v3
	s_waitcnt lgkmcnt(0)
	s_barrier
	s_and_saveexec_b64 s[56:57], s[18:19]
	s_cbranch_execz .LBB73_16
; %bb.15:                               ;   in Loop: Header=BB73_10 Depth=1
	ds_read2st64_b32 v[2:3], v8 offset1:2
	s_waitcnt lgkmcnt(0)
	v_add_f32_e32 v2, v2, v3
	ds_write_b32 v8, v2
.LBB73_16:                              ;   in Loop: Header=BB73_10 Depth=1
	s_or_b64 exec, exec, s[56:57]
	s_waitcnt lgkmcnt(0)
	s_barrier
	s_and_saveexec_b64 s[56:57], s[4:5]
	s_cbranch_execz .LBB73_18
; %bb.17:                               ;   in Loop: Header=BB73_10 Depth=1
	ds_read2st64_b32 v[2:3], v8 offset1:1
	s_waitcnt lgkmcnt(0)
	v_add_f32_e32 v2, v2, v3
	ds_write_b32 v8, v2
.LBB73_18:                              ;   in Loop: Header=BB73_10 Depth=1
	s_or_b64 exec, exec, s[56:57]
	s_waitcnt lgkmcnt(0)
	s_barrier
	s_and_saveexec_b64 s[56:57], s[6:7]
	s_cbranch_execz .LBB73_20
; %bb.19:                               ;   in Loop: Header=BB73_10 Depth=1
	ds_read2_b32 v[2:3], v8 offset1:32
	s_waitcnt lgkmcnt(0)
	v_add_f32_e32 v2, v2, v3
	ds_write_b32 v8, v2
.LBB73_20:                              ;   in Loop: Header=BB73_10 Depth=1
	s_or_b64 exec, exec, s[56:57]
	s_waitcnt lgkmcnt(0)
	s_barrier
	s_and_saveexec_b64 s[56:57], s[8:9]
	s_cbranch_execz .LBB73_22
; %bb.21:                               ;   in Loop: Header=BB73_10 Depth=1
	ds_read2_b32 v[2:3], v8 offset1:16
	s_waitcnt lgkmcnt(0)
	v_add_f32_e32 v2, v2, v3
	ds_write_b32 v8, v2
.LBB73_22:                              ;   in Loop: Header=BB73_10 Depth=1
	;; [unrolled: 11-line block ×5, first 2 shown]
	s_or_b64 exec, exec, s[56:57]
	s_waitcnt lgkmcnt(0)
	s_barrier
	s_and_saveexec_b64 s[56:57], s[16:17]
	s_cbranch_execz .LBB73_30
; %bb.29:                               ;   in Loop: Header=BB73_10 Depth=1
	ds_read_b64 v[2:3], v9
	s_waitcnt lgkmcnt(0)
	v_add_f32_e32 v2, v2, v3
	ds_write_b32 v9, v2
.LBB73_30:                              ;   in Loop: Header=BB73_10 Depth=1
	s_or_b64 exec, exec, s[56:57]
	s_waitcnt lgkmcnt(0)
	s_barrier
	s_and_saveexec_b64 s[56:57], s[16:17]
	s_cbranch_execz .LBB73_9
; %bb.31:                               ;   in Loop: Header=BB73_10 Depth=1
	ds_read_b32 v2, v9
	s_and_b64 vcc, exec, s[20:21]
	s_cbranch_vccnz .LBB73_8
; %bb.32:                               ;   in Loop: Header=BB73_10 Depth=1
	s_add_u32 s58, s34, s54
	s_addc_u32 s59, s35, s55
	global_load_dword v3, v9, s[58:59]
	s_waitcnt vmcnt(0) lgkmcnt(0)
	v_fmac_f32_e32 v2, s22, v3
	s_branch .LBB73_8
.LBB73_33:
	s_mov_b64 s[18:19], 0
.LBB73_34:
	s_and_b64 vcc, exec, s[18:19]
	s_cbranch_vccz .LBB73_69
; %bb.35:
	s_load_dwordx2 s[4:5], s[0:1], 0x10
	s_sub_i32 s6, s2, s23
	v_mov_b32_e32 v8, 0
	v_or_b32_e32 v2, s23, v0
	v_cmp_eq_u32_e32 vcc, 0, v2
	s_waitcnt lgkmcnt(0)
	s_add_u32 s2, s4, s46
	s_addc_u32 s3, s5, s47
	global_load_dword v1, v8, s[2:3]
	s_and_saveexec_b64 s[8:9], vcc
	s_cbranch_execz .LBB73_39
; %bb.36:
	s_add_u32 s12, s34, s44
	s_addc_u32 s13, s35, s45
	v_mov_b32_e32 v4, 0
	global_load_dword v2, v4, s[12:13]
	s_mov_b64 s[10:11], exec
	v_mbcnt_lo_u32_b32 v5, s10, 0
	v_mbcnt_hi_u32_b32 v5, s11, v5
	v_add_f32_e64 v3, s22, -1.0
	v_cmp_eq_u32_e32 vcc, 0, v5
	s_waitcnt vmcnt(0) expcnt(0) lgkmcnt(0)
	s_and_saveexec_b64 s[12:13], vcc
	s_cbranch_execz .LBB73_38
; %bb.37:
	s_ashr_i32 s7, s6, 31
	s_lshl_b64 s[14:15], s[6:7], 2
	s_add_u32 s14, s4, s14
	s_addc_u32 s15, s5, s15
	s_bcnt1_i32_b64 s7, s[10:11]
	s_and_b32 s7, s7, 1
	v_mov_b32_e32 v5, s7
	global_atomic_xor v4, v5, s[14:15]
.LBB73_38:
	s_or_b64 exec, exec, s[12:13]
	v_mul_f32_e32 v8, v3, v2
.LBB73_39:
	s_or_b64 exec, exec, s[8:9]
	s_load_dword s8, s[38:39], 0x4
	s_mul_i32 s7, s23, 0xc00
	s_sub_i32 s9, s33, s42
	s_add_i32 s7, s9, s7
	v_add_u32_e32 v2, s7, v0
	s_waitcnt lgkmcnt(0)
	s_sub_i32 s10, s8, s42
	v_cmp_gt_i32_e32 vcc, s10, v2
	s_and_saveexec_b64 s[8:9], vcc
	s_cbranch_execz .LBB73_43
; %bb.40:
	s_addk_i32 s7, 0xc00
	v_ashrrev_i32_e32 v3, 31, v2
	s_min_i32 s7, s7, s10
	v_lshl_add_u64 v[4:5], v[2:3], 1, s[28:29]
	v_lshl_add_u64 v[6:7], v[2:3], 2, s[26:27]
	s_mov_b64 s[10:11], 0
	s_mov_b64 s[12:13], 0x200
	;; [unrolled: 1-line block ×3, first 2 shown]
.LBB73_41:                              ; =>This Inner Loop Header: Depth=1
	global_load_dword v3, v[6:7], off
	global_load_ushort v9, v[4:5], off
	v_add_u32_e32 v2, 0x100, v2
	v_cmp_le_i32_e32 vcc, s7, v2
	v_lshl_add_u64 v[4:5], v[4:5], 0, s[12:13]
	v_lshl_add_u64 v[6:7], v[6:7], 0, s[14:15]
	s_or_b64 s[10:11], vcc, s[10:11]
	s_waitcnt vmcnt(1)
	v_subrev_u32_e32 v10, s42, v3
	v_ashrrev_i32_e32 v11, 31, v10
	v_lshl_add_u64 v[10:11], v[10:11], 1, s[30:31]
	global_load_ushort v3, v[10:11], off
	s_waitcnt vmcnt(1)
	v_lshlrev_b32_e32 v9, 16, v9
	v_mul_f32_e32 v9, s40, v9
	s_waitcnt vmcnt(0)
	v_lshlrev_b32_e32 v3, 16, v3
	v_fmac_f32_e32 v8, v9, v3
	s_andn2_b64 exec, exec, s[10:11]
	s_cbranch_execnz .LBB73_41
; %bb.42:
	s_or_b64 exec, exec, s[10:11]
.LBB73_43:
	s_or_b64 exec, exec, s[8:9]
	s_movk_i32 s7, 0x80
	v_lshlrev_b32_e32 v2, 2, v0
	v_cmp_gt_u32_e32 vcc, s7, v0
	ds_write_b32 v2, v8
	s_waitcnt lgkmcnt(0)
	s_barrier
	s_and_saveexec_b64 s[8:9], vcc
	s_cbranch_execz .LBB73_45
; %bb.44:
	ds_read2st64_b32 v[4:5], v2 offset1:2
	s_waitcnt lgkmcnt(0)
	v_add_f32_e32 v3, v4, v5
	ds_write_b32 v2, v3
.LBB73_45:
	s_or_b64 exec, exec, s[8:9]
	v_cmp_gt_u32_e32 vcc, 64, v0
	s_waitcnt lgkmcnt(0)
	s_barrier
	s_and_saveexec_b64 s[8:9], vcc
	s_cbranch_execz .LBB73_47
; %bb.46:
	ds_read2st64_b32 v[4:5], v2 offset1:1
	s_waitcnt lgkmcnt(0)
	v_add_f32_e32 v3, v4, v5
	ds_write_b32 v2, v3
.LBB73_47:
	s_or_b64 exec, exec, s[8:9]
	v_cmp_gt_u32_e32 vcc, 32, v0
	s_waitcnt lgkmcnt(0)
	s_barrier
	s_and_saveexec_b64 s[8:9], vcc
	s_cbranch_execz .LBB73_49
; %bb.48:
	ds_read2_b32 v[4:5], v2 offset1:32
	s_waitcnt lgkmcnt(0)
	v_add_f32_e32 v3, v4, v5
	ds_write_b32 v2, v3
.LBB73_49:
	s_or_b64 exec, exec, s[8:9]
	v_cmp_gt_u32_e32 vcc, 16, v0
	s_waitcnt lgkmcnt(0)
	s_barrier
	s_and_saveexec_b64 s[8:9], vcc
	s_cbranch_execz .LBB73_51
; %bb.50:
	ds_read2_b32 v[4:5], v2 offset1:16
	s_waitcnt lgkmcnt(0)
	v_add_f32_e32 v3, v4, v5
	ds_write_b32 v2, v3
.LBB73_51:
	;; [unrolled: 12-line block ×5, first 2 shown]
	s_or_b64 exec, exec, s[8:9]
	v_cmp_eq_u32_e32 vcc, 0, v0
	s_waitcnt lgkmcnt(0)
	s_barrier
	s_and_saveexec_b64 s[8:9], vcc
	s_cbranch_execz .LBB73_59
; %bb.58:
	v_mov_b32_e32 v4, 0
	ds_read_b64 v[2:3], v4
	s_waitcnt lgkmcnt(0)
	v_add_f32_e32 v2, v2, v3
	ds_write_b32 v4, v2
.LBB73_59:
	s_or_b64 exec, exec, s[8:9]
	s_waitcnt lgkmcnt(0)
	s_barrier
	s_and_saveexec_b64 s[8:9], vcc
	s_cbranch_execz .LBB73_68
; %bb.60:
	s_cmp_eq_u32 s23, 0
	s_cbranch_scc1 .LBB73_66
; %bb.61:
	s_ashr_i32 s7, s6, 31
	s_lshl_b64 s[6:7], s[6:7], 2
	s_add_u32 s4, s4, s6
	s_addc_u32 s5, s5, s7
	v_mov_b32_e32 v2, 0
	s_branch .LBB73_63
.LBB73_62:                              ;   in Loop: Header=BB73_63 Depth=1
	s_or_b64 exec, exec, s[6:7]
	s_waitcnt vmcnt(0)
	v_readfirstlane_b32 s6, v3
	s_nop 1
	v_cmp_eq_u32_e32 vcc, s6, v1
	s_cbranch_vccz .LBB73_65
.LBB73_63:                              ; =>This Inner Loop Header: Depth=1
	v_mbcnt_lo_u32_b32 v3, exec_lo, 0
	v_mbcnt_hi_u32_b32 v3, exec_hi, v3
	v_cmp_eq_u32_e32 vcc, 0, v3
                                        ; implicit-def: $vgpr3
	s_and_saveexec_b64 s[6:7], vcc
	s_cbranch_execz .LBB73_62
; %bb.64:                               ;   in Loop: Header=BB73_63 Depth=1
	global_load_dword v3, v2, s[4:5] sc1
	s_branch .LBB73_62
.LBB73_65:
	v_mov_b32_e32 v1, 0
	global_load_ushort v2, v1, s[2:3]
	s_waitcnt vmcnt(0)
	v_xor_b32_e32 v2, 1, v2
	global_store_short v1, v2, s[2:3]
.LBB73_66:
	s_mov_b64 s[2:3], exec
	s_waitcnt vmcnt(0)
	v_mbcnt_lo_u32_b32 v1, s2, 0
	v_mbcnt_hi_u32_b32 v1, s3, v1
	v_cmp_eq_u32_e32 vcc, 0, v1
	s_and_b64 s[4:5], exec, vcc
	s_mov_b64 exec, s[4:5]
	s_cbranch_execz .LBB73_68
; %bb.67:
	v_mov_b32_e32 v1, 0
	ds_read_b32 v2, v1
	s_add_u32 s4, s34, s44
	s_addc_u32 s5, s35, s45
	s_bcnt1_i32_b64 s2, s[2:3]
	v_cvt_f32_ubyte0_e32 v3, s2
	s_waitcnt lgkmcnt(0)
	v_mul_f32_e32 v2, v2, v3
	global_atomic_add_f32 v1, v2, s[4:5]
.LBB73_68:
	s_or_b64 exec, exec, s[8:9]
.LBB73_69:
	s_mov_b64 s[4:5], 0
.LBB73_70:
	s_andn2_b64 vcc, exec, s[4:5]
	s_cbranch_vccnz .LBB73_121
; %bb.71:
	s_load_dword s0, s[0:1], 0x4
	s_waitcnt vmcnt(0)
	v_subrev_u32_e32 v1, s42, v0
	s_waitcnt lgkmcnt(0)
	v_add_u32_e32 v2, s33, v1
	v_add_u32_e32 v1, 0x300, v2
	v_cmp_le_i32_e32 vcc, s0, v1
	s_and_saveexec_b64 s[0:1], vcc
	s_xor_b64 s[0:1], exec, s[0:1]
	s_cbranch_execz .LBB73_83
; %bb.72:
	s_ashr_i32 s3, s37, 31
	s_mov_b32 s2, s37
	s_lshl_b64 s[2:3], s[2:3], 2
	s_add_u32 s2, s24, s2
	s_addc_u32 s3, s25, s3
	s_load_dword s2, s[2:3], 0x0
	s_waitcnt lgkmcnt(0)
	s_sub_i32 s12, s2, s42
	v_cmp_gt_i32_e32 vcc, s12, v2
	s_and_saveexec_b64 s[2:3], vcc
	s_cbranch_execz .LBB73_82
; %bb.73:
	v_add_u32_e32 v1, s33, v0
	v_subrev_u32_e32 v1, s42, v1
	v_add_u32_e32 v1, 0x100, v1
	v_max_i32_e32 v1, s12, v1
	v_not_b32_e32 v3, v0
	v_add3_u32 v1, s42, v1, v3
	v_subrev_u32_e32 v3, s33, v1
	s_movk_i32 s4, 0xd00
	s_movk_i32 s6, 0xcff
	v_cmp_gt_u32_e64 s[4:5], s4, v3
	v_cmp_lt_u32_e32 vcc, s6, v3
	v_mov_b32_e32 v1, 0
	s_and_saveexec_b64 s[6:7], vcc
	s_cbranch_execz .LBB73_79
; %bb.74:
	v_and_b32_e32 v1, 0xffffff00, v3
	v_add_u32_e32 v1, v2, v1
	v_cmp_ge_i32_e32 vcc, v1, v2
	s_mov_b64 s[10:11], -1
	v_mov_b32_e32 v1, 0
	s_and_saveexec_b64 s[8:9], vcc
	s_cbranch_execz .LBB73_78
; %bb.75:
	v_lshrrev_b32_e32 v1, 8, v3
	v_add_u32_e32 v3, 1, v1
	v_and_b32_e32 v4, 0x1fffffe, v3
	v_lshlrev_b32_e32 v5, 2, v0
	v_mov_b32_e32 v1, v2
	s_mov_b32 s41, s40
	s_mov_b32 s13, s42
	s_movk_i32 s14, 0x100
	s_mov_b32 s15, 0
	s_mov_b64 s[10:11], 0
	v_mov_b32_e32 v6, v4
.LBB73_76:                              ; =>This Inner Loop Header: Depth=1
	v_add_u32_e32 v8, s15, v2
	v_add_u32_e32 v10, s14, v1
	v_ashrrev_i32_e32 v9, 31, v8
	v_ashrrev_i32_e32 v11, 31, v10
	v_lshl_add_u64 v[12:13], v[8:9], 2, s[26:27]
	v_lshl_add_u64 v[14:15], v[10:11], 2, s[26:27]
	global_load_dword v7, v[12:13], off
	global_load_dword v16, v[14:15], off
	v_lshl_add_u64 v[8:9], v[8:9], 1, s[28:29]
	v_lshl_add_u64 v[10:11], v[10:11], 1, s[28:29]
	global_load_ushort v12, v[8:9], off
	global_load_ushort v13, v[10:11], off
	v_add_u32_e32 v6, -2, v6
	s_addk_i32 s15, 0x200
	s_addk_i32 s14, 0x200
	v_cmp_eq_u32_e32 vcc, 0, v6
	s_or_b64 s[10:11], vcc, s[10:11]
	s_waitcnt vmcnt(3)
	v_subrev_u32_e32 v8, s42, v7
	s_waitcnt vmcnt(2)
	v_subrev_u32_e32 v10, s13, v16
	v_ashrrev_i32_e32 v11, 31, v10
	v_ashrrev_i32_e32 v9, 31, v8
	v_lshl_add_u64 v[10:11], v[10:11], 1, s[30:31]
	v_lshl_add_u64 v[8:9], v[8:9], 1, s[30:31]
	global_load_ushort v7, v[10:11], off
	global_load_ushort v14, v[8:9], off
	s_waitcnt vmcnt(2)
	v_lshlrev_b32_e32 v9, 16, v13
	v_lshlrev_b32_e32 v8, 16, v12
	v_pk_mul_f32 v[8:9], s[40:41], v[8:9]
	s_waitcnt vmcnt(1)
	v_lshlrev_b32_e32 v11, 16, v7
	s_waitcnt vmcnt(0)
	v_lshlrev_b32_e32 v10, 16, v14
	v_pk_mul_f32 v[8:9], v[8:9], v[10:11]
	ds_write2st64_b32 v5, v8, v9 offset1:4
	v_add_u32_e32 v5, 0x800, v5
	s_andn2_b64 exec, exec, s[10:11]
	s_cbranch_execnz .LBB73_76
; %bb.77:
	s_or_b64 exec, exec, s[10:11]
	v_cmp_ne_u32_e32 vcc, v3, v4
	v_lshlrev_b32_e32 v1, 8, v4
	s_orn2_b64 s[10:11], vcc, exec
.LBB73_78:
	s_or_b64 exec, exec, s[8:9]
	s_andn2_b64 s[4:5], s[4:5], exec
	s_and_b64 s[8:9], s[10:11], exec
	s_or_b64 s[4:5], s[4:5], s[8:9]
.LBB73_79:
	s_or_b64 exec, exec, s[6:7]
	s_and_b64 exec, exec, s[4:5]
	s_cbranch_execz .LBB73_82
; %bb.80:
	v_add3_u32 v2, v0, v1, s33
	v_lshlrev_b32_e32 v1, 2, v1
	v_subrev_u32_e32 v2, s42, v2
	v_lshl_add_u32 v1, v0, 2, v1
	s_mov_b64 s[4:5], 0
.LBB73_81:                              ; =>This Inner Loop Header: Depth=1
	v_ashrrev_i32_e32 v3, 31, v2
	v_lshl_add_u64 v[4:5], v[2:3], 2, s[26:27]
	global_load_dword v6, v[4:5], off
	v_lshl_add_u64 v[4:5], v[2:3], 1, s[28:29]
	global_load_ushort v3, v[4:5], off
	v_add_u32_e32 v2, 0x100, v2
	v_cmp_le_i32_e32 vcc, s12, v2
	s_or_b64 s[4:5], vcc, s[4:5]
	s_waitcnt vmcnt(1)
	v_subrev_u32_e32 v4, s42, v6
	v_ashrrev_i32_e32 v5, 31, v4
	v_lshl_add_u64 v[4:5], v[4:5], 1, s[30:31]
	global_load_ushort v4, v[4:5], off
	s_waitcnt vmcnt(1)
	v_lshlrev_b32_e32 v3, 16, v3
	v_mul_f32_e32 v3, s40, v3
	s_waitcnt vmcnt(0)
	v_lshlrev_b32_e32 v4, 16, v4
	v_mul_f32_e32 v3, v3, v4
	ds_write_b32 v1, v3
	v_add_u32_e32 v1, 0x400, v1
	s_andn2_b64 exec, exec, s[4:5]
	s_cbranch_execnz .LBB73_81
.LBB73_82:
	s_or_b64 exec, exec, s[2:3]
                                        ; implicit-def: $vgpr2
.LBB73_83:
	s_or_saveexec_b64 s[0:1], s[0:1]
	v_lshlrev_b32_e32 v1, 2, v0
	s_xor_b64 exec, exec, s[0:1]
	s_cbranch_execz .LBB73_85
; %bb.84:
	v_ashrrev_i32_e32 v3, 31, v2
	v_lshl_add_u64 v[4:5], v[2:3], 2, s[26:27]
	global_load_dword v6, v[4:5], off
	global_load_dword v7, v[4:5], off offset:1024
	global_load_dword v8, v[4:5], off offset:2048
	;; [unrolled: 1-line block ×3, first 2 shown]
	v_lshl_add_u64 v[2:3], v[2:3], 1, s[28:29]
	global_load_ushort v10, v[2:3], off
	global_load_ushort v11, v[2:3], off offset:512
	global_load_ushort v12, v[2:3], off offset:1024
	global_load_ushort v13, v[2:3], off offset:1536
	s_waitcnt vmcnt(7)
	v_subrev_u32_e32 v2, s42, v6
	s_waitcnt vmcnt(6)
	v_subrev_u32_e32 v4, s42, v7
	;; [unrolled: 2-line block ×4, first 2 shown]
	v_ashrrev_i32_e32 v3, 31, v2
	v_ashrrev_i32_e32 v5, 31, v4
	;; [unrolled: 1-line block ×4, first 2 shown]
	v_lshl_add_u64 v[2:3], v[2:3], 1, s[30:31]
	v_lshl_add_u64 v[4:5], v[4:5], 1, s[30:31]
	;; [unrolled: 1-line block ×4, first 2 shown]
	global_load_ushort v14, v[2:3], off
	global_load_ushort v15, v[4:5], off
	;; [unrolled: 1-line block ×4, first 2 shown]
	s_waitcnt vmcnt(7)
	v_lshlrev_b32_e32 v2, 16, v10
	s_waitcnt vmcnt(6)
	v_lshlrev_b32_e32 v3, 16, v11
	;; [unrolled: 2-line block ×4, first 2 shown]
	v_mul_f32_e32 v2, s40, v2
	v_mul_f32_e32 v3, s40, v3
	;; [unrolled: 1-line block ×4, first 2 shown]
	s_waitcnt vmcnt(3)
	v_lshlrev_b32_e32 v6, 16, v14
	s_waitcnt vmcnt(2)
	v_lshlrev_b32_e32 v7, 16, v15
	;; [unrolled: 2-line block ×4, first 2 shown]
	v_mul_f32_e32 v2, v2, v6
	v_mul_f32_e32 v3, v3, v7
	;; [unrolled: 1-line block ×4, first 2 shown]
	ds_write2st64_b32 v1, v2, v3 offset1:4
	ds_write2st64_b32 v1, v4, v5 offset0:8 offset1:12
.LBB73_85:
	s_or_b64 exec, exec, s[0:1]
	s_cmp_lt_i32 s23, 2
	s_mov_b64 s[0:1], -1
	s_waitcnt lgkmcnt(0)
	s_barrier
	s_cbranch_scc0 .LBB73_96
; %bb.86:
	v_add_u32_e32 v2, s36, v0
	v_cmp_gt_i32_e32 vcc, s37, v2
	s_and_saveexec_b64 s[0:1], vcc
	s_cbranch_execz .LBB73_95
; %bb.87:
	s_lshl_b32 s4, s33, 2
	v_cmp_neq_f32_e64 s[2:3], s22, 0
	s_sub_i32 s10, 0, s4
	s_mov_b64 s[4:5], 0
	s_branch .LBB73_89
.LBB73_88:                              ;   in Loop: Header=BB73_89 Depth=1
	v_add_u32_e32 v2, 0x100, v2
	v_cmp_le_i32_e32 vcc, s37, v2
	s_or_b64 s[4:5], vcc, s[4:5]
	global_store_dword v[4:5], v6, off
	s_andn2_b64 exec, exec, s[4:5]
	s_cbranch_execz .LBB73_95
.LBB73_89:                              ; =>This Loop Header: Depth=1
                                        ;     Child Loop BB73_91 Depth 2
	v_ashrrev_i32_e32 v3, 31, v2
	v_lshl_add_u64 v[4:5], v[2:3], 2, s[24:25]
	global_load_dwordx2 v[4:5], v[4:5], off
	v_mov_b32_e32 v6, 0
	s_waitcnt vmcnt(0)
	v_cmp_lt_i32_e32 vcc, v4, v5
	s_and_saveexec_b64 s[6:7], vcc
	s_cbranch_execz .LBB73_93
; %bb.90:                               ;   in Loop: Header=BB73_89 Depth=1
	v_subrev_u32_e32 v5, s33, v5
	v_subrev_u32_e32 v7, s33, v4
	v_lshl_add_u32 v4, v4, 2, s10
	v_mov_b32_e32 v6, 0
	s_mov_b64 s[8:9], 0
.LBB73_91:                              ;   Parent Loop BB73_89 Depth=1
                                        ; =>  This Inner Loop Header: Depth=2
	ds_read_b32 v8, v4
	v_add_u32_e32 v7, 1, v7
	v_cmp_ge_i32_e32 vcc, v7, v5
	v_add_u32_e32 v4, 4, v4
	s_or_b64 s[8:9], vcc, s[8:9]
	s_waitcnt lgkmcnt(0)
	v_add_f32_e32 v6, v6, v8
	s_andn2_b64 exec, exec, s[8:9]
	s_cbranch_execnz .LBB73_91
; %bb.92:                               ;   in Loop: Header=BB73_89 Depth=1
	s_or_b64 exec, exec, s[8:9]
.LBB73_93:                              ;   in Loop: Header=BB73_89 Depth=1
	s_or_b64 exec, exec, s[6:7]
	s_and_b64 vcc, exec, s[2:3]
	v_lshl_add_u64 v[4:5], v[2:3], 2, s[34:35]
	s_cbranch_vccz .LBB73_88
; %bb.94:                               ;   in Loop: Header=BB73_89 Depth=1
	global_load_dword v3, v[4:5], off
	s_waitcnt vmcnt(0)
	v_fmac_f32_e32 v6, s22, v3
	s_branch .LBB73_88
.LBB73_95:
	s_or_b64 exec, exec, s[0:1]
	s_mov_b64 s[0:1], 0
.LBB73_96:
	s_andn2_b64 vcc, exec, s[0:1]
	s_cbranch_vccnz .LBB73_121
; %bb.97:
	s_flbit_i32_b32 s0, s23
	s_xor_b32 s0, s0, 31
	v_lshrrev_b32_e32 v4, s0, v0
	v_add_u32_e32 v2, s36, v4
	s_add_i32 s0, s23, -1
	v_and_b32_e32 v0, s0, v0
	v_cmp_le_i32_e32 vcc, s37, v2
	v_cmp_gt_i32_e64 s[0:1], s37, v2
	v_mov_b32_e32 v3, 0
	s_and_saveexec_b64 s[2:3], s[0:1]
	s_cbranch_execz .LBB73_103
; %bb.98:
	v_lshlrev_b32_e32 v3, 2, v4
	global_load_dwordx2 v[6:7], v3, s[38:39]
	v_subrev_u32_e32 v3, s33, v0
	s_waitcnt vmcnt(0)
	v_subrev_u32_e32 v4, s33, v7
	v_add_u32_e32 v5, v6, v3
	v_cmp_lt_i32_e64 s[0:1], v5, v4
	v_mov_b32_e32 v3, 0
	s_and_saveexec_b64 s[4:5], s[0:1]
	s_cbranch_execz .LBB73_102
; %bb.99:
	v_lshlrev_b32_e32 v6, 2, v5
	s_lshl_b32 s8, s23, 2
	v_mov_b32_e32 v3, 0
	s_mov_b64 s[6:7], 0
.LBB73_100:                             ; =>This Inner Loop Header: Depth=1
	ds_read_b32 v7, v6
	v_add_u32_e32 v5, s23, v5
	v_cmp_ge_i32_e64 s[0:1], v5, v4
	v_add_u32_e32 v6, s8, v6
	s_or_b64 s[6:7], s[0:1], s[6:7]
	s_waitcnt lgkmcnt(0)
	v_add_f32_e32 v3, v3, v7
	s_andn2_b64 exec, exec, s[6:7]
	s_cbranch_execnz .LBB73_100
; %bb.101:
	s_or_b64 exec, exec, s[6:7]
.LBB73_102:
	s_or_b64 exec, exec, s[4:5]
.LBB73_103:
	s_or_b64 exec, exec, s[2:3]
	s_cmpk_lt_u32 s23, 0x81
	s_barrier
	ds_write_b32 v1, v3
	s_waitcnt lgkmcnt(0)
	s_barrier
	s_cbranch_scc1 .LBB73_105
; %bb.104:
	ds_read_b32 v4, v1 offset:512
	s_waitcnt lgkmcnt(0)
	s_barrier
	v_add_f32_e32 v3, v3, v4
	ds_write_b32 v1, v3
.LBB73_105:
	s_cmpk_lt_u32 s23, 0x41
	s_waitcnt lgkmcnt(0)
	s_barrier
	s_cbranch_scc1 .LBB73_107
; %bb.106:
	ds_read_b32 v4, v1 offset:256
	s_waitcnt lgkmcnt(0)
	s_barrier
	v_add_f32_e32 v3, v3, v4
	ds_write_b32 v1, v3
.LBB73_107:
	s_cmp_lt_u32 s23, 33
	s_waitcnt lgkmcnt(0)
	s_barrier
	s_cbranch_scc1 .LBB73_109
; %bb.108:
	ds_read_b32 v4, v1 offset:128
	s_waitcnt lgkmcnt(0)
	s_barrier
	v_add_f32_e32 v3, v3, v4
	ds_write_b32 v1, v3
.LBB73_109:
	s_cmp_lt_u32 s23, 17
	;; [unrolled: 11-line block ×4, first 2 shown]
	s_waitcnt lgkmcnt(0)
	s_barrier
	s_cbranch_scc1 .LBB73_115
; %bb.114:
	ds_read_b32 v4, v1 offset:16
	s_waitcnt lgkmcnt(0)
	s_barrier
	v_add_f32_e32 v3, v3, v4
	ds_write_b32 v1, v3
.LBB73_115:
	s_cmp_eq_u32 s23, 2
	s_waitcnt lgkmcnt(0)
	s_barrier
	s_cbranch_scc1 .LBB73_117
; %bb.116:
	ds_read_b32 v4, v1 offset:8
	s_waitcnt lgkmcnt(0)
	s_barrier
	v_add_f32_e32 v3, v3, v4
	ds_write_b32 v1, v3
.LBB73_117:
	s_waitcnt lgkmcnt(0)
	s_barrier
	ds_read_b32 v4, v1 offset:4
	v_cmp_eq_u32_e64 s[0:1], 0, v0
	s_xor_b64 s[2:3], vcc, -1
	s_and_b64 s[0:1], s[0:1], s[2:3]
	s_waitcnt lgkmcnt(0)
	v_add_f32_e32 v4, v3, v4
	s_barrier
	ds_write_b32 v1, v4
	s_and_saveexec_b64 s[2:3], s[0:1]
	s_cbranch_execz .LBB73_121
; %bb.118:
	v_ashrrev_i32_e32 v3, 31, v2
	v_cmp_eq_f32_e64 s[0:1], s22, 0
	s_and_b64 vcc, exec, s[0:1]
	v_lshl_add_u64 v[0:1], v[2:3], 2, s[34:35]
	s_cbranch_vccnz .LBB73_120
; %bb.119:
	global_load_dword v2, v[0:1], off
	s_waitcnt vmcnt(0)
	v_fmac_f32_e32 v4, s22, v2
.LBB73_120:
	global_store_dword v[0:1], v4, off
.LBB73_121:
	s_endpgm
	.section	.rodata,"a",@progbits
	.p2align	6, 0x0
	.amdhsa_kernel _ZN9rocsparseL22csrmvn_adaptive_kernelIii18rocsparse_bfloat16S1_ffEEvbT_PKS2_PjPKT0_NS_24const_host_device_scalarIT4_EES4_S8_PKT1_PKT2_SB_PT3_21rocsparse_index_base_b
		.amdhsa_group_segment_fixed_size 4096
		.amdhsa_private_segment_fixed_size 0
		.amdhsa_kernarg_size 96
		.amdhsa_user_sgpr_count 2
		.amdhsa_user_sgpr_dispatch_ptr 0
		.amdhsa_user_sgpr_queue_ptr 0
		.amdhsa_user_sgpr_kernarg_segment_ptr 1
		.amdhsa_user_sgpr_dispatch_id 0
		.amdhsa_user_sgpr_kernarg_preload_length 0
		.amdhsa_user_sgpr_kernarg_preload_offset 0
		.amdhsa_user_sgpr_private_segment_size 0
		.amdhsa_uses_dynamic_stack 0
		.amdhsa_enable_private_segment 0
		.amdhsa_system_sgpr_workgroup_id_x 1
		.amdhsa_system_sgpr_workgroup_id_y 0
		.amdhsa_system_sgpr_workgroup_id_z 0
		.amdhsa_system_sgpr_workgroup_info 0
		.amdhsa_system_vgpr_workitem_id 0
		.amdhsa_next_free_vgpr 18
		.amdhsa_next_free_sgpr 60
		.amdhsa_accum_offset 20
		.amdhsa_reserve_vcc 1
		.amdhsa_float_round_mode_32 0
		.amdhsa_float_round_mode_16_64 0
		.amdhsa_float_denorm_mode_32 3
		.amdhsa_float_denorm_mode_16_64 3
		.amdhsa_dx10_clamp 1
		.amdhsa_ieee_mode 1
		.amdhsa_fp16_overflow 0
		.amdhsa_tg_split 0
		.amdhsa_exception_fp_ieee_invalid_op 0
		.amdhsa_exception_fp_denorm_src 0
		.amdhsa_exception_fp_ieee_div_zero 0
		.amdhsa_exception_fp_ieee_overflow 0
		.amdhsa_exception_fp_ieee_underflow 0
		.amdhsa_exception_fp_ieee_inexact 0
		.amdhsa_exception_int_div_zero 0
	.end_amdhsa_kernel
	.section	.text._ZN9rocsparseL22csrmvn_adaptive_kernelIii18rocsparse_bfloat16S1_ffEEvbT_PKS2_PjPKT0_NS_24const_host_device_scalarIT4_EES4_S8_PKT1_PKT2_SB_PT3_21rocsparse_index_base_b,"axG",@progbits,_ZN9rocsparseL22csrmvn_adaptive_kernelIii18rocsparse_bfloat16S1_ffEEvbT_PKS2_PjPKT0_NS_24const_host_device_scalarIT4_EES4_S8_PKT1_PKT2_SB_PT3_21rocsparse_index_base_b,comdat
.Lfunc_end73:
	.size	_ZN9rocsparseL22csrmvn_adaptive_kernelIii18rocsparse_bfloat16S1_ffEEvbT_PKS2_PjPKT0_NS_24const_host_device_scalarIT4_EES4_S8_PKT1_PKT2_SB_PT3_21rocsparse_index_base_b, .Lfunc_end73-_ZN9rocsparseL22csrmvn_adaptive_kernelIii18rocsparse_bfloat16S1_ffEEvbT_PKS2_PjPKT0_NS_24const_host_device_scalarIT4_EES4_S8_PKT1_PKT2_SB_PT3_21rocsparse_index_base_b
                                        ; -- End function
	.set _ZN9rocsparseL22csrmvn_adaptive_kernelIii18rocsparse_bfloat16S1_ffEEvbT_PKS2_PjPKT0_NS_24const_host_device_scalarIT4_EES4_S8_PKT1_PKT2_SB_PT3_21rocsparse_index_base_b.num_vgpr, 18
	.set _ZN9rocsparseL22csrmvn_adaptive_kernelIii18rocsparse_bfloat16S1_ffEEvbT_PKS2_PjPKT0_NS_24const_host_device_scalarIT4_EES4_S8_PKT1_PKT2_SB_PT3_21rocsparse_index_base_b.num_agpr, 0
	.set _ZN9rocsparseL22csrmvn_adaptive_kernelIii18rocsparse_bfloat16S1_ffEEvbT_PKS2_PjPKT0_NS_24const_host_device_scalarIT4_EES4_S8_PKT1_PKT2_SB_PT3_21rocsparse_index_base_b.numbered_sgpr, 60
	.set _ZN9rocsparseL22csrmvn_adaptive_kernelIii18rocsparse_bfloat16S1_ffEEvbT_PKS2_PjPKT0_NS_24const_host_device_scalarIT4_EES4_S8_PKT1_PKT2_SB_PT3_21rocsparse_index_base_b.num_named_barrier, 0
	.set _ZN9rocsparseL22csrmvn_adaptive_kernelIii18rocsparse_bfloat16S1_ffEEvbT_PKS2_PjPKT0_NS_24const_host_device_scalarIT4_EES4_S8_PKT1_PKT2_SB_PT3_21rocsparse_index_base_b.private_seg_size, 0
	.set _ZN9rocsparseL22csrmvn_adaptive_kernelIii18rocsparse_bfloat16S1_ffEEvbT_PKS2_PjPKT0_NS_24const_host_device_scalarIT4_EES4_S8_PKT1_PKT2_SB_PT3_21rocsparse_index_base_b.uses_vcc, 1
	.set _ZN9rocsparseL22csrmvn_adaptive_kernelIii18rocsparse_bfloat16S1_ffEEvbT_PKS2_PjPKT0_NS_24const_host_device_scalarIT4_EES4_S8_PKT1_PKT2_SB_PT3_21rocsparse_index_base_b.uses_flat_scratch, 0
	.set _ZN9rocsparseL22csrmvn_adaptive_kernelIii18rocsparse_bfloat16S1_ffEEvbT_PKS2_PjPKT0_NS_24const_host_device_scalarIT4_EES4_S8_PKT1_PKT2_SB_PT3_21rocsparse_index_base_b.has_dyn_sized_stack, 0
	.set _ZN9rocsparseL22csrmvn_adaptive_kernelIii18rocsparse_bfloat16S1_ffEEvbT_PKS2_PjPKT0_NS_24const_host_device_scalarIT4_EES4_S8_PKT1_PKT2_SB_PT3_21rocsparse_index_base_b.has_recursion, 0
	.set _ZN9rocsparseL22csrmvn_adaptive_kernelIii18rocsparse_bfloat16S1_ffEEvbT_PKS2_PjPKT0_NS_24const_host_device_scalarIT4_EES4_S8_PKT1_PKT2_SB_PT3_21rocsparse_index_base_b.has_indirect_call, 0
	.section	.AMDGPU.csdata,"",@progbits
; Kernel info:
; codeLenInByte = 3936
; TotalNumSgprs: 66
; NumVgprs: 18
; NumAgprs: 0
; TotalNumVgprs: 18
; ScratchSize: 0
; MemoryBound: 0
; FloatMode: 240
; IeeeMode: 1
; LDSByteSize: 4096 bytes/workgroup (compile time only)
; SGPRBlocks: 8
; VGPRBlocks: 2
; NumSGPRsForWavesPerEU: 66
; NumVGPRsForWavesPerEU: 18
; AccumOffset: 20
; Occupancy: 8
; WaveLimiterHint : 1
; COMPUTE_PGM_RSRC2:SCRATCH_EN: 0
; COMPUTE_PGM_RSRC2:USER_SGPR: 2
; COMPUTE_PGM_RSRC2:TRAP_HANDLER: 0
; COMPUTE_PGM_RSRC2:TGID_X_EN: 1
; COMPUTE_PGM_RSRC2:TGID_Y_EN: 0
; COMPUTE_PGM_RSRC2:TGID_Z_EN: 0
; COMPUTE_PGM_RSRC2:TIDIG_COMP_CNT: 0
; COMPUTE_PGM_RSRC3_GFX90A:ACCUM_OFFSET: 4
; COMPUTE_PGM_RSRC3_GFX90A:TG_SPLIT: 0
	.section	.text._ZN9rocsparseL27csrmvn_symm_adaptive_kernelIii18rocsparse_bfloat16S1_ffEEvbT_S2_PKS2_NS_24const_host_device_scalarIT4_EES4_PKT0_PKT1_PKT2_S7_PT3_21rocsparse_index_base_b,"axG",@progbits,_ZN9rocsparseL27csrmvn_symm_adaptive_kernelIii18rocsparse_bfloat16S1_ffEEvbT_S2_PKS2_NS_24const_host_device_scalarIT4_EES4_PKT0_PKT1_PKT2_S7_PT3_21rocsparse_index_base_b,comdat
	.globl	_ZN9rocsparseL27csrmvn_symm_adaptive_kernelIii18rocsparse_bfloat16S1_ffEEvbT_S2_PKS2_NS_24const_host_device_scalarIT4_EES4_PKT0_PKT1_PKT2_S7_PT3_21rocsparse_index_base_b ; -- Begin function _ZN9rocsparseL27csrmvn_symm_adaptive_kernelIii18rocsparse_bfloat16S1_ffEEvbT_S2_PKS2_NS_24const_host_device_scalarIT4_EES4_PKT0_PKT1_PKT2_S7_PT3_21rocsparse_index_base_b
	.p2align	8
	.type	_ZN9rocsparseL27csrmvn_symm_adaptive_kernelIii18rocsparse_bfloat16S1_ffEEvbT_S2_PKS2_NS_24const_host_device_scalarIT4_EES4_PKT0_PKT1_PKT2_S7_PT3_21rocsparse_index_base_b,@function
_ZN9rocsparseL27csrmvn_symm_adaptive_kernelIii18rocsparse_bfloat16S1_ffEEvbT_S2_PKS2_NS_24const_host_device_scalarIT4_EES4_PKT0_PKT1_PKT2_S7_PT3_21rocsparse_index_base_b: ; @_ZN9rocsparseL27csrmvn_symm_adaptive_kernelIii18rocsparse_bfloat16S1_ffEEvbT_S2_PKS2_NS_24const_host_device_scalarIT4_EES4_PKT0_PKT1_PKT2_S7_PT3_21rocsparse_index_base_b
; %bb.0:
	s_load_dwordx2 s[22:23], s[0:1], 0x50
	s_load_dwordx2 s[24:25], s[0:1], 0x18
	;; [unrolled: 1-line block ×3, first 2 shown]
	s_waitcnt lgkmcnt(0)
	s_bitcmp1_b32 s23, 0
	s_cselect_b64 s[8:9], -1, 0
	s_xor_b64 s[6:7], s[8:9], -1
	s_and_b64 vcc, exec, s[8:9]
	s_cbranch_vccnz .LBB74_2
; %bb.1:
	s_load_dword s24, s[24:25], 0x0
.LBB74_2:
	s_andn2_b64 vcc, exec, s[6:7]
	s_cbranch_vccnz .LBB74_4
; %bb.3:
	s_load_dword s4, s[4:5], 0x0
.LBB74_4:
	s_waitcnt lgkmcnt(0)
	v_cmp_neq_f32_e64 s[6:7], s24, 0
	v_cmp_neq_f32_e64 s[4:5], s4, 1.0
	s_or_b64 s[4:5], s[6:7], s[4:5]
	s_andn2_b64 vcc, exec, s[4:5]
	s_cbranch_vccnz .LBB74_133
; %bb.5:
	s_load_dwordx2 s[4:5], s[0:1], 0x10
	s_ashr_i32 s3, s2, 31
	s_lshl_b64 s[2:3], s[2:3], 2
	v_lshlrev_b32_e32 v10, 2, v0
	v_mov_b32_e32 v1, 0
	s_waitcnt lgkmcnt(0)
	s_add_u32 s2, s4, s2
	s_addc_u32 s3, s5, s3
	ds_write2st64_b32 v10, v1, v1 offset1:4
	ds_write2st64_b32 v10, v1, v1 offset0:8 offset1:12
	s_waitcnt lgkmcnt(0)
	s_barrier
	s_load_dwordx2 s[20:21], s[2:3], 0x0
	s_load_dwordx8 s[12:19], s[0:1], 0x20
	s_load_dwordx2 s[10:11], s[0:1], 0x48
	s_mov_b64 s[2:3], -1
	v_subrev_u32_e32 v1, s22, v0
	s_waitcnt lgkmcnt(0)
	s_sub_i32 s23, s21, s20
	s_cmp_gt_i32 s23, 2
	s_cbranch_scc1 .LBB74_34
; %bb.6:
	s_cmp_le_i32 s21, s20
	s_cbranch_scc1 .LBB74_24
; %bb.7:
	v_cmp_gt_u32_e32 vcc, 64, v0
	v_cmp_gt_u32_e64 s[2:3], 16, v0
	v_cmp_gt_u32_e64 s[4:5], 4, v0
	v_cmp_eq_u32_e64 s[6:7], 0, v0
	s_mov_b64 s[26:27], 0x400
	s_mov_b64 s[28:29], 0x200
	v_mov_b32_e32 v8, 0
	s_mov_b32 s30, s20
	s_branch .LBB74_9
.LBB74_8:                               ;   in Loop: Header=BB74_9 Depth=1
	s_or_b64 exec, exec, s[36:37]
	s_add_i32 s30, s30, 1
	s_cmp_ge_i32 s30, s21
	s_cbranch_scc1 .LBB74_24
.LBB74_9:                               ; =>This Loop Header: Depth=1
                                        ;     Child Loop BB74_11 Depth 2
	s_ashr_i32 s31, s30, 31
	s_lshl_b64 s[34:35], s[30:31], 2
	s_add_u32 s8, s12, s34
	s_addc_u32 s9, s13, s35
	s_load_dwordx2 s[36:37], s[8:9], 0x0
	v_mov_b32_e32 v3, 0
	s_waitcnt lgkmcnt(0)
	v_add_u32_e32 v2, s36, v1
	s_sub_i32 s25, s37, s22
	v_cmp_gt_i32_e64 s[8:9], s25, v2
	s_and_saveexec_b64 s[36:37], s[8:9]
	s_cbranch_execz .LBB74_13
; %bb.10:                               ;   in Loop: Header=BB74_9 Depth=1
	v_ashrrev_i32_e32 v3, 31, v2
	v_lshl_add_u64 v[4:5], v[2:3], 2, s[14:15]
	v_lshl_add_u64 v[6:7], v[2:3], 1, s[16:17]
	v_mov_b32_e32 v3, 0
	s_mov_b64 s[38:39], 0
.LBB74_11:                              ;   Parent Loop BB74_9 Depth=1
                                        ; =>  This Inner Loop Header: Depth=2
	global_load_dword v9, v[4:5], off
	global_load_ushort v11, v[6:7], off
	v_add_u32_e32 v2, 0x100, v2
	v_cmp_le_i32_e64 s[8:9], s25, v2
	v_lshl_add_u64 v[4:5], v[4:5], 0, s[26:27]
	v_lshl_add_u64 v[6:7], v[6:7], 0, s[28:29]
	s_or_b64 s[38:39], s[8:9], s[38:39]
	s_waitcnt vmcnt(1)
	v_subrev_u32_e32 v12, s22, v9
	v_ashrrev_i32_e32 v13, 31, v12
	v_lshl_add_u64 v[12:13], v[12:13], 1, s[18:19]
	global_load_ushort v9, v[12:13], off
	s_waitcnt vmcnt(1)
	v_lshlrev_b32_e32 v11, 16, v11
	s_waitcnt vmcnt(0)
	v_lshlrev_b32_e32 v9, 16, v9
	v_fmac_f32_e32 v3, v11, v9
	s_andn2_b64 exec, exec, s[38:39]
	s_cbranch_execnz .LBB74_11
; %bb.12:                               ;   in Loop: Header=BB74_9 Depth=1
	s_or_b64 exec, exec, s[38:39]
.LBB74_13:                              ;   in Loop: Header=BB74_9 Depth=1
	s_or_b64 exec, exec, s[36:37]
	ds_write_b32 v10, v3
	s_waitcnt lgkmcnt(0)
	s_barrier
	ds_read2st64_b32 v[2:3], v10 offset1:4
	ds_read2st64_b32 v[4:5], v10 offset0:8 offset1:12
	s_waitcnt lgkmcnt(0)
	v_add_f32_e32 v3, v3, v4
	v_add_f32_e32 v3, v3, v5
	;; [unrolled: 1-line block ×3, first 2 shown]
	ds_write_b32 v10, v2
	s_waitcnt lgkmcnt(0)
	s_barrier
	s_and_saveexec_b64 s[8:9], vcc
	s_cbranch_execz .LBB74_15
; %bb.14:                               ;   in Loop: Header=BB74_9 Depth=1
	ds_read2st64_b32 v[2:3], v10 offset1:1
	ds_read2st64_b32 v[4:5], v10 offset0:2 offset1:3
	s_waitcnt lgkmcnt(0)
	v_add_f32_e32 v3, v3, v4
	v_add_f32_e32 v3, v3, v5
	;; [unrolled: 1-line block ×3, first 2 shown]
	ds_write_b32 v10, v2
.LBB74_15:                              ;   in Loop: Header=BB74_9 Depth=1
	s_or_b64 exec, exec, s[8:9]
	s_waitcnt lgkmcnt(0)
	s_barrier
	s_and_saveexec_b64 s[8:9], s[2:3]
	s_cbranch_execz .LBB74_17
; %bb.16:                               ;   in Loop: Header=BB74_9 Depth=1
	ds_read2_b32 v[2:3], v10 offset1:16
	ds_read2_b32 v[4:5], v10 offset0:32 offset1:48
	s_waitcnt lgkmcnt(0)
	v_add_f32_e32 v3, v3, v4
	v_add_f32_e32 v3, v3, v5
	;; [unrolled: 1-line block ×3, first 2 shown]
	ds_write_b32 v10, v2
.LBB74_17:                              ;   in Loop: Header=BB74_9 Depth=1
	s_or_b64 exec, exec, s[8:9]
	s_waitcnt lgkmcnt(0)
	s_barrier
	s_and_saveexec_b64 s[8:9], s[4:5]
	s_cbranch_execz .LBB74_19
; %bb.18:                               ;   in Loop: Header=BB74_9 Depth=1
	ds_read2_b32 v[2:3], v10 offset1:4
	ds_read2_b32 v[4:5], v10 offset0:8 offset1:12
	s_waitcnt lgkmcnt(0)
	v_add_f32_e32 v3, v3, v4
	v_add_f32_e32 v3, v3, v5
	;; [unrolled: 1-line block ×3, first 2 shown]
	ds_write_b32 v10, v2
.LBB74_19:                              ;   in Loop: Header=BB74_9 Depth=1
	s_or_b64 exec, exec, s[8:9]
	s_waitcnt lgkmcnt(0)
	s_barrier
	s_and_saveexec_b64 s[8:9], s[6:7]
	s_cbranch_execz .LBB74_21
; %bb.20:                               ;   in Loop: Header=BB74_9 Depth=1
	ds_read2_b32 v[2:3], v8 offset0:1 offset1:2
	ds_read_b32 v4, v8 offset:12
	ds_read_b32 v5, v10
	s_waitcnt lgkmcnt(2)
	v_add_f32_e32 v2, v2, v3
	s_waitcnt lgkmcnt(1)
	v_add_f32_e32 v2, v2, v4
	;; [unrolled: 2-line block ×3, first 2 shown]
	ds_write_b32 v10, v2
.LBB74_21:                              ;   in Loop: Header=BB74_9 Depth=1
	s_or_b64 exec, exec, s[8:9]
	s_waitcnt lgkmcnt(0)
	s_barrier
	s_and_saveexec_b64 s[36:37], s[6:7]
	s_cbranch_execz .LBB74_8
; %bb.22:                               ;   in Loop: Header=BB74_9 Depth=1
	s_mov_b64 s[38:39], exec
	v_mbcnt_lo_u32_b32 v2, s38, 0
	v_mbcnt_hi_u32_b32 v2, s39, v2
	v_cmp_eq_u32_e64 s[8:9], 0, v2
	s_and_b64 s[8:9], exec, s[8:9]
	s_mov_b64 exec, s[8:9]
	s_cbranch_execz .LBB74_8
; %bb.23:                               ;   in Loop: Header=BB74_9 Depth=1
	ds_read_b32 v2, v8
	s_add_u32 s8, s10, s34
	s_addc_u32 s9, s11, s35
	s_bcnt1_i32_b64 s25, s[38:39]
	v_cvt_f32_ubyte0_e32 v3, s25
	s_waitcnt lgkmcnt(0)
	v_mul_f32_e32 v2, s24, v2
	v_mul_f32_e32 v2, v2, v3
	global_atomic_add_f32 v8, v2, s[8:9]
	s_branch .LBB74_8
.LBB74_24:
	s_ashr_i32 s3, s20, 31
	s_mov_b32 s2, s20
	s_lshl_b64 s[2:3], s[2:3], 2
	s_add_u32 s2, s12, s2
	s_addc_u32 s3, s13, s3
	s_ashr_i32 s5, s21, 31
	s_mov_b32 s4, s21
	s_lshl_b64 s[4:5], s[4:5], 2
	s_add_u32 s4, s12, s4
	s_addc_u32 s5, s13, s5
	s_load_dword s6, s[4:5], 0x0
	s_load_dword s7, s[2:3], 0x0
	s_waitcnt lgkmcnt(0)
	s_sub_i32 s25, s6, s22
	v_add_u32_e32 v2, s7, v1
	v_cmp_gt_i32_e32 vcc, s25, v2
	s_and_saveexec_b64 s[6:7], vcc
	s_cbranch_execz .LBB74_33
; %bb.25:
	s_add_i32 s28, s21, -1
	s_cmp_lt_i32 s20, s28
	s_cselect_b64 s[2:3], -1, 0
	s_add_i32 s4, s21, -2
	s_cmp_lg_u32 s20, s4
	s_cselect_b64 s[4:5], -1, 0
	s_and_b64 s[2:3], s[2:3], s[4:5]
	v_cndmask_b32_e64 v3, 0, 1, s[2:3]
	s_mov_b64 s[8:9], 0
	v_cmp_ne_u32_e64 s[2:3], 1, v3
	s_branch .LBB74_27
.LBB74_26:                              ;   in Loop: Header=BB74_27 Depth=1
	s_or_b64 exec, exec, s[4:5]
	v_add_u32_e32 v2, 0x100, v2
	v_cmp_le_i32_e32 vcc, s25, v2
	s_or_b64 s[8:9], vcc, s[8:9]
	s_andn2_b64 exec, exec, s[8:9]
	s_cbranch_execz .LBB74_33
.LBB74_27:                              ; =>This Loop Header: Depth=1
                                        ;     Child Loop BB74_29 Depth 2
	s_and_b64 vcc, exec, s[2:3]
	v_mov_b32_e32 v6, s20
	v_mov_b32_e32 v4, s28
	s_cbranch_vccnz .LBB74_31
; %bb.28:                               ;   in Loop: Header=BB74_27 Depth=1
	s_mov_b64 s[26:27], 0
	v_mov_b32_e32 v6, s20
	v_mov_b32_e32 v4, s28
.LBB74_29:                              ;   Parent Loop BB74_27 Depth=1
                                        ; =>  This Inner Loop Header: Depth=2
	v_add_u32_e32 v3, v4, v6
	v_lshrrev_b32_e32 v5, 31, v3
	v_add_u32_e32 v3, v3, v5
	v_ashrrev_i32_e32 v8, 1, v3
	v_ashrrev_i32_e32 v9, 31, v8
	v_lshl_add_u64 v[12:13], v[8:9], 2, s[12:13]
	global_load_dword v3, v[12:13], off
	s_waitcnt vmcnt(0)
	v_subrev_u32_e32 v3, s22, v3
	v_cmp_lt_i32_e32 vcc, v2, v3
	s_nop 1
	v_cndmask_b32_e32 v4, v4, v8, vcc
	v_cndmask_b32_e32 v6, v8, v6, vcc
	v_add_u32_e32 v3, -1, v4
	v_cmp_ge_i32_e32 vcc, v6, v4
	v_cmp_eq_u32_e64 s[4:5], v6, v3
	s_or_b64 s[4:5], vcc, s[4:5]
	s_and_b64 s[4:5], exec, s[4:5]
	s_or_b64 s[26:27], s[4:5], s[26:27]
	s_andn2_b64 exec, exec, s[26:27]
	s_cbranch_execnz .LBB74_29
; %bb.30:                               ;   in Loop: Header=BB74_27 Depth=1
	s_or_b64 exec, exec, s[26:27]
.LBB74_31:                              ;   in Loop: Header=BB74_27 Depth=1
	v_ashrrev_i32_e32 v5, 31, v4
	v_lshl_add_u64 v[8:9], v[4:5], 2, s[12:13]
	global_load_dword v5, v[8:9], off
	v_ashrrev_i32_e32 v3, 31, v2
	v_lshl_add_u64 v[8:9], v[2:3], 2, s[14:15]
	global_load_dword v7, v[8:9], off
	s_waitcnt vmcnt(1)
	v_subrev_u32_e32 v5, s22, v5
	v_cmp_lt_i32_e32 vcc, v2, v5
	s_nop 1
	v_cndmask_b32_e32 v6, v4, v6, vcc
	s_waitcnt vmcnt(0)
	v_subrev_u32_e32 v4, s22, v7
	v_cmp_ne_u32_e32 vcc, v4, v6
	s_and_saveexec_b64 s[4:5], vcc
	s_cbranch_execz .LBB74_26
; %bb.32:                               ;   in Loop: Header=BB74_27 Depth=1
	v_lshl_add_u64 v[8:9], v[2:3], 1, s[16:17]
	v_ashrrev_i32_e32 v7, 31, v6
	global_load_ushort v3, v[8:9], off
	v_lshl_add_u64 v[6:7], v[6:7], 1, s[18:19]
	global_load_ushort v6, v[6:7], off
	v_ashrrev_i32_e32 v5, 31, v4
	v_lshl_add_u64 v[4:5], v[4:5], 2, s[10:11]
	s_waitcnt vmcnt(1)
	v_lshlrev_b32_e32 v3, 16, v3
	v_mul_f32_e32 v3, s24, v3
	s_waitcnt vmcnt(0)
	v_lshlrev_b32_e32 v6, 16, v6
	v_mul_f32_e32 v3, v3, v6
	global_atomic_add_f32 v[4:5], v3, off
	s_branch .LBB74_26
.LBB74_33:
	s_or_b64 exec, exec, s[6:7]
	s_mov_b64 s[2:3], 0
.LBB74_34:
	s_and_b64 vcc, exec, s[2:3]
	s_cbranch_vccz .LBB74_133
; %bb.35:
	v_cvt_f32_u32_e32 v2, s23
	s_ashr_i32 s3, s20, 31
	s_mov_b32 s2, s20
	s_sub_i32 s8, 0, s23
	v_rcp_iflag_f32_e32 v2, v2
	s_lshl_b64 s[2:3], s[2:3], 2
	s_add_u32 s4, s12, s2
	s_addc_u32 s5, s13, s3
	v_mul_f32_e32 v2, 0x4f7ffffe, v2
	v_cvt_u32_f32_e32 v2, v2
	s_load_dword s33, s[4:5], 0x0
	s_load_dwordx2 s[6:7], s[0:1], 0x4
	s_load_dword s36, s[0:1], 0x64
	v_readfirstlane_b32 s37, v2
	s_waitcnt lgkmcnt(0)
	v_add_u32_e32 v2, s33, v1
	s_mul_i32 s8, s8, s37
	v_add_u32_e32 v11, 0x300, v2
	s_mul_hi_u32 s38, s37, s8
	v_cmp_le_i32_e32 vcc, s6, v11
	s_and_saveexec_b64 s[0:1], vcc
	s_xor_b64 s[2:3], exec, s[0:1]
	s_cbranch_execz .LBB74_47
; %bb.36:
	s_ashr_i32 s1, s21, 31
	s_mov_b32 s0, s21
	s_lshl_b64 s[0:1], s[0:1], 2
	s_add_u32 s0, s12, s0
	s_addc_u32 s1, s13, s1
	s_load_dword s25, s[0:1], 0x0
	s_waitcnt lgkmcnt(0)
	s_sub_i32 s6, s25, s33
	v_cmp_gt_i32_e64 s[0:1], s6, v0
	s_and_saveexec_b64 s[8:9], s[0:1]
	s_cbranch_execz .LBB74_46
; %bb.37:
	v_xad_u32 v1, v0, -1, s25
	v_subrev_u32_e32 v3, s33, v1
	s_movk_i32 s0, 0x1100
	v_cmp_gt_u32_e64 s[26:27], s0, v3
	s_movk_i32 s0, 0x10ff
	v_cmp_lt_u32_e64 s[0:1], s0, v3
	v_mov_b32_e32 v1, 0
	s_and_saveexec_b64 s[28:29], s[0:1]
	s_cbranch_execz .LBB74_43
; %bb.38:
	v_and_b32_e32 v1, 0xffffff00, v3
	v_add_u32_e32 v1, v2, v1
	v_cmp_ge_i32_e64 s[0:1], v1, v2
	s_mov_b64 s[34:35], -1
	v_mov_b32_e32 v1, 0
	s_and_saveexec_b64 s[30:31], s[0:1]
	s_cbranch_execz .LBB74_42
; %bb.39:
	v_lshrrev_b32_e32 v1, 8, v3
	v_add_u32_e32 v3, 1, v1
	v_and_b32_e32 v4, 0x1fffffe, v3
	v_mov_b32_e32 v1, v2
	s_mov_b32 s25, s24
	s_movk_i32 s39, 0x100
	s_mov_b32 s40, 0
	s_mov_b64 s[34:35], 0
	v_mov_b32_e32 v5, v4
	v_mov_b32_e32 v6, v10
.LBB74_40:                              ; =>This Inner Loop Header: Depth=1
	v_add_u32_e32 v12, s39, v1
	v_add_u32_e32 v8, s40, v2
	v_ashrrev_i32_e32 v13, 31, v12
	v_ashrrev_i32_e32 v9, 31, v8
	v_lshl_add_u64 v[12:13], v[12:13], 1, s[16:17]
	v_lshl_add_u64 v[8:9], v[8:9], 1, s[16:17]
	global_load_ushort v7, v[12:13], off
	global_load_ushort v14, v[8:9], off
	v_add_u32_e32 v5, -2, v5
	s_addk_i32 s40, 0x200
	s_addk_i32 s39, 0x200
	v_cmp_eq_u32_e64 s[0:1], 0, v5
	s_or_b64 s[34:35], s[0:1], s[34:35]
	s_waitcnt vmcnt(1)
	v_lshlrev_b32_e32 v9, 16, v7
	s_waitcnt vmcnt(0)
	v_lshlrev_b32_e32 v8, 16, v14
	v_pk_mul_f32 v[8:9], s[24:25], v[8:9]
	ds_write2st64_b32 v6, v8, v9 offset1:4
	v_add_u32_e32 v6, 0x800, v6
	s_andn2_b64 exec, exec, s[34:35]
	s_cbranch_execnz .LBB74_40
; %bb.41:
	s_or_b64 exec, exec, s[34:35]
	v_cmp_ne_u32_e64 s[0:1], v3, v4
	v_lshlrev_b32_e32 v1, 8, v4
	s_orn2_b64 s[34:35], s[0:1], exec
.LBB74_42:
	s_or_b64 exec, exec, s[30:31]
	s_andn2_b64 s[0:1], s[26:27], exec
	s_and_b64 s[26:27], s[34:35], exec
	s_or_b64 s[26:27], s[0:1], s[26:27]
.LBB74_43:
	s_or_b64 exec, exec, s[28:29]
	s_and_b64 exec, exec, s[26:27]
	s_cbranch_execz .LBB74_46
; %bb.44:
	v_add_u32_e32 v3, v0, v1
	v_lshlrev_b32_e32 v1, 2, v1
	v_lshl_add_u32 v1, v0, 2, v1
	s_sub_i32 s25, s33, s22
	s_mov_b64 s[26:27], 0
.LBB74_45:                              ; =>This Inner Loop Header: Depth=1
	v_add_u32_e32 v4, s25, v3
	v_ashrrev_i32_e32 v5, 31, v4
	v_lshl_add_u64 v[4:5], v[4:5], 1, s[16:17]
	global_load_ushort v4, v[4:5], off
	v_add_u32_e32 v3, 0x100, v3
	v_cmp_le_i32_e64 s[0:1], s6, v3
	s_or_b64 s[26:27], s[0:1], s[26:27]
	s_waitcnt vmcnt(0)
	v_lshlrev_b32_e32 v4, 16, v4
	v_mul_f32_e32 v4, s24, v4
	ds_write_b32 v1, v4
	v_add_u32_e32 v1, 0x400, v1
	s_andn2_b64 exec, exec, s[26:27]
	s_cbranch_execnz .LBB74_45
.LBB74_46:
	s_or_b64 exec, exec, s[8:9]
.LBB74_47:
	s_or_saveexec_b64 s[0:1], s[2:3]
	s_and_b32 s28, s36, 0xffff
	s_add_i32 s37, s37, s38
	v_ashrrev_i32_e32 v3, 31, v2
	s_xor_b64 exec, exec, s[0:1]
	s_cbranch_execz .LBB74_49
; %bb.48:
	v_lshl_add_u64 v[4:5], v[2:3], 1, s[16:17]
	global_load_ushort v1, v[4:5], off
	global_load_ushort v6, v[4:5], off offset:512
	global_load_ushort v7, v[4:5], off offset:1024
	;; [unrolled: 1-line block ×3, first 2 shown]
	s_waitcnt vmcnt(3)
	v_lshlrev_b32_e32 v1, 16, v1
	s_waitcnt vmcnt(2)
	v_lshlrev_b32_e32 v4, 16, v6
	;; [unrolled: 2-line block ×4, first 2 shown]
	v_mul_f32_e32 v1, s24, v1
	v_mul_f32_e32 v4, s24, v4
	;; [unrolled: 1-line block ×4, first 2 shown]
	ds_write2st64_b32 v10, v1, v4 offset1:4
	ds_write2st64_b32 v10, v5, v6 offset0:8 offset1:12
.LBB74_49:
	s_or_b64 exec, exec, s[0:1]
	s_mul_hi_u32 s6, s28, s37
	v_cmp_gt_i32_e64 s[0:1], s7, v0
	s_and_saveexec_b64 s[2:3], s[0:1]
	s_cbranch_execz .LBB74_52
; %bb.50:
	v_mov_b32_e32 v1, 0x1000
	v_lshl_add_u32 v1, v0, 2, v1
	s_mov_b64 s[8:9], 0
	v_mov_b32_e32 v4, 0
	v_mov_b32_e32 v5, v0
.LBB74_51:                              ; =>This Inner Loop Header: Depth=1
	v_add_u32_e32 v5, 0x100, v5
	v_cmp_le_i32_e64 s[0:1], s7, v5
	ds_write_b32 v1, v4
	s_or_b64 s[8:9], s[0:1], s[8:9]
	v_add_u32_e32 v1, 0x400, v1
	s_andn2_b64 exec, exec, s[8:9]
	s_cbranch_execnz .LBB74_51
.LBB74_52:
	s_or_b64 exec, exec, s[2:3]
	s_sub_i32 s0, s21, s7
	s_cmp_ge_i32 s21, s7
	s_cselect_b32 s29, s0, 0
	s_waitcnt lgkmcnt(0)
	s_barrier
	s_and_saveexec_b64 s[0:1], vcc
	s_xor_b64 s[8:9], exec, s[0:1]
	s_cbranch_execz .LBB74_66
; %bb.53:
	s_ashr_i32 s1, s21, 31
	s_mov_b32 s0, s21
	s_lshl_b64 s[0:1], s[0:1], 2
	s_add_u32 s0, s12, s0
	s_addc_u32 s1, s13, s1
	s_load_dword s0, s[0:1], 0x0
	s_waitcnt lgkmcnt(0)
	s_sub_i32 s30, s0, s33
	v_cmp_gt_i32_e32 vcc, s30, v0
	s_and_saveexec_b64 s[16:17], vcc
	s_cbranch_execz .LBB74_65
; %bb.54:
	s_add_i32 s31, s21, -1
	s_add_i32 s1, s21, -2
	s_cmp_lg_u32 s20, s1
	s_cselect_b64 s[2:3], -1, 0
	v_cndmask_b32_e64 v1, 0, 1, s[2:3]
	s_sub_i32 s34, s0, s22
	s_mov_b32 s35, 0
	s_mov_b64 s[24:25], 0
	v_cmp_ne_u32_e64 s[0:1], 1, v1
	v_mov_b32_e32 v1, 0x1000
	s_branch .LBB74_56
.LBB74_55:                              ;   in Loop: Header=BB74_56 Depth=1
	s_or_b64 exec, exec, s[26:27]
	s_addk_i32 s35, 0x100
	v_add_u32_e32 v3, s35, v0
	v_cmp_le_i32_e32 vcc, s30, v3
	s_or_b64 s[24:25], vcc, s[24:25]
	s_andn2_b64 exec, exec, s[24:25]
	s_cbranch_execz .LBB74_65
.LBB74_56:                              ; =>This Loop Header: Depth=1
                                        ;     Child Loop BB74_58 Depth 2
	v_add_u32_e32 v4, s35, v2
	s_and_b64 vcc, exec, s[0:1]
	v_mov_b32_e32 v3, s20
	v_mov_b32_e32 v6, s31
	s_cbranch_vccnz .LBB74_60
; %bb.57:                               ;   in Loop: Header=BB74_56 Depth=1
	s_mov_b64 s[26:27], 0
	v_mov_b32_e32 v3, s20
	v_mov_b32_e32 v6, s31
.LBB74_58:                              ;   Parent Loop BB74_56 Depth=1
                                        ; =>  This Inner Loop Header: Depth=2
	v_add_u32_e32 v5, v6, v3
	v_lshrrev_b32_e32 v7, 31, v5
	v_add_u32_e32 v5, v5, v7
	v_ashrrev_i32_e32 v8, 1, v5
	v_ashrrev_i32_e32 v9, 31, v8
	v_lshl_add_u64 v[12:13], v[8:9], 2, s[12:13]
	global_load_dword v5, v[12:13], off
	s_waitcnt vmcnt(0)
	v_subrev_u32_e32 v5, s22, v5
	v_cmp_lt_i32_e32 vcc, v4, v5
	s_nop 1
	v_cndmask_b32_e32 v6, v6, v8, vcc
	v_cndmask_b32_e32 v3, v8, v3, vcc
	v_add_u32_e32 v5, -1, v6
	v_cmp_ge_i32_e32 vcc, v3, v6
	v_cmp_eq_u32_e64 s[2:3], v3, v5
	s_or_b64 s[2:3], vcc, s[2:3]
	s_and_b64 s[2:3], exec, s[2:3]
	s_or_b64 s[26:27], s[2:3], s[26:27]
	s_andn2_b64 exec, exec, s[26:27]
	s_cbranch_execnz .LBB74_58
; %bb.59:                               ;   in Loop: Header=BB74_56 Depth=1
	s_or_b64 exec, exec, s[26:27]
.LBB74_60:                              ;   in Loop: Header=BB74_56 Depth=1
	v_ashrrev_i32_e32 v7, 31, v6
	v_lshl_add_u64 v[8:9], v[6:7], 2, s[12:13]
	global_load_dword v7, v[8:9], off
	v_ashrrev_i32_e32 v5, 31, v4
	v_lshl_add_u64 v[8:9], v[4:5], 2, s[14:15]
	global_load_dword v5, v[8:9], off
	v_cmp_gt_i32_e64 s[2:3], s34, v4
	s_waitcnt vmcnt(1)
	v_subrev_u32_e32 v7, s22, v7
	v_cmp_lt_i32_e32 vcc, v4, v7
	s_waitcnt vmcnt(0)
	v_subrev_u32_e32 v8, s22, v5
	v_cndmask_b32_e32 v6, v6, v3, vcc
	v_cmp_ne_u32_e32 vcc, v8, v6
	s_and_b64 s[2:3], vcc, s[2:3]
	s_and_saveexec_b64 s[26:27], s[2:3]
	s_cbranch_execz .LBB74_55
; %bb.61:                               ;   in Loop: Header=BB74_56 Depth=1
	v_ashrrev_i32_e32 v7, 31, v6
	v_lshl_add_u64 v[4:5], v[6:7], 1, s[18:19]
	global_load_ushort v3, v[4:5], off
	v_lshl_add_u32 v4, s35, 2, v10
	ds_read_b32 v4, v4
	v_cmp_gt_i32_e32 vcc, s29, v8
	v_cmp_le_i32_e64 s[2:3], s21, v8
	s_or_b64 s[2:3], vcc, s[2:3]
	s_waitcnt vmcnt(0)
	v_lshlrev_b32_e32 v3, 16, v3
	s_waitcnt lgkmcnt(0)
	v_mul_f32_e32 v3, v4, v3
	s_and_saveexec_b64 s[36:37], s[2:3]
	s_xor_b64 s[2:3], exec, s[36:37]
	s_cbranch_execz .LBB74_63
; %bb.62:                               ;   in Loop: Header=BB74_56 Depth=1
	v_ashrrev_i32_e32 v9, 31, v8
	v_lshl_add_u64 v[4:5], v[8:9], 2, s[10:11]
	global_atomic_add_f32 v[4:5], v3, off
                                        ; implicit-def: $vgpr8
                                        ; implicit-def: $vgpr3
.LBB74_63:                              ;   in Loop: Header=BB74_56 Depth=1
	s_andn2_saveexec_b64 s[2:3], s[2:3]
	s_cbranch_execz .LBB74_55
; %bb.64:                               ;   in Loop: Header=BB74_56 Depth=1
	v_subrev_u32_e32 v4, s29, v8
	v_lshl_add_u32 v4, v4, 2, v1
	ds_add_f32 v4, v3
	s_branch .LBB74_55
.LBB74_65:
	s_or_b64 exec, exec, s[16:17]
                                        ; implicit-def: $vgpr11
                                        ; implicit-def: $vgpr2
.LBB74_66:
	s_andn2_saveexec_b64 s[8:9], s[8:9]
	s_cbranch_execz .LBB74_108
; %bb.67:
	s_add_i32 s24, s21, -1
	s_add_i32 s0, s21, -2
	s_cmp_lg_u32 s20, s0
	s_cselect_b64 s[2:3], -1, 0
	s_cmp_eq_u32 s20, s0
	v_mov_b32_e32 v1, s20
	v_mov_b32_e32 v6, s24
	s_cbranch_scc1 .LBB74_71
; %bb.68:
	s_mov_b64 s[16:17], 0
	v_mov_b32_e32 v1, s20
	v_mov_b32_e32 v6, s24
.LBB74_69:                              ; =>This Inner Loop Header: Depth=1
	v_add_u32_e32 v4, v6, v1
	v_lshrrev_b32_e32 v5, 31, v4
	v_add_u32_e32 v4, v4, v5
	v_ashrrev_i32_e32 v4, 1, v4
	v_ashrrev_i32_e32 v5, 31, v4
	v_lshl_add_u64 v[8:9], v[4:5], 2, s[12:13]
	global_load_dword v5, v[8:9], off
	s_waitcnt vmcnt(0)
	v_subrev_u32_e32 v5, s22, v5
	v_cmp_lt_i32_e32 vcc, v2, v5
	s_nop 1
	v_cndmask_b32_e32 v6, v6, v4, vcc
	v_cndmask_b32_e32 v1, v4, v1, vcc
	v_add_u32_e32 v4, -1, v6
	v_cmp_ge_i32_e32 vcc, v1, v6
	v_cmp_eq_u32_e64 s[0:1], v1, v4
	s_or_b64 s[0:1], vcc, s[0:1]
	s_and_b64 s[0:1], exec, s[0:1]
	s_or_b64 s[16:17], s[0:1], s[16:17]
	s_andn2_b64 exec, exec, s[16:17]
	s_cbranch_execnz .LBB74_69
; %bb.70:
	s_or_b64 exec, exec, s[16:17]
.LBB74_71:
	v_ashrrev_i32_e32 v7, 31, v6
	v_lshl_add_u64 v[4:5], v[6:7], 2, s[12:13]
	global_load_dword v7, v[4:5], off
	v_lshl_add_u64 v[4:5], v[2:3], 2, s[14:15]
	global_load_dword v3, v[4:5], off
	s_ashr_i32 s1, s21, 31
	s_mov_b32 s0, s21
	s_lshl_b64 s[0:1], s[0:1], 2
	s_add_u32 s14, s12, s0
	s_addc_u32 s15, s13, s1
	s_waitcnt vmcnt(1)
	v_subrev_u32_e32 v7, s22, v7
	v_cmp_lt_i32_e32 vcc, v2, v7
	s_nop 1
	v_cndmask_b32_e32 v8, v6, v1, vcc
	s_waitcnt vmcnt(0)
	v_subrev_u32_e32 v6, s22, v3
	v_cmp_ne_u32_e32 vcc, v6, v8
	s_and_saveexec_b64 s[16:17], vcc
	s_cbranch_execz .LBB74_77
; %bb.72:
	s_load_dword s0, s[14:15], 0x0
	s_waitcnt lgkmcnt(0)
	s_sub_i32 s0, s0, s22
	v_cmp_gt_i32_e32 vcc, s0, v2
	s_and_b64 exec, exec, vcc
	s_cbranch_execz .LBB74_77
; %bb.73:
	v_ashrrev_i32_e32 v9, 31, v8
	v_lshl_add_u64 v[8:9], v[8:9], 1, s[18:19]
	global_load_ushort v1, v[8:9], off
	ds_read_b32 v3, v10
	v_cmp_gt_i32_e32 vcc, s29, v6
	v_cmp_le_i32_e64 s[0:1], s21, v6
	s_or_b64 s[0:1], vcc, s[0:1]
	s_waitcnt vmcnt(0)
	v_lshlrev_b32_e32 v1, 16, v1
	s_waitcnt lgkmcnt(0)
	v_mul_f32_e32 v1, v3, v1
	s_and_saveexec_b64 s[26:27], s[0:1]
	s_xor_b64 s[0:1], exec, s[26:27]
	s_cbranch_execz .LBB74_75
; %bb.74:
	v_ashrrev_i32_e32 v7, 31, v6
	v_lshl_add_u64 v[6:7], v[6:7], 2, s[10:11]
	global_atomic_add_f32 v[6:7], v1, off
                                        ; implicit-def: $vgpr6
                                        ; implicit-def: $vgpr1
.LBB74_75:
	s_andn2_saveexec_b64 s[0:1], s[0:1]
; %bb.76:
	v_subrev_u32_e32 v3, s29, v6
	v_mov_b32_e32 v6, 0x1000
	v_lshl_add_u32 v3, v3, 2, v6
	ds_add_f32 v3, v1
.LBB74_77:
	s_or_b64 exec, exec, s[16:17]
	v_cndmask_b32_e64 v3, 0, 1, s[2:3]
	v_add_u32_e32 v1, 0x100, v2
	v_cmp_ne_u32_e64 s[0:1], 1, v3
	s_andn2_b64 vcc, exec, s[2:3]
	v_mov_b32_e32 v3, s20
	v_mov_b32_e32 v6, s24
	s_cbranch_vccnz .LBB74_81
; %bb.78:
	s_mov_b64 s[16:17], 0
	v_mov_b32_e32 v3, s20
	v_mov_b32_e32 v6, s24
.LBB74_79:                              ; =>This Inner Loop Header: Depth=1
	v_add_u32_e32 v7, v6, v3
	v_lshrrev_b32_e32 v8, 31, v7
	v_add_u32_e32 v7, v7, v8
	v_ashrrev_i32_e32 v8, 1, v7
	v_ashrrev_i32_e32 v9, 31, v8
	v_lshl_add_u64 v[12:13], v[8:9], 2, s[12:13]
	global_load_dword v7, v[12:13], off
	s_waitcnt vmcnt(0)
	v_subrev_u32_e32 v7, s22, v7
	v_cmp_lt_i32_e32 vcc, v1, v7
	s_nop 1
	v_cndmask_b32_e32 v6, v6, v8, vcc
	v_cndmask_b32_e32 v3, v8, v3, vcc
	v_add_u32_e32 v7, -1, v6
	v_cmp_ge_i32_e32 vcc, v3, v6
	v_cmp_eq_u32_e64 s[2:3], v3, v7
	s_or_b64 s[2:3], vcc, s[2:3]
	s_and_b64 s[2:3], exec, s[2:3]
	s_or_b64 s[16:17], s[2:3], s[16:17]
	s_andn2_b64 exec, exec, s[16:17]
	s_cbranch_execnz .LBB74_79
; %bb.80:
	s_or_b64 exec, exec, s[16:17]
.LBB74_81:
	v_ashrrev_i32_e32 v7, 31, v6
	v_lshl_add_u64 v[8:9], v[6:7], 2, s[12:13]
	global_load_dword v7, v[8:9], off
	global_load_dword v12, v[4:5], off offset:1024
	s_waitcnt vmcnt(1)
	v_subrev_u32_e32 v7, s22, v7
	v_cmp_lt_i32_e32 vcc, v1, v7
	s_nop 1
	v_cndmask_b32_e32 v8, v6, v3, vcc
	s_waitcnt vmcnt(0)
	v_subrev_u32_e32 v6, s22, v12
	v_cmp_ne_u32_e32 vcc, v6, v8
	s_and_saveexec_b64 s[16:17], vcc
	s_cbranch_execz .LBB74_87
; %bb.82:
	s_load_dword s2, s[14:15], 0x0
	s_waitcnt lgkmcnt(0)
	s_sub_i32 s2, s2, s22
	v_cmp_gt_i32_e32 vcc, s2, v1
	s_and_b64 exec, exec, vcc
	s_cbranch_execz .LBB74_87
; %bb.83:
	v_ashrrev_i32_e32 v9, 31, v8
	v_lshl_add_u64 v[8:9], v[8:9], 1, s[18:19]
	global_load_ushort v1, v[8:9], off
	ds_read_b32 v3, v10 offset:1024
	v_cmp_gt_i32_e32 vcc, s29, v6
	v_cmp_le_i32_e64 s[2:3], s21, v6
	s_or_b64 s[2:3], vcc, s[2:3]
	s_waitcnt vmcnt(0)
	v_lshlrev_b32_e32 v1, 16, v1
	s_waitcnt lgkmcnt(0)
	v_mul_f32_e32 v1, v3, v1
	s_and_saveexec_b64 s[26:27], s[2:3]
	s_xor_b64 s[2:3], exec, s[26:27]
	s_cbranch_execz .LBB74_85
; %bb.84:
	v_ashrrev_i32_e32 v7, 31, v6
	v_lshl_add_u64 v[6:7], v[6:7], 2, s[10:11]
	global_atomic_add_f32 v[6:7], v1, off
                                        ; implicit-def: $vgpr6
                                        ; implicit-def: $vgpr1
.LBB74_85:
	s_andn2_saveexec_b64 s[2:3], s[2:3]
; %bb.86:
	v_subrev_u32_e32 v3, s29, v6
	v_mov_b32_e32 v6, 0x1000
	v_lshl_add_u32 v3, v3, 2, v6
	ds_add_f32 v3, v1
.LBB74_87:
	s_or_b64 exec, exec, s[16:17]
	v_add_u32_e32 v1, 0x200, v2
	s_and_b64 vcc, exec, s[0:1]
	v_mov_b32_e32 v6, s20
	v_mov_b32_e32 v2, s24
	s_cbranch_vccnz .LBB74_91
; %bb.88:
	s_mov_b64 s[16:17], 0
	v_mov_b32_e32 v6, s20
	v_mov_b32_e32 v2, s24
.LBB74_89:                              ; =>This Inner Loop Header: Depth=1
	v_add_u32_e32 v3, v2, v6
	v_lshrrev_b32_e32 v7, 31, v3
	v_add_u32_e32 v3, v3, v7
	v_ashrrev_i32_e32 v8, 1, v3
	v_ashrrev_i32_e32 v9, 31, v8
	v_lshl_add_u64 v[12:13], v[8:9], 2, s[12:13]
	global_load_dword v3, v[12:13], off
	s_waitcnt vmcnt(0)
	v_subrev_u32_e32 v3, s22, v3
	v_cmp_lt_i32_e32 vcc, v1, v3
	s_nop 1
	v_cndmask_b32_e32 v2, v2, v8, vcc
	v_cndmask_b32_e32 v6, v8, v6, vcc
	v_add_u32_e32 v3, -1, v2
	v_cmp_ge_i32_e32 vcc, v6, v2
	v_cmp_eq_u32_e64 s[2:3], v6, v3
	s_or_b64 s[2:3], vcc, s[2:3]
	s_and_b64 s[2:3], exec, s[2:3]
	s_or_b64 s[16:17], s[2:3], s[16:17]
	s_andn2_b64 exec, exec, s[16:17]
	s_cbranch_execnz .LBB74_89
; %bb.90:
	s_or_b64 exec, exec, s[16:17]
.LBB74_91:
	v_ashrrev_i32_e32 v3, 31, v2
	v_lshl_add_u64 v[8:9], v[2:3], 2, s[12:13]
	global_load_dword v3, v[8:9], off
	global_load_dword v7, v[4:5], off offset:2048
	s_waitcnt vmcnt(1)
	v_subrev_u32_e32 v3, s22, v3
	v_cmp_lt_i32_e32 vcc, v1, v3
	s_nop 1
	v_cndmask_b32_e32 v6, v2, v6, vcc
	s_waitcnt vmcnt(0)
	v_subrev_u32_e32 v2, s22, v7
	v_cmp_ne_u32_e32 vcc, v2, v6
	s_and_saveexec_b64 s[16:17], vcc
	s_cbranch_execz .LBB74_97
; %bb.92:
	s_load_dword s2, s[14:15], 0x0
	s_waitcnt lgkmcnt(0)
	s_sub_i32 s2, s2, s22
	v_cmp_gt_i32_e32 vcc, s2, v1
	s_and_b64 exec, exec, vcc
	s_cbranch_execz .LBB74_97
; %bb.93:
	v_ashrrev_i32_e32 v7, 31, v6
	v_lshl_add_u64 v[6:7], v[6:7], 1, s[18:19]
	global_load_ushort v1, v[6:7], off
	ds_read_b32 v3, v10 offset:2048
	v_cmp_gt_i32_e32 vcc, s29, v2
	v_cmp_le_i32_e64 s[2:3], s21, v2
	s_or_b64 s[2:3], vcc, s[2:3]
	s_waitcnt vmcnt(0)
	v_lshlrev_b32_e32 v1, 16, v1
	s_waitcnt lgkmcnt(0)
	v_mul_f32_e32 v1, v3, v1
	s_and_saveexec_b64 s[26:27], s[2:3]
	s_xor_b64 s[2:3], exec, s[26:27]
	s_cbranch_execz .LBB74_95
; %bb.94:
	v_ashrrev_i32_e32 v3, 31, v2
	v_lshl_add_u64 v[2:3], v[2:3], 2, s[10:11]
	global_atomic_add_f32 v[2:3], v1, off
                                        ; implicit-def: $vgpr2
                                        ; implicit-def: $vgpr1
.LBB74_95:
	s_andn2_saveexec_b64 s[2:3], s[2:3]
; %bb.96:
	v_subrev_u32_e32 v2, s29, v2
	v_mov_b32_e32 v3, 0x1000
	v_lshl_add_u32 v2, v2, 2, v3
	ds_add_f32 v2, v1
.LBB74_97:
	s_or_b64 exec, exec, s[16:17]
	s_and_b64 vcc, exec, s[0:1]
	v_mov_b32_e32 v1, s20
	v_mov_b32_e32 v2, s24
	s_cbranch_vccnz .LBB74_101
; %bb.98:
	s_mov_b64 s[2:3], 0
	v_mov_b32_e32 v1, s20
	v_mov_b32_e32 v2, s24
.LBB74_99:                              ; =>This Inner Loop Header: Depth=1
	v_add_u32_e32 v3, v2, v1
	v_lshrrev_b32_e32 v6, 31, v3
	v_add_u32_e32 v3, v3, v6
	v_ashrrev_i32_e32 v6, 1, v3
	v_ashrrev_i32_e32 v7, 31, v6
	v_lshl_add_u64 v[8:9], v[6:7], 2, s[12:13]
	global_load_dword v3, v[8:9], off
	s_waitcnt vmcnt(0)
	v_subrev_u32_e32 v3, s22, v3
	v_cmp_lt_i32_e32 vcc, v11, v3
	s_nop 1
	v_cndmask_b32_e32 v2, v2, v6, vcc
	v_cndmask_b32_e32 v1, v6, v1, vcc
	v_add_u32_e32 v3, -1, v2
	v_cmp_ge_i32_e32 vcc, v1, v2
	v_cmp_eq_u32_e64 s[0:1], v1, v3
	s_or_b64 s[0:1], vcc, s[0:1]
	s_and_b64 s[0:1], exec, s[0:1]
	s_or_b64 s[2:3], s[0:1], s[2:3]
	s_andn2_b64 exec, exec, s[2:3]
	s_cbranch_execnz .LBB74_99
; %bb.100:
	s_or_b64 exec, exec, s[2:3]
.LBB74_101:
	v_ashrrev_i32_e32 v3, 31, v2
	v_lshl_add_u64 v[6:7], v[2:3], 2, s[12:13]
	global_load_dword v3, v[6:7], off
	global_load_dword v8, v[4:5], off offset:3072
	s_waitcnt vmcnt(1)
	v_subrev_u32_e32 v3, s22, v3
	v_cmp_lt_i32_e32 vcc, v11, v3
	s_nop 1
	v_cndmask_b32_e32 v4, v2, v1, vcc
	s_waitcnt vmcnt(0)
	v_subrev_u32_e32 v2, s22, v8
	v_cmp_ne_u32_e32 vcc, v2, v4
	s_and_saveexec_b64 s[2:3], vcc
	s_cbranch_execz .LBB74_107
; %bb.102:
	s_load_dword s0, s[14:15], 0x0
	s_waitcnt lgkmcnt(0)
	s_sub_i32 s0, s0, s22
	v_cmp_gt_i32_e32 vcc, s0, v11
	s_and_b64 exec, exec, vcc
	s_cbranch_execz .LBB74_107
; %bb.103:
	v_ashrrev_i32_e32 v5, 31, v4
	v_lshl_add_u64 v[4:5], v[4:5], 1, s[18:19]
	global_load_ushort v1, v[4:5], off
	ds_read_b32 v3, v10 offset:3072
	v_cmp_gt_i32_e32 vcc, s29, v2
	v_cmp_le_i32_e64 s[0:1], s21, v2
	s_or_b64 s[0:1], vcc, s[0:1]
	s_waitcnt vmcnt(0)
	v_lshlrev_b32_e32 v1, 16, v1
	s_waitcnt lgkmcnt(0)
	v_mul_f32_e32 v1, v3, v1
	s_and_saveexec_b64 s[14:15], s[0:1]
	s_xor_b64 s[0:1], exec, s[14:15]
	s_cbranch_execz .LBB74_105
; %bb.104:
	v_ashrrev_i32_e32 v3, 31, v2
	v_lshl_add_u64 v[2:3], v[2:3], 2, s[10:11]
	global_atomic_add_f32 v[2:3], v1, off
                                        ; implicit-def: $vgpr2
                                        ; implicit-def: $vgpr1
.LBB74_105:
	s_andn2_saveexec_b64 s[0:1], s[0:1]
; %bb.106:
	v_subrev_u32_e32 v2, s29, v2
	v_mov_b32_e32 v3, 0x1000
	v_lshl_add_u32 v2, v2, 2, v3
	ds_add_f32 v2, v1
.LBB74_107:
	s_or_b64 exec, exec, s[2:3]
.LBB74_108:
	s_or_b64 exec, exec, s[8:9]
	s_min_i32 s7, s21, s7
	s_sub_i32 s14, s7, s23
	v_cmp_gt_i32_e32 vcc, s14, v0
	s_waitcnt lgkmcnt(0)
	s_barrier
	s_and_saveexec_b64 s[0:1], vcc
	s_cbranch_execz .LBB74_111
; %bb.109:
	v_mov_b32_e32 v1, 0x1000
	v_lshl_add_u32 v1, v0, 2, v1
	s_mov_b64 s[2:3], 0
	v_mov_b32_e32 v2, v0
.LBB74_110:                             ; =>This Inner Loop Header: Depth=1
	ds_read_b32 v3, v1
	v_add_u32_e32 v4, s29, v2
	v_ashrrev_i32_e32 v5, 31, v4
	v_lshl_add_u64 v[4:5], v[4:5], 2, s[10:11]
	v_add_u32_e32 v2, 0x100, v2
	s_waitcnt lgkmcnt(0)
	global_atomic_add_f32 v[4:5], v3, off
	v_cmp_le_i32_e32 vcc, s14, v2
	s_or_b64 s[2:3], vcc, s[2:3]
	v_add_u32_e32 v1, 0x400, v1
	s_andn2_b64 exec, exec, s[2:3]
	s_cbranch_execnz .LBB74_110
.LBB74_111:
	s_or_b64 exec, exec, s[0:1]
	s_mul_i32 s0, s6, s23
	s_sub_i32 s0, s28, s0
	s_add_i32 s1, s6, 1
	s_sub_i32 s2, s0, s23
	s_cmp_ge_u32 s0, s23
	s_cselect_b32 s1, s1, s6
	s_cselect_b32 s0, s2, s0
	s_add_i32 s2, s1, 1
	s_cmp_ge_u32 s0, s23
	s_cselect_b32 s0, s2, s1
	s_add_i32 s0, s0, -1
	s_ashr_i32 s1, s0, 1
	s_or_b32 s0, s1, s0
	s_ashr_i32 s1, s0, 2
	s_or_b32 s0, s1, s0
	;; [unrolled: 2-line block ×5, first 2 shown]
	s_add_i32 s0, s0, 1
	s_ashr_i32 s15, s0, 1
	v_add_u32_e32 v2, s20, v0
	s_cmp_gt_i32 s15, 1
	s_mov_b64 s[0:1], -1
	s_barrier
	s_cbranch_scc1 .LBB74_120
; %bb.112:
	v_cmp_gt_i32_e32 vcc, s21, v2
	s_and_saveexec_b64 s[0:1], vcc
	s_cbranch_execz .LBB74_119
; %bb.113:
	s_sub_i32 s2, s7, s21
	s_lshl_b32 s2, s2, 2
	s_add_i32 s16, s2, 0x1000
	s_lshl_b32 s2, s33, 2
	s_sub_i32 s17, 0, s2
	s_mov_b64 s[2:3], 0
	v_mov_b32_e32 v4, v2
	s_branch .LBB74_115
.LBB74_114:                             ;   in Loop: Header=BB74_115 Depth=1
	s_or_b64 exec, exec, s[6:7]
	v_lshl_add_u32 v3, v4, 2, s16
	ds_read_b32 v3, v3
	v_lshl_add_u64 v[6:7], v[4:5], 2, s[10:11]
	v_add_u32_e32 v4, s28, v4
	v_cmp_le_i32_e32 vcc, s21, v4
	s_or_b64 s[2:3], vcc, s[2:3]
	s_waitcnt lgkmcnt(0)
	v_add_f32_e32 v1, v1, v3
	global_atomic_add_f32 v[6:7], v1, off
	s_andn2_b64 exec, exec, s[2:3]
	s_cbranch_execz .LBB74_119
.LBB74_115:                             ; =>This Loop Header: Depth=1
                                        ;     Child Loop BB74_117 Depth 2
	v_ashrrev_i32_e32 v5, 31, v4
	v_lshl_add_u64 v[6:7], v[4:5], 2, s[12:13]
	global_load_dwordx2 v[6:7], v[6:7], off
	v_mov_b32_e32 v1, 0
	s_waitcnt vmcnt(0)
	v_cmp_lt_i32_e32 vcc, v6, v7
	s_and_saveexec_b64 s[6:7], vcc
	s_cbranch_execz .LBB74_114
; %bb.116:                              ;   in Loop: Header=BB74_115 Depth=1
	v_subrev_u32_e32 v3, s33, v7
	v_subrev_u32_e32 v7, s33, v6
	v_lshl_add_u32 v6, v6, 2, s17
	v_mov_b32_e32 v1, 0
	s_mov_b64 s[8:9], 0
.LBB74_117:                             ;   Parent Loop BB74_115 Depth=1
                                        ; =>  This Inner Loop Header: Depth=2
	ds_read_b32 v8, v6
	v_add_u32_e32 v7, 1, v7
	v_cmp_ge_i32_e32 vcc, v7, v3
	v_add_u32_e32 v6, 4, v6
	s_or_b64 s[8:9], vcc, s[8:9]
	s_waitcnt lgkmcnt(0)
	v_add_f32_e32 v1, v1, v8
	s_andn2_b64 exec, exec, s[8:9]
	s_cbranch_execnz .LBB74_117
; %bb.118:                              ;   in Loop: Header=BB74_115 Depth=1
	s_or_b64 exec, exec, s[8:9]
	s_branch .LBB74_114
.LBB74_119:
	s_or_b64 exec, exec, s[0:1]
	s_mov_b64 s[0:1], 0
.LBB74_120:
	s_andn2_b64 vcc, exec, s[0:1]
	s_cbranch_vccnz .LBB74_133
; %bb.121:
	v_cvt_f32_u32_e32 v1, s15
	s_sub_i32 s0, 0, s15
	v_rcp_iflag_f32_e32 v1, v1
	s_nop 0
	v_mul_f32_e32 v1, 0x4f7ffffe, v1
	v_cvt_u32_f32_e32 v1, v1
	v_mul_lo_u32 v3, s0, v1
	v_mul_hi_u32 v3, v1, v3
	v_add_u32_e32 v1, v1, v3
	v_mul_hi_u32 v1, v0, v1
	v_mul_lo_u32 v3, v1, s15
	v_sub_u32_e32 v3, v0, v3
	v_add_u32_e32 v4, 1, v1
	v_cmp_le_u32_e32 vcc, s15, v3
	s_nop 1
	v_cndmask_b32_e32 v1, v1, v4, vcc
	v_subrev_u32_e32 v4, s15, v3
	v_cndmask_b32_e32 v3, v3, v4, vcc
	v_add_u32_e32 v4, 1, v1
	v_cmp_le_u32_e32 vcc, s15, v3
	s_nop 1
	v_cndmask_b32_e32 v1, v1, v4, vcc
	v_lshlrev_b32_e32 v3, 2, v1
	global_load_dwordx2 v[4:5], v3, s[4:5]
	v_cmp_gt_i32_e32 vcc, s23, v1
	v_mov_b32_e32 v3, 0
	s_and_saveexec_b64 s[0:1], vcc
	s_cbranch_execz .LBB74_129
; %bb.122:
	s_abs_i32 s4, s15
	v_cvt_f32_u32_e32 v3, s4
	s_waitcnt vmcnt(0)
	v_subrev_u32_e32 v4, s33, v4
	v_subrev_u32_e32 v1, s33, v5
	v_sub_u32_e32 v5, v1, v4
	v_rcp_iflag_f32_e32 v3, v3
	s_sub_i32 s2, 0, s4
	v_sub_u32_e32 v6, 0, v5
	v_ashrrev_i32_e32 v8, 31, v5
	v_mul_f32_e32 v3, 0x4f7ffffe, v3
	v_cvt_u32_f32_e32 v3, v3
	v_max_i32_e32 v5, v5, v6
	s_ashr_i32 s5, s15, 31
	v_mul_lo_u32 v6, s2, v3
	v_mul_hi_u32 v6, v3, v6
	v_add_u32_e32 v3, v3, v6
	v_mad_u64_u32 v[6:7], s[2:3], v5, v3, 0
	v_mul_lo_u32 v6, v7, s4
	v_sub_u32_e32 v5, v5, v6
	v_add_u32_e32 v6, 1, v7
	v_cmp_le_u32_e32 vcc, s4, v5
	v_xor_b32_e32 v3, s5, v8
	s_add_i32 s2, s15, -1
	v_cndmask_b32_e32 v6, v7, v6, vcc
	v_subrev_u32_e32 v7, s4, v5
	v_cndmask_b32_e32 v5, v5, v7, vcc
	v_add_u32_e32 v7, 1, v6
	v_cmp_le_u32_e32 vcc, s4, v5
	s_nop 1
	v_cndmask_b32_e32 v5, v6, v7, vcc
	v_xor_b32_e32 v5, v5, v3
	v_sub_u32_e32 v5, v5, v3
	v_and_b32_e32 v7, s2, v0
	v_cmp_lt_i32_e32 vcc, 0, v5
	v_mov_b32_e32 v3, 0
	v_lshlrev_b32_e32 v6, 2, v7
	s_and_saveexec_b64 s[2:3], vcc
	s_cbranch_execz .LBB74_126
; %bb.123:
	v_lshl_add_u32 v8, v4, 2, v6
	s_lshl_b32 s6, s15, 2
	v_mov_b32_e32 v3, 0
	s_mov_b64 s[4:5], 0
	v_mov_b32_e32 v9, v5
.LBB74_124:                             ; =>This Inner Loop Header: Depth=1
	ds_read_b32 v11, v8
	v_add_u32_e32 v9, -1, v9
	v_cmp_eq_u32_e32 vcc, 0, v9
	v_add_u32_e32 v8, s6, v8
	s_or_b64 s[4:5], vcc, s[4:5]
	s_waitcnt lgkmcnt(0)
	v_add_f32_e32 v3, v3, v11
	s_andn2_b64 exec, exec, s[4:5]
	s_cbranch_execnz .LBB74_124
; %bb.125:
	s_or_b64 exec, exec, s[4:5]
.LBB74_126:
	s_or_b64 exec, exec, s[2:3]
	v_mad_u64_u32 v[4:5], s[2:3], v5, s15, v[4:5]
	v_sub_u32_e32 v1, v1, v4
	v_cmp_lt_i32_e32 vcc, v7, v1
	s_and_saveexec_b64 s[2:3], vcc
	s_cbranch_execz .LBB74_128
; %bb.127:
	v_lshl_add_u32 v1, v4, 2, v6
	ds_read_b32 v1, v1
	s_waitcnt lgkmcnt(0)
	v_add_f32_e32 v3, v3, v1
.LBB74_128:
	s_or_b64 exec, exec, s[2:3]
.LBB74_129:
	s_or_b64 exec, exec, s[0:1]
	v_cmp_gt_i32_e32 vcc, s23, v0
	s_barrier
	ds_write_b32 v10, v3
	s_waitcnt lgkmcnt(0)
	s_barrier
	s_and_saveexec_b64 s[0:1], vcc
	s_cbranch_execz .LBB74_133
; %bb.130:
	v_mul_lo_u32 v1, s15, v0
	v_lshlrev_b32_e32 v3, 2, v1
	v_mov_b32_e32 v1, 0
.LBB74_131:                             ; =>This Inner Loop Header: Depth=1
	s_waitcnt vmcnt(0)
	ds_read_b32 v4, v3
	s_add_i32 s15, s15, -1
	v_add_u32_e32 v3, 4, v3
	s_cmp_eq_u32 s15, 0
	s_waitcnt lgkmcnt(0)
	v_add_f32_e32 v1, v1, v4
	s_cbranch_scc0 .LBB74_131
; %bb.132:
	s_lshl_b32 s0, s14, 2
	s_addk_i32 s0, 0x1000
	v_lshl_add_u32 v0, v0, 2, s0
	ds_read_b32 v0, v0
	v_ashrrev_i32_e32 v3, 31, v2
	s_waitcnt lgkmcnt(0)
	v_add_f32_e32 v4, v1, v0
	v_lshl_add_u64 v[0:1], v[2:3], 2, s[10:11]
	global_atomic_add_f32 v[0:1], v4, off
.LBB74_133:
	s_endpgm
	.section	.rodata,"a",@progbits
	.p2align	6, 0x0
	.amdhsa_kernel _ZN9rocsparseL27csrmvn_symm_adaptive_kernelIii18rocsparse_bfloat16S1_ffEEvbT_S2_PKS2_NS_24const_host_device_scalarIT4_EES4_PKT0_PKT1_PKT2_S7_PT3_21rocsparse_index_base_b
		.amdhsa_group_segment_fixed_size 4096
		.amdhsa_private_segment_fixed_size 0
		.amdhsa_kernarg_size 344
		.amdhsa_user_sgpr_count 2
		.amdhsa_user_sgpr_dispatch_ptr 0
		.amdhsa_user_sgpr_queue_ptr 0
		.amdhsa_user_sgpr_kernarg_segment_ptr 1
		.amdhsa_user_sgpr_dispatch_id 0
		.amdhsa_user_sgpr_kernarg_preload_length 0
		.amdhsa_user_sgpr_kernarg_preload_offset 0
		.amdhsa_user_sgpr_private_segment_size 0
		.amdhsa_uses_dynamic_stack 0
		.amdhsa_enable_private_segment 0
		.amdhsa_system_sgpr_workgroup_id_x 1
		.amdhsa_system_sgpr_workgroup_id_y 0
		.amdhsa_system_sgpr_workgroup_id_z 0
		.amdhsa_system_sgpr_workgroup_info 0
		.amdhsa_system_vgpr_workitem_id 0
		.amdhsa_next_free_vgpr 15
		.amdhsa_next_free_sgpr 41
		.amdhsa_accum_offset 16
		.amdhsa_reserve_vcc 1
		.amdhsa_float_round_mode_32 0
		.amdhsa_float_round_mode_16_64 0
		.amdhsa_float_denorm_mode_32 3
		.amdhsa_float_denorm_mode_16_64 3
		.amdhsa_dx10_clamp 1
		.amdhsa_ieee_mode 1
		.amdhsa_fp16_overflow 0
		.amdhsa_tg_split 0
		.amdhsa_exception_fp_ieee_invalid_op 0
		.amdhsa_exception_fp_denorm_src 0
		.amdhsa_exception_fp_ieee_div_zero 0
		.amdhsa_exception_fp_ieee_overflow 0
		.amdhsa_exception_fp_ieee_underflow 0
		.amdhsa_exception_fp_ieee_inexact 0
		.amdhsa_exception_int_div_zero 0
	.end_amdhsa_kernel
	.section	.text._ZN9rocsparseL27csrmvn_symm_adaptive_kernelIii18rocsparse_bfloat16S1_ffEEvbT_S2_PKS2_NS_24const_host_device_scalarIT4_EES4_PKT0_PKT1_PKT2_S7_PT3_21rocsparse_index_base_b,"axG",@progbits,_ZN9rocsparseL27csrmvn_symm_adaptive_kernelIii18rocsparse_bfloat16S1_ffEEvbT_S2_PKS2_NS_24const_host_device_scalarIT4_EES4_PKT0_PKT1_PKT2_S7_PT3_21rocsparse_index_base_b,comdat
.Lfunc_end74:
	.size	_ZN9rocsparseL27csrmvn_symm_adaptive_kernelIii18rocsparse_bfloat16S1_ffEEvbT_S2_PKS2_NS_24const_host_device_scalarIT4_EES4_PKT0_PKT1_PKT2_S7_PT3_21rocsparse_index_base_b, .Lfunc_end74-_ZN9rocsparseL27csrmvn_symm_adaptive_kernelIii18rocsparse_bfloat16S1_ffEEvbT_S2_PKS2_NS_24const_host_device_scalarIT4_EES4_PKT0_PKT1_PKT2_S7_PT3_21rocsparse_index_base_b
                                        ; -- End function
	.set _ZN9rocsparseL27csrmvn_symm_adaptive_kernelIii18rocsparse_bfloat16S1_ffEEvbT_S2_PKS2_NS_24const_host_device_scalarIT4_EES4_PKT0_PKT1_PKT2_S7_PT3_21rocsparse_index_base_b.num_vgpr, 15
	.set _ZN9rocsparseL27csrmvn_symm_adaptive_kernelIii18rocsparse_bfloat16S1_ffEEvbT_S2_PKS2_NS_24const_host_device_scalarIT4_EES4_PKT0_PKT1_PKT2_S7_PT3_21rocsparse_index_base_b.num_agpr, 0
	.set _ZN9rocsparseL27csrmvn_symm_adaptive_kernelIii18rocsparse_bfloat16S1_ffEEvbT_S2_PKS2_NS_24const_host_device_scalarIT4_EES4_PKT0_PKT1_PKT2_S7_PT3_21rocsparse_index_base_b.numbered_sgpr, 41
	.set _ZN9rocsparseL27csrmvn_symm_adaptive_kernelIii18rocsparse_bfloat16S1_ffEEvbT_S2_PKS2_NS_24const_host_device_scalarIT4_EES4_PKT0_PKT1_PKT2_S7_PT3_21rocsparse_index_base_b.num_named_barrier, 0
	.set _ZN9rocsparseL27csrmvn_symm_adaptive_kernelIii18rocsparse_bfloat16S1_ffEEvbT_S2_PKS2_NS_24const_host_device_scalarIT4_EES4_PKT0_PKT1_PKT2_S7_PT3_21rocsparse_index_base_b.private_seg_size, 0
	.set _ZN9rocsparseL27csrmvn_symm_adaptive_kernelIii18rocsparse_bfloat16S1_ffEEvbT_S2_PKS2_NS_24const_host_device_scalarIT4_EES4_PKT0_PKT1_PKT2_S7_PT3_21rocsparse_index_base_b.uses_vcc, 1
	.set _ZN9rocsparseL27csrmvn_symm_adaptive_kernelIii18rocsparse_bfloat16S1_ffEEvbT_S2_PKS2_NS_24const_host_device_scalarIT4_EES4_PKT0_PKT1_PKT2_S7_PT3_21rocsparse_index_base_b.uses_flat_scratch, 0
	.set _ZN9rocsparseL27csrmvn_symm_adaptive_kernelIii18rocsparse_bfloat16S1_ffEEvbT_S2_PKS2_NS_24const_host_device_scalarIT4_EES4_PKT0_PKT1_PKT2_S7_PT3_21rocsparse_index_base_b.has_dyn_sized_stack, 0
	.set _ZN9rocsparseL27csrmvn_symm_adaptive_kernelIii18rocsparse_bfloat16S1_ffEEvbT_S2_PKS2_NS_24const_host_device_scalarIT4_EES4_PKT0_PKT1_PKT2_S7_PT3_21rocsparse_index_base_b.has_recursion, 0
	.set _ZN9rocsparseL27csrmvn_symm_adaptive_kernelIii18rocsparse_bfloat16S1_ffEEvbT_S2_PKS2_NS_24const_host_device_scalarIT4_EES4_PKT0_PKT1_PKT2_S7_PT3_21rocsparse_index_base_b.has_indirect_call, 0
	.section	.AMDGPU.csdata,"",@progbits
; Kernel info:
; codeLenInByte = 5248
; TotalNumSgprs: 47
; NumVgprs: 15
; NumAgprs: 0
; TotalNumVgprs: 15
; ScratchSize: 0
; MemoryBound: 0
; FloatMode: 240
; IeeeMode: 1
; LDSByteSize: 4096 bytes/workgroup (compile time only)
; SGPRBlocks: 5
; VGPRBlocks: 1
; NumSGPRsForWavesPerEU: 47
; NumVGPRsForWavesPerEU: 15
; AccumOffset: 16
; Occupancy: 8
; WaveLimiterHint : 1
; COMPUTE_PGM_RSRC2:SCRATCH_EN: 0
; COMPUTE_PGM_RSRC2:USER_SGPR: 2
; COMPUTE_PGM_RSRC2:TRAP_HANDLER: 0
; COMPUTE_PGM_RSRC2:TGID_X_EN: 1
; COMPUTE_PGM_RSRC2:TGID_Y_EN: 0
; COMPUTE_PGM_RSRC2:TGID_Z_EN: 0
; COMPUTE_PGM_RSRC2:TIDIG_COMP_CNT: 0
; COMPUTE_PGM_RSRC3_GFX90A:ACCUM_OFFSET: 3
; COMPUTE_PGM_RSRC3_GFX90A:TG_SPLIT: 0
	.section	.text._ZL33csrmvn_symm_large_adaptive_kernelIii18rocsparse_bfloat16S0_ffEvbT_PKS1_N9rocsparse24const_host_device_scalarIT4_EES3_PKT0_PKT1_PKT2_S7_PT3_21rocsparse_index_base_b,"axG",@progbits,_ZL33csrmvn_symm_large_adaptive_kernelIii18rocsparse_bfloat16S0_ffEvbT_PKS1_N9rocsparse24const_host_device_scalarIT4_EES3_PKT0_PKT1_PKT2_S7_PT3_21rocsparse_index_base_b,comdat
	.globl	_ZL33csrmvn_symm_large_adaptive_kernelIii18rocsparse_bfloat16S0_ffEvbT_PKS1_N9rocsparse24const_host_device_scalarIT4_EES3_PKT0_PKT1_PKT2_S7_PT3_21rocsparse_index_base_b ; -- Begin function _ZL33csrmvn_symm_large_adaptive_kernelIii18rocsparse_bfloat16S0_ffEvbT_PKS1_N9rocsparse24const_host_device_scalarIT4_EES3_PKT0_PKT1_PKT2_S7_PT3_21rocsparse_index_base_b
	.p2align	8
	.type	_ZL33csrmvn_symm_large_adaptive_kernelIii18rocsparse_bfloat16S0_ffEvbT_PKS1_N9rocsparse24const_host_device_scalarIT4_EES3_PKT0_PKT1_PKT2_S7_PT3_21rocsparse_index_base_b,@function
_ZL33csrmvn_symm_large_adaptive_kernelIii18rocsparse_bfloat16S0_ffEvbT_PKS1_N9rocsparse24const_host_device_scalarIT4_EES3_PKT0_PKT1_PKT2_S7_PT3_21rocsparse_index_base_b: ; @_ZL33csrmvn_symm_large_adaptive_kernelIii18rocsparse_bfloat16S0_ffEvbT_PKS1_N9rocsparse24const_host_device_scalarIT4_EES3_PKT0_PKT1_PKT2_S7_PT3_21rocsparse_index_base_b
; %bb.0:
	s_load_dwordx2 s[16:17], s[0:1], 0x48
	s_load_dwordx2 s[18:19], s[0:1], 0x10
	;; [unrolled: 1-line block ×3, first 2 shown]
	s_waitcnt lgkmcnt(0)
	s_bitcmp1_b32 s17, 0
	s_cselect_b64 s[8:9], -1, 0
	s_xor_b64 s[6:7], s[8:9], -1
	s_and_b64 vcc, exec, s[8:9]
	s_cbranch_vccnz .LBB75_2
; %bb.1:
	s_load_dword s18, s[18:19], 0x0
.LBB75_2:
	s_andn2_b64 vcc, exec, s[6:7]
	s_cbranch_vccnz .LBB75_4
; %bb.3:
	s_load_dword s4, s[4:5], 0x0
.LBB75_4:
	s_waitcnt lgkmcnt(0)
	v_cmp_neq_f32_e64 s[6:7], s18, 0
	v_cmp_neq_f32_e64 s[4:5], s4, 1.0
	s_or_b64 s[4:5], s[6:7], s[4:5]
	s_andn2_b64 vcc, exec, s[4:5]
	s_cbranch_vccnz .LBB75_32
; %bb.5:
	s_load_dwordx2 s[4:5], s[0:1], 0x8
	s_ashr_i32 s3, s2, 31
	s_lshl_b64 s[2:3], s[2:3], 2
	v_lshlrev_b32_e32 v7, 2, v0
	v_mov_b32_e32 v8, 0
	s_waitcnt lgkmcnt(0)
	s_add_u32 s2, s4, s2
	s_addc_u32 s3, s5, s3
	ds_write2st64_b32 v7, v8, v8 offset1:4
	ds_write2st64_b32 v7, v8, v8 offset0:8 offset1:12
	s_waitcnt lgkmcnt(0)
	s_barrier
	s_load_dwordx2 s[20:21], s[2:3], 0x0
	s_load_dwordx8 s[8:15], s[0:1], 0x18
	s_load_dwordx2 s[22:23], s[0:1], 0x40
	v_subrev_u32_e32 v6, s16, v0
	s_waitcnt lgkmcnt(0)
	s_cmp_ge_i32 s20, s21
	s_cbranch_scc1 .LBB75_23
; %bb.6:
	v_cmp_gt_u32_e32 vcc, 64, v0
	v_cmp_gt_u32_e64 s[0:1], 16, v0
	v_cmp_gt_u32_e64 s[2:3], 4, v0
	v_cmp_eq_u32_e64 s[4:5], 0, v0
	s_mov_b64 s[24:25], 0x400
	s_mov_b64 s[26:27], 0x200
	s_mov_b32 s28, s20
	s_branch .LBB75_8
.LBB75_7:                               ;   in Loop: Header=BB75_8 Depth=1
	s_or_b64 exec, exec, s[34:35]
	s_add_i32 s28, s28, 1
	s_cmp_ge_i32 s28, s21
	s_cbranch_scc1 .LBB75_23
.LBB75_8:                               ; =>This Loop Header: Depth=1
                                        ;     Child Loop BB75_10 Depth 2
	s_ashr_i32 s29, s28, 31
	s_lshl_b64 s[30:31], s[28:29], 2
	s_add_u32 s6, s8, s30
	s_addc_u32 s7, s9, s31
	s_load_dwordx2 s[34:35], s[6:7], 0x0
	v_mov_b32_e32 v1, 0
	s_waitcnt lgkmcnt(0)
	v_add_u32_e32 v0, s34, v6
	s_sub_i32 s17, s35, s16
	v_cmp_gt_i32_e64 s[6:7], s17, v0
	s_and_saveexec_b64 s[34:35], s[6:7]
	s_cbranch_execz .LBB75_12
; %bb.9:                                ;   in Loop: Header=BB75_8 Depth=1
	v_ashrrev_i32_e32 v1, 31, v0
	v_lshl_add_u64 v[2:3], v[0:1], 2, s[10:11]
	v_lshl_add_u64 v[4:5], v[0:1], 1, s[12:13]
	v_mov_b32_e32 v1, 0
	s_mov_b64 s[36:37], 0
.LBB75_10:                              ;   Parent Loop BB75_8 Depth=1
                                        ; =>  This Inner Loop Header: Depth=2
	global_load_dword v9, v[2:3], off
	global_load_ushort v12, v[4:5], off
	v_add_u32_e32 v0, 0x100, v0
	v_cmp_le_i32_e64 s[6:7], s17, v0
	v_lshl_add_u64 v[2:3], v[2:3], 0, s[24:25]
	v_lshl_add_u64 v[4:5], v[4:5], 0, s[26:27]
	s_or_b64 s[36:37], s[6:7], s[36:37]
	s_waitcnt vmcnt(1)
	v_subrev_u32_e32 v10, s16, v9
	v_ashrrev_i32_e32 v11, 31, v10
	v_lshl_add_u64 v[10:11], v[10:11], 1, s[14:15]
	global_load_ushort v9, v[10:11], off
	s_waitcnt vmcnt(1)
	v_lshlrev_b32_e32 v10, 16, v12
	s_waitcnt vmcnt(0)
	v_lshlrev_b32_e32 v9, 16, v9
	v_fmac_f32_e32 v1, v10, v9
	s_andn2_b64 exec, exec, s[36:37]
	s_cbranch_execnz .LBB75_10
; %bb.11:                               ;   in Loop: Header=BB75_8 Depth=1
	s_or_b64 exec, exec, s[36:37]
.LBB75_12:                              ;   in Loop: Header=BB75_8 Depth=1
	s_or_b64 exec, exec, s[34:35]
	ds_write_b32 v7, v1
	s_waitcnt lgkmcnt(0)
	s_barrier
	ds_read2st64_b32 v[0:1], v7 offset1:4
	ds_read2st64_b32 v[2:3], v7 offset0:8 offset1:12
	s_waitcnt lgkmcnt(0)
	v_add_f32_e32 v1, v1, v2
	v_add_f32_e32 v1, v1, v3
	;; [unrolled: 1-line block ×3, first 2 shown]
	ds_write_b32 v7, v0
	s_waitcnt lgkmcnt(0)
	s_barrier
	s_and_saveexec_b64 s[6:7], vcc
	s_cbranch_execz .LBB75_14
; %bb.13:                               ;   in Loop: Header=BB75_8 Depth=1
	ds_read2st64_b32 v[0:1], v7 offset1:1
	ds_read2st64_b32 v[2:3], v7 offset0:2 offset1:3
	s_waitcnt lgkmcnt(0)
	v_add_f32_e32 v1, v1, v2
	v_add_f32_e32 v1, v1, v3
	;; [unrolled: 1-line block ×3, first 2 shown]
	ds_write_b32 v7, v0
.LBB75_14:                              ;   in Loop: Header=BB75_8 Depth=1
	s_or_b64 exec, exec, s[6:7]
	s_waitcnt lgkmcnt(0)
	s_barrier
	s_and_saveexec_b64 s[6:7], s[0:1]
	s_cbranch_execz .LBB75_16
; %bb.15:                               ;   in Loop: Header=BB75_8 Depth=1
	ds_read2_b32 v[0:1], v7 offset1:16
	ds_read2_b32 v[2:3], v7 offset0:32 offset1:48
	s_waitcnt lgkmcnt(0)
	v_add_f32_e32 v1, v1, v2
	v_add_f32_e32 v1, v1, v3
	;; [unrolled: 1-line block ×3, first 2 shown]
	ds_write_b32 v7, v0
.LBB75_16:                              ;   in Loop: Header=BB75_8 Depth=1
	s_or_b64 exec, exec, s[6:7]
	s_waitcnt lgkmcnt(0)
	s_barrier
	s_and_saveexec_b64 s[6:7], s[2:3]
	s_cbranch_execz .LBB75_18
; %bb.17:                               ;   in Loop: Header=BB75_8 Depth=1
	ds_read2_b32 v[0:1], v7 offset1:4
	ds_read2_b32 v[2:3], v7 offset0:8 offset1:12
	s_waitcnt lgkmcnt(0)
	v_add_f32_e32 v1, v1, v2
	v_add_f32_e32 v1, v1, v3
	;; [unrolled: 1-line block ×3, first 2 shown]
	ds_write_b32 v7, v0
.LBB75_18:                              ;   in Loop: Header=BB75_8 Depth=1
	s_or_b64 exec, exec, s[6:7]
	s_waitcnt lgkmcnt(0)
	s_barrier
	s_and_saveexec_b64 s[6:7], s[4:5]
	s_cbranch_execz .LBB75_20
; %bb.19:                               ;   in Loop: Header=BB75_8 Depth=1
	ds_read2_b32 v[0:1], v8 offset0:1 offset1:2
	ds_read_b32 v2, v8 offset:12
	ds_read_b32 v3, v7
	s_waitcnt lgkmcnt(2)
	v_add_f32_e32 v0, v0, v1
	s_waitcnt lgkmcnt(1)
	v_add_f32_e32 v0, v0, v2
	;; [unrolled: 2-line block ×3, first 2 shown]
	ds_write_b32 v7, v0
.LBB75_20:                              ;   in Loop: Header=BB75_8 Depth=1
	s_or_b64 exec, exec, s[6:7]
	s_waitcnt lgkmcnt(0)
	s_barrier
	s_and_saveexec_b64 s[34:35], s[4:5]
	s_cbranch_execz .LBB75_7
; %bb.21:                               ;   in Loop: Header=BB75_8 Depth=1
	s_mov_b64 s[36:37], exec
	v_mbcnt_lo_u32_b32 v0, s36, 0
	v_mbcnt_hi_u32_b32 v0, s37, v0
	v_cmp_eq_u32_e64 s[6:7], 0, v0
	s_and_b64 s[6:7], exec, s[6:7]
	s_mov_b64 exec, s[6:7]
	s_cbranch_execz .LBB75_7
; %bb.22:                               ;   in Loop: Header=BB75_8 Depth=1
	ds_read_b32 v0, v8
	s_add_u32 s6, s22, s30
	s_addc_u32 s7, s23, s31
	s_bcnt1_i32_b64 s17, s[36:37]
	v_cvt_f32_ubyte0_e32 v1, s17
	s_waitcnt lgkmcnt(0)
	v_mul_f32_e32 v0, s18, v0
	v_mul_f32_e32 v0, v0, v1
	global_atomic_add_f32 v8, v0, s[6:7]
	s_branch .LBB75_7
.LBB75_23:
	s_ashr_i32 s1, s20, 31
	s_mov_b32 s0, s20
	s_lshl_b64 s[0:1], s[0:1], 2
	s_add_u32 s0, s8, s0
	s_addc_u32 s1, s9, s1
	s_ashr_i32 s3, s21, 31
	s_mov_b32 s2, s21
	s_lshl_b64 s[2:3], s[2:3], 2
	s_add_u32 s2, s8, s2
	s_addc_u32 s3, s9, s3
	s_load_dword s4, s[2:3], 0x0
	s_load_dword s5, s[0:1], 0x0
	s_waitcnt lgkmcnt(0)
	s_sub_i32 s17, s4, s16
	v_add_u32_e32 v0, s5, v6
	v_cmp_gt_i32_e32 vcc, s17, v0
	s_and_saveexec_b64 s[0:1], vcc
	s_cbranch_execz .LBB75_32
; %bb.24:
	s_add_i32 s19, s21, -1
	s_cmp_lt_i32 s20, s19
	s_cselect_b64 s[0:1], -1, 0
	s_add_i32 s2, s21, -2
	s_cmp_lg_u32 s20, s2
	s_cselect_b64 s[2:3], -1, 0
	s_and_b64 s[0:1], s[0:1], s[2:3]
	v_cndmask_b32_e64 v1, 0, 1, s[0:1]
	s_mov_b64 s[4:5], 0
	v_cmp_ne_u32_e64 s[0:1], 1, v1
	s_branch .LBB75_26
.LBB75_25:                              ;   in Loop: Header=BB75_26 Depth=1
	s_or_b64 exec, exec, s[2:3]
	v_add_u32_e32 v0, 0x100, v0
	v_cmp_le_i32_e32 vcc, s17, v0
	s_or_b64 s[4:5], vcc, s[4:5]
	s_andn2_b64 exec, exec, s[4:5]
	s_cbranch_execz .LBB75_32
.LBB75_26:                              ; =>This Loop Header: Depth=1
                                        ;     Child Loop BB75_28 Depth 2
	s_and_b64 vcc, exec, s[0:1]
	v_mov_b32_e32 v4, s20
	v_mov_b32_e32 v2, s19
	s_cbranch_vccnz .LBB75_30
; %bb.27:                               ;   in Loop: Header=BB75_26 Depth=1
	s_mov_b64 s[6:7], 0
	v_mov_b32_e32 v4, s20
	v_mov_b32_e32 v2, s19
.LBB75_28:                              ;   Parent Loop BB75_26 Depth=1
                                        ; =>  This Inner Loop Header: Depth=2
	v_add_u32_e32 v1, v2, v4
	v_lshrrev_b32_e32 v3, 31, v1
	v_add_u32_e32 v1, v1, v3
	v_ashrrev_i32_e32 v6, 1, v1
	v_ashrrev_i32_e32 v7, 31, v6
	v_lshl_add_u64 v[8:9], v[6:7], 2, s[8:9]
	global_load_dword v1, v[8:9], off
	s_waitcnt vmcnt(0)
	v_subrev_u32_e32 v1, s16, v1
	v_cmp_lt_i32_e32 vcc, v0, v1
	s_nop 1
	v_cndmask_b32_e32 v2, v2, v6, vcc
	v_cndmask_b32_e32 v4, v6, v4, vcc
	v_add_u32_e32 v1, -1, v2
	v_cmp_ge_i32_e32 vcc, v4, v2
	v_cmp_eq_u32_e64 s[2:3], v4, v1
	s_or_b64 s[2:3], vcc, s[2:3]
	s_and_b64 s[2:3], exec, s[2:3]
	s_or_b64 s[6:7], s[2:3], s[6:7]
	s_andn2_b64 exec, exec, s[6:7]
	s_cbranch_execnz .LBB75_28
; %bb.29:                               ;   in Loop: Header=BB75_26 Depth=1
	s_or_b64 exec, exec, s[6:7]
.LBB75_30:                              ;   in Loop: Header=BB75_26 Depth=1
	v_ashrrev_i32_e32 v3, 31, v2
	v_lshl_add_u64 v[6:7], v[2:3], 2, s[8:9]
	global_load_dword v3, v[6:7], off
	v_ashrrev_i32_e32 v1, 31, v0
	v_lshl_add_u64 v[6:7], v[0:1], 2, s[10:11]
	global_load_dword v5, v[6:7], off
	s_waitcnt vmcnt(1)
	v_subrev_u32_e32 v3, s16, v3
	v_cmp_lt_i32_e32 vcc, v0, v3
	s_nop 1
	v_cndmask_b32_e32 v4, v2, v4, vcc
	s_waitcnt vmcnt(0)
	v_subrev_u32_e32 v2, s16, v5
	v_cmp_ne_u32_e32 vcc, v2, v4
	s_and_saveexec_b64 s[2:3], vcc
	s_cbranch_execz .LBB75_25
; %bb.31:                               ;   in Loop: Header=BB75_26 Depth=1
	v_lshl_add_u64 v[6:7], v[0:1], 1, s[12:13]
	v_ashrrev_i32_e32 v5, 31, v4
	global_load_ushort v1, v[6:7], off
	v_lshl_add_u64 v[4:5], v[4:5], 1, s[14:15]
	global_load_ushort v4, v[4:5], off
	v_ashrrev_i32_e32 v3, 31, v2
	v_lshl_add_u64 v[2:3], v[2:3], 2, s[22:23]
	s_waitcnt vmcnt(1)
	v_lshlrev_b32_e32 v1, 16, v1
	v_mul_f32_e32 v1, s18, v1
	s_waitcnt vmcnt(0)
	v_lshlrev_b32_e32 v4, 16, v4
	v_mul_f32_e32 v1, v1, v4
	global_atomic_add_f32 v[2:3], v1, off
	s_branch .LBB75_25
.LBB75_32:
	s_endpgm
	.section	.rodata,"a",@progbits
	.p2align	6, 0x0
	.amdhsa_kernel _ZL33csrmvn_symm_large_adaptive_kernelIii18rocsparse_bfloat16S0_ffEvbT_PKS1_N9rocsparse24const_host_device_scalarIT4_EES3_PKT0_PKT1_PKT2_S7_PT3_21rocsparse_index_base_b
		.amdhsa_group_segment_fixed_size 4096
		.amdhsa_private_segment_fixed_size 0
		.amdhsa_kernarg_size 80
		.amdhsa_user_sgpr_count 2
		.amdhsa_user_sgpr_dispatch_ptr 0
		.amdhsa_user_sgpr_queue_ptr 0
		.amdhsa_user_sgpr_kernarg_segment_ptr 1
		.amdhsa_user_sgpr_dispatch_id 0
		.amdhsa_user_sgpr_kernarg_preload_length 0
		.amdhsa_user_sgpr_kernarg_preload_offset 0
		.amdhsa_user_sgpr_private_segment_size 0
		.amdhsa_uses_dynamic_stack 0
		.amdhsa_enable_private_segment 0
		.amdhsa_system_sgpr_workgroup_id_x 1
		.amdhsa_system_sgpr_workgroup_id_y 0
		.amdhsa_system_sgpr_workgroup_id_z 0
		.amdhsa_system_sgpr_workgroup_info 0
		.amdhsa_system_vgpr_workitem_id 0
		.amdhsa_next_free_vgpr 13
		.amdhsa_next_free_sgpr 38
		.amdhsa_accum_offset 16
		.amdhsa_reserve_vcc 1
		.amdhsa_float_round_mode_32 0
		.amdhsa_float_round_mode_16_64 0
		.amdhsa_float_denorm_mode_32 3
		.amdhsa_float_denorm_mode_16_64 3
		.amdhsa_dx10_clamp 1
		.amdhsa_ieee_mode 1
		.amdhsa_fp16_overflow 0
		.amdhsa_tg_split 0
		.amdhsa_exception_fp_ieee_invalid_op 0
		.amdhsa_exception_fp_denorm_src 0
		.amdhsa_exception_fp_ieee_div_zero 0
		.amdhsa_exception_fp_ieee_overflow 0
		.amdhsa_exception_fp_ieee_underflow 0
		.amdhsa_exception_fp_ieee_inexact 0
		.amdhsa_exception_int_div_zero 0
	.end_amdhsa_kernel
	.section	.text._ZL33csrmvn_symm_large_adaptive_kernelIii18rocsparse_bfloat16S0_ffEvbT_PKS1_N9rocsparse24const_host_device_scalarIT4_EES3_PKT0_PKT1_PKT2_S7_PT3_21rocsparse_index_base_b,"axG",@progbits,_ZL33csrmvn_symm_large_adaptive_kernelIii18rocsparse_bfloat16S0_ffEvbT_PKS1_N9rocsparse24const_host_device_scalarIT4_EES3_PKT0_PKT1_PKT2_S7_PT3_21rocsparse_index_base_b,comdat
.Lfunc_end75:
	.size	_ZL33csrmvn_symm_large_adaptive_kernelIii18rocsparse_bfloat16S0_ffEvbT_PKS1_N9rocsparse24const_host_device_scalarIT4_EES3_PKT0_PKT1_PKT2_S7_PT3_21rocsparse_index_base_b, .Lfunc_end75-_ZL33csrmvn_symm_large_adaptive_kernelIii18rocsparse_bfloat16S0_ffEvbT_PKS1_N9rocsparse24const_host_device_scalarIT4_EES3_PKT0_PKT1_PKT2_S7_PT3_21rocsparse_index_base_b
                                        ; -- End function
	.set _ZL33csrmvn_symm_large_adaptive_kernelIii18rocsparse_bfloat16S0_ffEvbT_PKS1_N9rocsparse24const_host_device_scalarIT4_EES3_PKT0_PKT1_PKT2_S7_PT3_21rocsparse_index_base_b.num_vgpr, 13
	.set _ZL33csrmvn_symm_large_adaptive_kernelIii18rocsparse_bfloat16S0_ffEvbT_PKS1_N9rocsparse24const_host_device_scalarIT4_EES3_PKT0_PKT1_PKT2_S7_PT3_21rocsparse_index_base_b.num_agpr, 0
	.set _ZL33csrmvn_symm_large_adaptive_kernelIii18rocsparse_bfloat16S0_ffEvbT_PKS1_N9rocsparse24const_host_device_scalarIT4_EES3_PKT0_PKT1_PKT2_S7_PT3_21rocsparse_index_base_b.numbered_sgpr, 38
	.set _ZL33csrmvn_symm_large_adaptive_kernelIii18rocsparse_bfloat16S0_ffEvbT_PKS1_N9rocsparse24const_host_device_scalarIT4_EES3_PKT0_PKT1_PKT2_S7_PT3_21rocsparse_index_base_b.num_named_barrier, 0
	.set _ZL33csrmvn_symm_large_adaptive_kernelIii18rocsparse_bfloat16S0_ffEvbT_PKS1_N9rocsparse24const_host_device_scalarIT4_EES3_PKT0_PKT1_PKT2_S7_PT3_21rocsparse_index_base_b.private_seg_size, 0
	.set _ZL33csrmvn_symm_large_adaptive_kernelIii18rocsparse_bfloat16S0_ffEvbT_PKS1_N9rocsparse24const_host_device_scalarIT4_EES3_PKT0_PKT1_PKT2_S7_PT3_21rocsparse_index_base_b.uses_vcc, 1
	.set _ZL33csrmvn_symm_large_adaptive_kernelIii18rocsparse_bfloat16S0_ffEvbT_PKS1_N9rocsparse24const_host_device_scalarIT4_EES3_PKT0_PKT1_PKT2_S7_PT3_21rocsparse_index_base_b.uses_flat_scratch, 0
	.set _ZL33csrmvn_symm_large_adaptive_kernelIii18rocsparse_bfloat16S0_ffEvbT_PKS1_N9rocsparse24const_host_device_scalarIT4_EES3_PKT0_PKT1_PKT2_S7_PT3_21rocsparse_index_base_b.has_dyn_sized_stack, 0
	.set _ZL33csrmvn_symm_large_adaptive_kernelIii18rocsparse_bfloat16S0_ffEvbT_PKS1_N9rocsparse24const_host_device_scalarIT4_EES3_PKT0_PKT1_PKT2_S7_PT3_21rocsparse_index_base_b.has_recursion, 0
	.set _ZL33csrmvn_symm_large_adaptive_kernelIii18rocsparse_bfloat16S0_ffEvbT_PKS1_N9rocsparse24const_host_device_scalarIT4_EES3_PKT0_PKT1_PKT2_S7_PT3_21rocsparse_index_base_b.has_indirect_call, 0
	.section	.AMDGPU.csdata,"",@progbits
; Kernel info:
; codeLenInByte = 1344
; TotalNumSgprs: 44
; NumVgprs: 13
; NumAgprs: 0
; TotalNumVgprs: 13
; ScratchSize: 0
; MemoryBound: 0
; FloatMode: 240
; IeeeMode: 1
; LDSByteSize: 4096 bytes/workgroup (compile time only)
; SGPRBlocks: 5
; VGPRBlocks: 1
; NumSGPRsForWavesPerEU: 44
; NumVGPRsForWavesPerEU: 13
; AccumOffset: 16
; Occupancy: 8
; WaveLimiterHint : 1
; COMPUTE_PGM_RSRC2:SCRATCH_EN: 0
; COMPUTE_PGM_RSRC2:USER_SGPR: 2
; COMPUTE_PGM_RSRC2:TRAP_HANDLER: 0
; COMPUTE_PGM_RSRC2:TGID_X_EN: 1
; COMPUTE_PGM_RSRC2:TGID_Y_EN: 0
; COMPUTE_PGM_RSRC2:TGID_Z_EN: 0
; COMPUTE_PGM_RSRC2:TIDIG_COMP_CNT: 0
; COMPUTE_PGM_RSRC3_GFX90A:ACCUM_OFFSET: 3
; COMPUTE_PGM_RSRC3_GFX90A:TG_SPLIT: 0
	.section	.text._ZN9rocsparseL22csrmvn_adaptive_kernelIli18rocsparse_bfloat16S1_ffEEvbT_PKS2_PjPKT0_NS_24const_host_device_scalarIT4_EES4_S8_PKT1_PKT2_SB_PT3_21rocsparse_index_base_b,"axG",@progbits,_ZN9rocsparseL22csrmvn_adaptive_kernelIli18rocsparse_bfloat16S1_ffEEvbT_PKS2_PjPKT0_NS_24const_host_device_scalarIT4_EES4_S8_PKT1_PKT2_SB_PT3_21rocsparse_index_base_b,comdat
	.globl	_ZN9rocsparseL22csrmvn_adaptive_kernelIli18rocsparse_bfloat16S1_ffEEvbT_PKS2_PjPKT0_NS_24const_host_device_scalarIT4_EES4_S8_PKT1_PKT2_SB_PT3_21rocsparse_index_base_b ; -- Begin function _ZN9rocsparseL22csrmvn_adaptive_kernelIli18rocsparse_bfloat16S1_ffEEvbT_PKS2_PjPKT0_NS_24const_host_device_scalarIT4_EES4_S8_PKT1_PKT2_SB_PT3_21rocsparse_index_base_b
	.p2align	8
	.type	_ZN9rocsparseL22csrmvn_adaptive_kernelIli18rocsparse_bfloat16S1_ffEEvbT_PKS2_PjPKT0_NS_24const_host_device_scalarIT4_EES4_S8_PKT1_PKT2_SB_PT3_21rocsparse_index_base_b,@function
_ZN9rocsparseL22csrmvn_adaptive_kernelIli18rocsparse_bfloat16S1_ffEEvbT_PKS2_PjPKT0_NS_24const_host_device_scalarIT4_EES4_S8_PKT1_PKT2_SB_PT3_21rocsparse_index_base_b: ; @_ZN9rocsparseL22csrmvn_adaptive_kernelIli18rocsparse_bfloat16S1_ffEEvbT_PKS2_PjPKT0_NS_24const_host_device_scalarIT4_EES4_S8_PKT1_PKT2_SB_PT3_21rocsparse_index_base_b
; %bb.0:
	s_load_dwordx2 s[46:47], s[0:1], 0x60
	s_load_dwordx2 s[44:45], s[0:1], 0x28
	;; [unrolled: 1-line block ×3, first 2 shown]
	s_waitcnt lgkmcnt(0)
	s_bitcmp1_b32 s47, 0
	s_cselect_b64 s[6:7], -1, 0
	s_xor_b64 s[4:5], s[6:7], -1
	s_and_b64 vcc, exec, s[6:7]
	s_cbranch_vccnz .LBB76_2
; %bb.1:
	s_load_dword s44, s[44:45], 0x0
.LBB76_2:
	s_andn2_b64 vcc, exec, s[4:5]
	s_cbranch_vccnz .LBB76_4
; %bb.3:
	s_load_dword s22, s[22:23], 0x0
.LBB76_4:
	s_waitcnt lgkmcnt(0)
	v_cmp_neq_f32_e64 s[4:5], s44, 0
	v_cmp_neq_f32_e64 s[6:7], s22, 1.0
	s_or_b64 s[4:5], s[4:5], s[6:7]
	s_andn2_b64 vcc, exec, s[4:5]
	s_cbranch_vccnz .LBB76_120
; %bb.5:
	s_load_dwordx2 s[4:5], s[0:1], 0x10
	s_load_dwordx2 s[6:7], s[0:1], 0x20
	s_ashr_i32 s3, s2, 31
	s_lshl_b64 s[8:9], s[2:3], 3
	s_waitcnt lgkmcnt(0)
	s_add_u32 s4, s4, s8
	s_addc_u32 s5, s5, s9
	s_load_dwordx4 s[36:39], s[4:5], 0x0
	s_load_dwordx2 s[34:35], s[0:1], 0x58
	s_load_dwordx8 s[24:31], s[0:1], 0x30
	s_lshl_b64 s[48:49], s[2:3], 2
	s_waitcnt lgkmcnt(0)
	s_sub_i32 s3, s38, s36
	s_add_u32 s4, s6, s48
	s_addc_u32 s5, s7, s49
	s_lshl_b64 s[6:7], s[36:37], 3
	s_add_u32 s40, s24, s6
	s_addc_u32 s41, s25, s7
	s_load_dword s23, s[4:5], 0x0
	s_load_dwordx2 s[42:43], s[40:41], 0x0
	s_cmp_lt_i32 s3, 2
	s_mov_b64 s[4:5], -1
	s_cbranch_scc0 .LBB76_71
; %bb.6:
	s_cmp_lg_u32 s3, 1
	s_cselect_b64 s[4:5], -1, 0
	s_waitcnt lgkmcnt(0)
	s_cmp_lg_u32 s23, 0
	s_cselect_b64 s[6:7], -1, 0
	s_or_b64 s[6:7], s[4:5], s[6:7]
	s_mov_b64 s[4:5], -1
	s_and_b64 vcc, exec, s[6:7]
	s_cbranch_vccnz .LBB76_35
; %bb.7:
	v_mov_b64_e32 v[2:3], s[36:37]
	v_cmp_le_i64_e32 vcc, s[38:39], v[2:3]
	s_cbranch_vccnz .LBB76_34
; %bb.8:
	v_subrev_co_u32_e32 v2, vcc, s46, v0
	v_cmp_neq_f32_e64 s[20:21], s22, 0
	s_nop 0
	v_subb_co_u32_e64 v3, s[4:5], 0, 0, vcc
	s_movk_i32 s3, 0x80
	v_cndmask_b32_e64 v4, 0, 1, s[20:21]
	v_mov_b32_e32 v1, 0
	v_lshlrev_b32_e32 v12, 2, v0
	v_cmp_gt_u32_e64 s[4:5], s3, v0
	v_cmp_gt_u32_e64 s[6:7], 64, v0
	;; [unrolled: 1-line block ×7, first 2 shown]
	v_cmp_eq_u32_e64 s[18:19], 0, v0
	s_mov_b64 s[50:51], 0x100
	s_mov_b64 s[52:53], 0x200
	;; [unrolled: 1-line block ×3, first 2 shown]
	v_cmp_ne_u32_e64 s[20:21], 1, v4
	v_mov_b64_e32 v[4:5], s[38:39]
	s_mov_b64 s[56:57], s[36:37]
	s_branch .LBB76_11
.LBB76_9:                               ;   in Loop: Header=BB76_11 Depth=1
	s_lshl_b64 s[60:61], s[56:57], 2
	s_add_u32 s60, s34, s60
	s_addc_u32 s61, s35, s61
	s_waitcnt lgkmcnt(0)
	global_store_dword v1, v6, s[60:61]
.LBB76_10:                              ;   in Loop: Header=BB76_11 Depth=1
	s_or_b64 exec, exec, s[58:59]
	s_add_u32 s56, s56, 1
	s_addc_u32 s57, s57, 0
	v_cmp_ge_i64_e32 vcc, s[56:57], v[4:5]
	s_cbranch_vccnz .LBB76_34
.LBB76_11:                              ; =>This Loop Header: Depth=1
                                        ;     Child Loop BB76_13 Depth 2
	s_lshl_b64 s[58:59], s[56:57], 3
	s_add_u32 s58, s24, s58
	s_addc_u32 s59, s25, s59
	s_load_dwordx4 s[60:63], s[58:59], 0x0
	v_mov_b32_e32 v13, 0
	s_waitcnt lgkmcnt(0)
	s_sub_u32 s58, s62, s46
	v_lshl_add_u64 v[6:7], s[60:61], 0, v[2:3]
	s_subb_u32 s59, s63, 0
	v_cmp_gt_i64_e32 vcc, s[58:59], v[6:7]
	s_and_saveexec_b64 s[60:61], vcc
	s_cbranch_execz .LBB76_15
; %bb.12:                               ;   in Loop: Header=BB76_11 Depth=1
	v_lshl_add_u64 v[8:9], v[6:7], 1, s[28:29]
	v_lshl_add_u64 v[10:11], v[6:7], 2, s[26:27]
	v_mov_b32_e32 v13, 0
	s_mov_b64 s[62:63], 0
.LBB76_13:                              ;   Parent Loop BB76_11 Depth=1
                                        ; =>  This Inner Loop Header: Depth=2
	global_load_dword v14, v[10:11], off
	global_load_ushort v16, v[8:9], off
	v_lshl_add_u64 v[6:7], v[6:7], 0, s[50:51]
	v_cmp_le_i64_e32 vcc, s[58:59], v[6:7]
	v_lshl_add_u64 v[8:9], v[8:9], 0, s[52:53]
	v_lshl_add_u64 v[10:11], v[10:11], 0, s[54:55]
	s_or_b64 s[62:63], vcc, s[62:63]
	s_waitcnt vmcnt(1)
	v_subrev_u32_e32 v14, s46, v14
	v_ashrrev_i32_e32 v15, 31, v14
	v_lshl_add_u64 v[14:15], v[14:15], 1, s[30:31]
	global_load_ushort v14, v[14:15], off
	s_waitcnt vmcnt(1)
	v_lshlrev_b32_e32 v15, 16, v16
	v_mul_f32_e32 v15, s44, v15
	s_waitcnt vmcnt(0)
	v_lshlrev_b32_e32 v14, 16, v14
	v_fmac_f32_e32 v13, v15, v14
	s_andn2_b64 exec, exec, s[62:63]
	s_cbranch_execnz .LBB76_13
; %bb.14:                               ;   in Loop: Header=BB76_11 Depth=1
	s_or_b64 exec, exec, s[62:63]
.LBB76_15:                              ;   in Loop: Header=BB76_11 Depth=1
	s_or_b64 exec, exec, s[60:61]
	ds_write_b32 v12, v13
	s_waitcnt lgkmcnt(0)
	s_barrier
	s_and_saveexec_b64 s[58:59], s[4:5]
	s_cbranch_execz .LBB76_17
; %bb.16:                               ;   in Loop: Header=BB76_11 Depth=1
	ds_read2st64_b32 v[6:7], v12 offset1:2
	s_waitcnt lgkmcnt(0)
	v_add_f32_e32 v6, v6, v7
	ds_write_b32 v12, v6
.LBB76_17:                              ;   in Loop: Header=BB76_11 Depth=1
	s_or_b64 exec, exec, s[58:59]
	s_waitcnt lgkmcnt(0)
	s_barrier
	s_and_saveexec_b64 s[58:59], s[6:7]
	s_cbranch_execz .LBB76_19
; %bb.18:                               ;   in Loop: Header=BB76_11 Depth=1
	ds_read2st64_b32 v[6:7], v12 offset1:1
	s_waitcnt lgkmcnt(0)
	v_add_f32_e32 v6, v6, v7
	ds_write_b32 v12, v6
.LBB76_19:                              ;   in Loop: Header=BB76_11 Depth=1
	s_or_b64 exec, exec, s[58:59]
	s_waitcnt lgkmcnt(0)
	s_barrier
	s_and_saveexec_b64 s[58:59], s[8:9]
	s_cbranch_execz .LBB76_21
; %bb.20:                               ;   in Loop: Header=BB76_11 Depth=1
	ds_read2_b32 v[6:7], v12 offset1:32
	s_waitcnt lgkmcnt(0)
	v_add_f32_e32 v6, v6, v7
	ds_write_b32 v12, v6
.LBB76_21:                              ;   in Loop: Header=BB76_11 Depth=1
	s_or_b64 exec, exec, s[58:59]
	s_waitcnt lgkmcnt(0)
	s_barrier
	s_and_saveexec_b64 s[58:59], s[10:11]
	s_cbranch_execz .LBB76_23
; %bb.22:                               ;   in Loop: Header=BB76_11 Depth=1
	ds_read2_b32 v[6:7], v12 offset1:16
	s_waitcnt lgkmcnt(0)
	v_add_f32_e32 v6, v6, v7
	ds_write_b32 v12, v6
.LBB76_23:                              ;   in Loop: Header=BB76_11 Depth=1
	;; [unrolled: 11-line block ×5, first 2 shown]
	s_or_b64 exec, exec, s[58:59]
	s_waitcnt lgkmcnt(0)
	s_barrier
	s_and_saveexec_b64 s[58:59], s[18:19]
	s_cbranch_execz .LBB76_31
; %bb.30:                               ;   in Loop: Header=BB76_11 Depth=1
	ds_read_b64 v[6:7], v1
	s_waitcnt lgkmcnt(0)
	v_add_f32_e32 v6, v6, v7
	ds_write_b32 v1, v6
.LBB76_31:                              ;   in Loop: Header=BB76_11 Depth=1
	s_or_b64 exec, exec, s[58:59]
	s_waitcnt lgkmcnt(0)
	s_barrier
	s_and_saveexec_b64 s[58:59], s[18:19]
	s_cbranch_execz .LBB76_10
; %bb.32:                               ;   in Loop: Header=BB76_11 Depth=1
	ds_read_b32 v6, v1
	s_and_b64 vcc, exec, s[20:21]
	s_cbranch_vccnz .LBB76_9
; %bb.33:                               ;   in Loop: Header=BB76_11 Depth=1
	s_lshl_b64 s[60:61], s[56:57], 2
	s_add_u32 s60, s34, s60
	s_addc_u32 s61, s35, s61
	global_load_dword v7, v1, s[60:61]
	s_waitcnt vmcnt(0) lgkmcnt(0)
	v_fmac_f32_e32 v6, s22, v7
	s_branch .LBB76_9
.LBB76_34:
	s_mov_b64 s[4:5], 0
.LBB76_35:
	s_andn2_b64 vcc, exec, s[4:5]
	s_cbranch_vccnz .LBB76_70
; %bb.36:
	s_load_dwordx2 s[4:5], s[0:1], 0x18
	s_sub_i32 s6, s2, s23
	v_mov_b32_e32 v1, 0
	v_or_b32_e32 v2, s23, v0
	v_cmp_eq_u32_e32 vcc, 0, v2
	s_waitcnt lgkmcnt(0)
	s_add_u32 s2, s4, s48
	s_addc_u32 s3, s5, s49
	global_load_dword v8, v1, s[2:3]
	v_mov_b32_e32 v9, 0
	s_and_saveexec_b64 s[8:9], vcc
	s_cbranch_execz .LBB76_40
; %bb.37:
	s_lshl_b64 s[12:13], s[36:37], 2
	s_add_u32 s12, s34, s12
	s_addc_u32 s13, s35, s13
	v_mov_b32_e32 v4, 0
	global_load_dword v2, v4, s[12:13]
	s_mov_b64 s[10:11], exec
	v_mbcnt_lo_u32_b32 v5, s10, 0
	v_mbcnt_hi_u32_b32 v5, s11, v5
	v_add_f32_e64 v3, s22, -1.0
	v_cmp_eq_u32_e32 vcc, 0, v5
	s_waitcnt vmcnt(0) expcnt(0) lgkmcnt(0)
	s_and_saveexec_b64 s[12:13], vcc
	s_cbranch_execz .LBB76_39
; %bb.38:
	s_ashr_i32 s7, s6, 31
	s_lshl_b64 s[14:15], s[6:7], 2
	s_add_u32 s14, s4, s14
	s_addc_u32 s15, s5, s15
	s_bcnt1_i32_b64 s7, s[10:11]
	s_and_b32 s7, s7, 1
	v_mov_b32_e32 v5, s7
	global_atomic_xor v4, v5, s[14:15]
.LBB76_39:
	s_or_b64 exec, exec, s[12:13]
	v_mul_f32_e32 v9, v3, v2
.LBB76_40:
	s_or_b64 exec, exec, s[8:9]
	s_load_dwordx2 s[8:9], s[40:41], 0x8
	s_sub_u32 s11, s42, s46
	s_mul_i32 s10, s23, 0xc00
	s_subb_u32 s13, s43, 0
	s_mul_hi_i32 s7, s23, 0xc00
	s_add_u32 s12, s11, s10
	s_addc_u32 s13, s13, s7
	s_waitcnt lgkmcnt(0)
	s_sub_u32 s10, s8, s46
	s_subb_u32 s11, s9, 0
	v_lshl_add_u64 v[2:3], s[12:13], 0, v[0:1]
	v_cmp_gt_i64_e32 vcc, s[10:11], v[2:3]
	s_and_saveexec_b64 s[8:9], vcc
	s_cbranch_execz .LBB76_44
; %bb.41:
	s_add_u32 s12, s12, 0xc00
	s_addc_u32 s13, s13, 0
	v_mov_b64_e32 v[4:5], s[10:11]
	v_cmp_lt_i64_e32 vcc, s[12:13], v[4:5]
	s_and_b64 s[14:15], vcc, exec
	s_cselect_b32 s11, s13, s11
	s_cselect_b32 s10, s12, s10
	v_lshl_add_u64 v[4:5], v[2:3], 1, s[28:29]
	v_lshl_add_u64 v[6:7], v[2:3], 2, s[26:27]
	s_mov_b64 s[12:13], 0
	s_mov_b64 s[14:15], 0x100
	;; [unrolled: 1-line block ×4, first 2 shown]
.LBB76_42:                              ; =>This Inner Loop Header: Depth=1
	global_load_dword v1, v[6:7], off
	global_load_ushort v12, v[4:5], off
	v_lshl_add_u64 v[2:3], v[2:3], 0, s[14:15]
	v_cmp_le_i64_e32 vcc, s[10:11], v[2:3]
	v_lshl_add_u64 v[4:5], v[4:5], 0, s[16:17]
	v_lshl_add_u64 v[6:7], v[6:7], 0, s[18:19]
	s_or_b64 s[12:13], vcc, s[12:13]
	s_waitcnt vmcnt(1)
	v_subrev_u32_e32 v10, s46, v1
	v_ashrrev_i32_e32 v11, 31, v10
	v_lshl_add_u64 v[10:11], v[10:11], 1, s[30:31]
	global_load_ushort v1, v[10:11], off
	s_waitcnt vmcnt(1)
	v_lshlrev_b32_e32 v10, 16, v12
	v_mul_f32_e32 v10, s44, v10
	s_waitcnt vmcnt(0)
	v_lshlrev_b32_e32 v1, 16, v1
	v_fmac_f32_e32 v9, v10, v1
	s_andn2_b64 exec, exec, s[12:13]
	s_cbranch_execnz .LBB76_42
; %bb.43:
	s_or_b64 exec, exec, s[12:13]
.LBB76_44:
	s_or_b64 exec, exec, s[8:9]
	s_movk_i32 s7, 0x80
	v_lshlrev_b32_e32 v1, 2, v0
	v_cmp_gt_u32_e32 vcc, s7, v0
	ds_write_b32 v1, v9
	s_waitcnt lgkmcnt(0)
	s_barrier
	s_and_saveexec_b64 s[8:9], vcc
	s_cbranch_execz .LBB76_46
; %bb.45:
	ds_read2st64_b32 v[2:3], v1 offset1:2
	s_waitcnt lgkmcnt(0)
	v_add_f32_e32 v2, v2, v3
	ds_write_b32 v1, v2
.LBB76_46:
	s_or_b64 exec, exec, s[8:9]
	v_cmp_gt_u32_e32 vcc, 64, v0
	s_waitcnt lgkmcnt(0)
	s_barrier
	s_and_saveexec_b64 s[8:9], vcc
	s_cbranch_execz .LBB76_48
; %bb.47:
	ds_read2st64_b32 v[2:3], v1 offset1:1
	s_waitcnt lgkmcnt(0)
	v_add_f32_e32 v2, v2, v3
	ds_write_b32 v1, v2
.LBB76_48:
	s_or_b64 exec, exec, s[8:9]
	v_cmp_gt_u32_e32 vcc, 32, v0
	s_waitcnt lgkmcnt(0)
	s_barrier
	s_and_saveexec_b64 s[8:9], vcc
	s_cbranch_execz .LBB76_50
; %bb.49:
	ds_read2_b32 v[2:3], v1 offset1:32
	s_waitcnt lgkmcnt(0)
	v_add_f32_e32 v2, v2, v3
	ds_write_b32 v1, v2
.LBB76_50:
	s_or_b64 exec, exec, s[8:9]
	v_cmp_gt_u32_e32 vcc, 16, v0
	s_waitcnt lgkmcnt(0)
	s_barrier
	s_and_saveexec_b64 s[8:9], vcc
	s_cbranch_execz .LBB76_52
; %bb.51:
	ds_read2_b32 v[2:3], v1 offset1:16
	s_waitcnt lgkmcnt(0)
	v_add_f32_e32 v2, v2, v3
	ds_write_b32 v1, v2
.LBB76_52:
	;; [unrolled: 12-line block ×5, first 2 shown]
	s_or_b64 exec, exec, s[8:9]
	v_cmp_eq_u32_e32 vcc, 0, v0
	s_waitcnt lgkmcnt(0)
	s_barrier
	s_and_saveexec_b64 s[8:9], vcc
	s_cbranch_execz .LBB76_60
; %bb.59:
	v_mov_b32_e32 v1, 0
	ds_read_b64 v[2:3], v1
	s_waitcnt lgkmcnt(0)
	v_add_f32_e32 v2, v2, v3
	ds_write_b32 v1, v2
.LBB76_60:
	s_or_b64 exec, exec, s[8:9]
	s_waitcnt lgkmcnt(0)
	s_barrier
	s_and_saveexec_b64 s[8:9], vcc
	s_cbranch_execz .LBB76_69
; %bb.61:
	s_cmp_eq_u32 s23, 0
	s_cbranch_scc1 .LBB76_67
; %bb.62:
	s_ashr_i32 s7, s6, 31
	s_lshl_b64 s[6:7], s[6:7], 2
	s_add_u32 s4, s4, s6
	s_addc_u32 s5, s5, s7
	v_mov_b32_e32 v1, 0
	s_branch .LBB76_64
.LBB76_63:                              ;   in Loop: Header=BB76_64 Depth=1
	s_or_b64 exec, exec, s[6:7]
	s_waitcnt vmcnt(0)
	v_readfirstlane_b32 s6, v2
	s_nop 1
	v_cmp_eq_u32_e32 vcc, s6, v8
	s_cbranch_vccz .LBB76_66
.LBB76_64:                              ; =>This Inner Loop Header: Depth=1
	v_mbcnt_lo_u32_b32 v2, exec_lo, 0
	v_mbcnt_hi_u32_b32 v2, exec_hi, v2
	v_cmp_eq_u32_e32 vcc, 0, v2
                                        ; implicit-def: $vgpr2
	s_and_saveexec_b64 s[6:7], vcc
	s_cbranch_execz .LBB76_63
; %bb.65:                               ;   in Loop: Header=BB76_64 Depth=1
	global_load_dword v2, v1, s[4:5] sc1
	s_branch .LBB76_63
.LBB76_66:
	v_mov_b32_e32 v1, 0
	global_load_ushort v2, v1, s[2:3]
	s_waitcnt vmcnt(0)
	v_xor_b32_e32 v2, 1, v2
	global_store_short v1, v2, s[2:3]
.LBB76_67:
	s_mov_b64 s[2:3], exec
	v_mbcnt_lo_u32_b32 v1, s2, 0
	v_mbcnt_hi_u32_b32 v1, s3, v1
	v_cmp_eq_u32_e32 vcc, 0, v1
	s_and_b64 s[4:5], exec, vcc
	s_mov_b64 exec, s[4:5]
	s_cbranch_execz .LBB76_69
; %bb.68:
	v_mov_b32_e32 v1, 0
	ds_read_b32 v2, v1
	s_lshl_b64 s[4:5], s[36:37], 2
	s_add_u32 s4, s34, s4
	s_addc_u32 s5, s35, s5
	s_bcnt1_i32_b64 s2, s[2:3]
	v_cvt_f32_ubyte0_e32 v3, s2
	s_waitcnt lgkmcnt(0)
	v_mul_f32_e32 v2, v2, v3
	global_atomic_add_f32 v1, v2, s[4:5]
.LBB76_69:
	s_or_b64 exec, exec, s[8:9]
.LBB76_70:
	s_mov_b64 s[4:5], 0
.LBB76_71:
	s_andn2_b64 vcc, exec, s[4:5]
	s_cbranch_vccnz .LBB76_120
; %bb.72:
	s_load_dwordx2 s[0:1], s[0:1], 0x8
	v_subrev_co_u32_e32 v2, vcc, s46, v0
	v_mov_b32_e32 v1, 0
	s_nop 0
	v_subb_co_u32_e64 v3, s[2:3], 0, 0, vcc
	s_waitcnt lgkmcnt(0)
	v_lshl_add_u64 v[2:3], s[42:43], 0, v[2:3]
	s_mov_b64 s[2:3], 0x300
	v_lshl_add_u64 v[4:5], v[2:3], 0, s[2:3]
	v_cmp_le_i64_e32 vcc, s[0:1], v[4:5]
	s_and_saveexec_b64 s[0:1], vcc
	s_xor_b64 s[0:1], exec, s[0:1]
	s_cbranch_execz .LBB76_82
; %bb.73:
	s_lshl_b64 s[2:3], s[38:39], 3
	s_add_u32 s2, s24, s2
	s_addc_u32 s3, s25, s3
	s_load_dwordx2 s[2:3], s[2:3], 0x0
	s_waitcnt lgkmcnt(0)
	s_sub_u32 s2, s2, s46
	s_subb_u32 s3, s3, 0
	v_cmp_gt_i64_e32 vcc, s[2:3], v[2:3]
	s_and_saveexec_b64 s[4:5], vcc
	s_cbranch_execz .LBB76_81
; %bb.74:
	v_lshl_add_u64 v[4:5], s[42:43], 0, v[0:1]
	v_subrev_co_u32_e32 v4, vcc, s46, v4
	s_mov_b64 s[6:7], 0x100
	s_nop 0
	v_subbrev_co_u32_e32 v5, vcc, 0, v5, vcc
	v_lshl_add_u64 v[4:5], v[4:5], 0, s[6:7]
	v_mov_b32_e32 v6, s3
	v_cmp_lt_i64_e32 vcc, s[2:3], v[4:5]
	s_not_b64 s[8:9], s[42:43]
	s_add_u32 s8, s8, s46
	v_cndmask_b32_e32 v5, v6, v5, vcc
	v_mov_b32_e32 v6, s2
	v_cndmask_b32_e32 v4, v6, v4, vcc
	s_addc_u32 s9, s9, 0
	v_lshl_add_u64 v[4:5], s[8:9], 0, v[4:5]
	v_sub_co_u32_e32 v4, vcc, v4, v0
	s_mov_b64 s[8:9], 0xff
	s_nop 0
	v_subbrev_co_u32_e32 v5, vcc, 0, v5, vcc
	v_cmp_lt_u64_e32 vcc, s[8:9], v[4:5]
	s_mov_b64 s[10:11], -1
	s_waitcnt vmcnt(0)
	v_mov_b64_e32 v[8:9], 0
	s_and_saveexec_b64 s[8:9], vcc
	s_cbranch_execz .LBB76_78
; %bb.75:
	v_lshrrev_b64 v[4:5], 8, v[4:5]
	v_lshl_add_u64 v[4:5], v[4:5], 0, 1
	v_and_b32_e32 v6, -2, v4
	v_mov_b32_e32 v7, v5
	v_lshlrev_b32_e32 v12, 2, v0
	v_mov_b32_e32 v8, v2
	v_mov_b32_e32 v9, v3
	s_mov_b32 s45, s44
	s_mov_b32 s14, s46
	s_mov_b64 s[10:11], 0
	v_mov_b64_e32 v[10:11], v[6:7]
	s_mov_b64 s[12:13], 0
.LBB76_76:                              ; =>This Inner Loop Header: Depth=1
	v_lshl_add_u64 v[16:17], s[12:13], 0, v[2:3]
	v_lshl_add_u64 v[14:15], s[6:7], 0, v[8:9]
	v_lshl_add_u64 v[18:19], v[16:17], 2, s[26:27]
	v_lshl_add_u64 v[20:21], v[14:15], 2, s[26:27]
	global_load_dword v13, v[18:19], off
	global_load_dword v22, v[20:21], off
	v_lshl_add_u64 v[16:17], v[16:17], 1, s[28:29]
	v_lshl_add_u64 v[14:15], v[14:15], 1, s[28:29]
	global_load_ushort v18, v[16:17], off
	global_load_ushort v19, v[14:15], off
	v_lshl_add_u32 v21, s12, 2, v12
	s_add_u32 s12, s12, 0x200
	s_addc_u32 s13, s13, 0
	v_lshl_add_u64 v[10:11], v[10:11], 0, -2
	v_cmp_eq_u64_e32 vcc, 0, v[10:11]
	s_waitcnt vmcnt(3)
	v_subrev_u32_e32 v14, s46, v13
	s_waitcnt vmcnt(2)
	v_subrev_u32_e32 v16, s14, v22
	v_ashrrev_i32_e32 v17, 31, v16
	v_ashrrev_i32_e32 v15, 31, v14
	v_lshl_add_u64 v[16:17], v[16:17], 1, s[30:31]
	v_lshl_add_u64 v[14:15], v[14:15], 1, s[30:31]
	global_load_ushort v13, v[16:17], off
	global_load_ushort v20, v[14:15], off
	v_lshl_add_u32 v22, s6, 2, v12
	s_add_u32 s6, s6, 0x200
	s_waitcnt vmcnt(2)
	v_lshlrev_b32_e32 v15, 16, v19
	v_lshlrev_b32_e32 v14, 16, v18
	s_addc_u32 s7, s7, 0
	v_pk_mul_f32 v[14:15], s[44:45], v[14:15]
	s_or_b64 s[10:11], vcc, s[10:11]
	s_waitcnt vmcnt(1)
	v_lshlrev_b32_e32 v17, 16, v13
	s_waitcnt vmcnt(0)
	v_lshlrev_b32_e32 v16, 16, v20
	v_pk_mul_f32 v[14:15], v[14:15], v[16:17]
	ds_write_b32 v21, v14
	ds_write_b32 v22, v15
	s_andn2_b64 exec, exec, s[10:11]
	s_cbranch_execnz .LBB76_76
; %bb.77:
	s_or_b64 exec, exec, s[10:11]
	v_cmp_ne_u64_e32 vcc, v[4:5], v[6:7]
	v_lshlrev_b64 v[8:9], 8, v[6:7]
	s_orn2_b64 s[10:11], vcc, exec
.LBB76_78:
	s_or_b64 exec, exec, s[8:9]
	s_and_b64 exec, exec, s[10:11]
	s_cbranch_execz .LBB76_81
; %bb.79:
	v_lshl_add_u64 v[2:3], v[8:9], 0, s[42:43]
	v_lshl_add_u64 v[2:3], v[2:3], 0, v[0:1]
	v_subrev_co_u32_e32 v2, vcc, s46, v2
	v_lshlrev_b32_e32 v4, 2, v8
	s_nop 0
	v_subbrev_co_u32_e32 v3, vcc, 0, v3, vcc
	v_lshl_add_u32 v8, v0, 2, v4
	v_lshl_add_u64 v[4:5], v[2:3], 1, s[28:29]
	v_lshl_add_u64 v[6:7], v[2:3], 2, s[26:27]
	s_mov_b64 s[6:7], 0
	s_mov_b64 s[8:9], 0x100
	;; [unrolled: 1-line block ×4, first 2 shown]
.LBB76_80:                              ; =>This Inner Loop Header: Depth=1
	global_load_dword v9, v[6:7], off
	global_load_ushort v12, v[4:5], off
	v_lshl_add_u64 v[2:3], v[2:3], 0, s[8:9]
	v_cmp_le_i64_e32 vcc, s[2:3], v[2:3]
	v_lshl_add_u64 v[4:5], v[4:5], 0, s[10:11]
	v_lshl_add_u64 v[6:7], v[6:7], 0, s[12:13]
	s_or_b64 s[6:7], vcc, s[6:7]
	s_waitcnt vmcnt(1)
	v_subrev_u32_e32 v10, s46, v9
	v_ashrrev_i32_e32 v11, 31, v10
	v_lshl_add_u64 v[10:11], v[10:11], 1, s[30:31]
	global_load_ushort v9, v[10:11], off
	s_waitcnt vmcnt(1)
	v_lshlrev_b32_e32 v10, 16, v12
	v_mul_f32_e32 v10, s44, v10
	s_waitcnt vmcnt(0)
	v_lshlrev_b32_e32 v9, 16, v9
	v_mul_f32_e32 v9, v10, v9
	ds_write_b32 v8, v9
	v_add_u32_e32 v8, 0x400, v8
	s_andn2_b64 exec, exec, s[6:7]
	s_cbranch_execnz .LBB76_80
.LBB76_81:
	s_or_b64 exec, exec, s[4:5]
                                        ; implicit-def: $vgpr2_vgpr3
.LBB76_82:
	s_or_saveexec_b64 s[0:1], s[0:1]
	s_waitcnt vmcnt(0)
	v_lshlrev_b32_e32 v8, 2, v0
	s_xor_b64 exec, exec, s[0:1]
	s_cbranch_execz .LBB76_84
; %bb.83:
	v_lshl_add_u64 v[4:5], v[2:3], 2, s[26:27]
	global_load_dword v6, v[4:5], off
	global_load_dword v7, v[4:5], off offset:1024
	global_load_dword v9, v[4:5], off offset:2048
	;; [unrolled: 1-line block ×3, first 2 shown]
	v_lshl_add_u64 v[2:3], v[2:3], 1, s[28:29]
	global_load_ushort v12, v[2:3], off
	global_load_ushort v13, v[2:3], off offset:512
	global_load_ushort v14, v[2:3], off offset:1024
	;; [unrolled: 1-line block ×3, first 2 shown]
	s_waitcnt vmcnt(7)
	v_subrev_u32_e32 v2, s46, v6
	s_waitcnt vmcnt(6)
	v_subrev_u32_e32 v4, s46, v7
	;; [unrolled: 2-line block ×4, first 2 shown]
	v_ashrrev_i32_e32 v3, 31, v2
	v_ashrrev_i32_e32 v5, 31, v4
	;; [unrolled: 1-line block ×4, first 2 shown]
	v_lshl_add_u64 v[2:3], v[2:3], 1, s[30:31]
	v_lshl_add_u64 v[4:5], v[4:5], 1, s[30:31]
	;; [unrolled: 1-line block ×4, first 2 shown]
	global_load_ushort v9, v[2:3], off
	global_load_ushort v16, v[4:5], off
	;; [unrolled: 1-line block ×4, first 2 shown]
	s_waitcnt vmcnt(7)
	v_lshlrev_b32_e32 v2, 16, v12
	s_waitcnt vmcnt(6)
	v_lshlrev_b32_e32 v3, 16, v13
	;; [unrolled: 2-line block ×4, first 2 shown]
	v_mul_f32_e32 v2, s44, v2
	v_mul_f32_e32 v3, s44, v3
	;; [unrolled: 1-line block ×4, first 2 shown]
	s_waitcnt vmcnt(3)
	v_lshlrev_b32_e32 v6, 16, v9
	s_waitcnt vmcnt(2)
	v_lshlrev_b32_e32 v7, 16, v16
	;; [unrolled: 2-line block ×4, first 2 shown]
	v_mul_f32_e32 v2, v2, v6
	v_mul_f32_e32 v3, v3, v7
	;; [unrolled: 1-line block ×4, first 2 shown]
	ds_write2st64_b32 v8, v2, v3 offset1:4
	ds_write2st64_b32 v8, v4, v5 offset0:8 offset1:12
.LBB76_84:
	s_or_b64 exec, exec, s[0:1]
	s_cmp_lt_i32 s23, 2
	s_mov_b64 s[0:1], -1
	s_waitcnt lgkmcnt(0)
	s_barrier
	s_cbranch_scc0 .LBB76_95
; %bb.85:
	v_lshl_add_u64 v[6:7], s[36:37], 0, v[0:1]
	v_cmp_gt_i64_e32 vcc, s[38:39], v[6:7]
	s_and_saveexec_b64 s[0:1], vcc
	s_cbranch_execz .LBB76_94
; %bb.86:
	s_lshl_b32 s4, s42, 2
	v_cmp_neq_f32_e64 s[2:3], s22, 0
	s_sub_i32 s12, 0, s4
	s_mov_b64 s[4:5], 0
	s_mov_b64 s[6:7], 0x100
	s_branch .LBB76_88
.LBB76_87:                              ;   in Loop: Header=BB76_88 Depth=1
	v_lshl_add_u64 v[6:7], v[6:7], 0, s[6:7]
	v_cmp_le_i64_e32 vcc, s[38:39], v[6:7]
	s_or_b64 s[4:5], vcc, s[4:5]
	global_store_dword v[2:3], v1, off
	s_andn2_b64 exec, exec, s[4:5]
	s_cbranch_execz .LBB76_94
.LBB76_88:                              ; =>This Loop Header: Depth=1
                                        ;     Child Loop BB76_90 Depth 2
	v_lshl_add_u64 v[2:3], v[6:7], 3, s[24:25]
	global_load_dwordx4 v[2:5], v[2:3], off
	v_mov_b32_e32 v1, 0
	s_waitcnt vmcnt(0)
	v_subrev_u32_e32 v3, s42, v2
	v_subrev_u32_e32 v4, s42, v4
	v_cmp_lt_i32_e32 vcc, v3, v4
	s_and_saveexec_b64 s[8:9], vcc
	s_cbranch_execz .LBB76_92
; %bb.89:                               ;   in Loop: Header=BB76_88 Depth=1
	v_lshl_add_u32 v2, v2, 2, s12
	v_mov_b32_e32 v1, 0
	s_mov_b64 s[10:11], 0
.LBB76_90:                              ;   Parent Loop BB76_88 Depth=1
                                        ; =>  This Inner Loop Header: Depth=2
	ds_read_b32 v5, v2
	v_add_u32_e32 v3, 1, v3
	v_cmp_ge_i32_e32 vcc, v3, v4
	v_add_u32_e32 v2, 4, v2
	s_or_b64 s[10:11], vcc, s[10:11]
	s_waitcnt lgkmcnt(0)
	v_add_f32_e32 v1, v1, v5
	s_andn2_b64 exec, exec, s[10:11]
	s_cbranch_execnz .LBB76_90
; %bb.91:                               ;   in Loop: Header=BB76_88 Depth=1
	s_or_b64 exec, exec, s[10:11]
.LBB76_92:                              ;   in Loop: Header=BB76_88 Depth=1
	s_or_b64 exec, exec, s[8:9]
	s_and_b64 vcc, exec, s[2:3]
	v_lshl_add_u64 v[2:3], v[6:7], 2, s[34:35]
	s_cbranch_vccz .LBB76_87
; %bb.93:                               ;   in Loop: Header=BB76_88 Depth=1
	global_load_dword v4, v[2:3], off
	s_waitcnt vmcnt(0)
	v_fmac_f32_e32 v1, s22, v4
	s_branch .LBB76_87
.LBB76_94:
	s_or_b64 exec, exec, s[0:1]
	s_mov_b64 s[0:1], 0
.LBB76_95:
	s_andn2_b64 vcc, exec, s[0:1]
	s_cbranch_vccnz .LBB76_120
; %bb.96:
	s_flbit_i32_b32 s0, s23
	s_xor_b32 s0, s0, 31
	v_lshrrev_b32_e32 v4, s0, v0
	v_mov_b32_e32 v5, 0
	v_lshl_add_u64 v[2:3], s[36:37], 0, v[4:5]
	s_add_i32 s0, s23, -1
	v_and_b32_e32 v0, s0, v0
	v_cmp_le_i64_e32 vcc, s[38:39], v[2:3]
	v_cmp_gt_i64_e64 s[0:1], s[38:39], v[2:3]
	s_and_saveexec_b64 s[2:3], s[0:1]
	s_cbranch_execz .LBB76_102
; %bb.97:
	v_lshlrev_b32_e32 v1, 3, v4
	global_load_dword v4, v1, s[40:41] offset:8
	global_load_dword v5, v1, s[40:41]
	s_waitcnt vmcnt(1)
	v_subrev_u32_e32 v1, s42, v4
	s_waitcnt vmcnt(0)
	v_subrev_u32_e32 v4, s42, v5
	v_add_u32_e32 v4, v0, v4
	v_cmp_lt_i32_e64 s[0:1], v4, v1
	v_mov_b32_e32 v5, 0
	s_and_saveexec_b64 s[4:5], s[0:1]
	s_cbranch_execz .LBB76_101
; %bb.98:
	v_lshlrev_b32_e32 v6, 2, v4
	s_lshl_b32 s8, s23, 2
	v_mov_b32_e32 v5, 0
	s_mov_b64 s[6:7], 0
.LBB76_99:                              ; =>This Inner Loop Header: Depth=1
	ds_read_b32 v7, v6
	v_add_u32_e32 v4, s23, v4
	v_cmp_ge_i32_e64 s[0:1], v4, v1
	v_add_u32_e32 v6, s8, v6
	s_or_b64 s[6:7], s[0:1], s[6:7]
	s_waitcnt lgkmcnt(0)
	v_add_f32_e32 v5, v5, v7
	s_andn2_b64 exec, exec, s[6:7]
	s_cbranch_execnz .LBB76_99
; %bb.100:
	s_or_b64 exec, exec, s[6:7]
.LBB76_101:
	s_or_b64 exec, exec, s[4:5]
.LBB76_102:
	s_or_b64 exec, exec, s[2:3]
	s_cmpk_lt_u32 s23, 0x81
	s_barrier
	ds_write_b32 v8, v5
	s_waitcnt lgkmcnt(0)
	s_barrier
	s_cbranch_scc1 .LBB76_104
; %bb.103:
	ds_read_b32 v1, v8 offset:512
	s_waitcnt lgkmcnt(0)
	s_barrier
	v_add_f32_e32 v5, v5, v1
	ds_write_b32 v8, v5
.LBB76_104:
	s_cmpk_lt_u32 s23, 0x41
	s_waitcnt lgkmcnt(0)
	s_barrier
	s_cbranch_scc1 .LBB76_106
; %bb.105:
	ds_read_b32 v1, v8 offset:256
	s_waitcnt lgkmcnt(0)
	s_barrier
	v_add_f32_e32 v5, v5, v1
	ds_write_b32 v8, v5
.LBB76_106:
	s_cmp_lt_u32 s23, 33
	s_waitcnt lgkmcnt(0)
	s_barrier
	s_cbranch_scc1 .LBB76_108
; %bb.107:
	ds_read_b32 v1, v8 offset:128
	s_waitcnt lgkmcnt(0)
	s_barrier
	v_add_f32_e32 v5, v5, v1
	ds_write_b32 v8, v5
.LBB76_108:
	s_cmp_lt_u32 s23, 17
	s_waitcnt lgkmcnt(0)
	s_barrier
	s_cbranch_scc1 .LBB76_110
; %bb.109:
	ds_read_b32 v1, v8 offset:64
	s_waitcnt lgkmcnt(0)
	s_barrier
	v_add_f32_e32 v5, v5, v1
	ds_write_b32 v8, v5
.LBB76_110:
	s_cmp_lt_u32 s23, 9
	s_waitcnt lgkmcnt(0)
	s_barrier
	s_cbranch_scc1 .LBB76_112
; %bb.111:
	ds_read_b32 v1, v8 offset:32
	s_waitcnt lgkmcnt(0)
	s_barrier
	v_add_f32_e32 v5, v5, v1
	ds_write_b32 v8, v5
.LBB76_112:
	s_cmp_lt_u32 s23, 5
	s_waitcnt lgkmcnt(0)
	s_barrier
	s_cbranch_scc1 .LBB76_114
; %bb.113:
	ds_read_b32 v1, v8 offset:16
	s_waitcnt lgkmcnt(0)
	s_barrier
	v_add_f32_e32 v5, v5, v1
	ds_write_b32 v8, v5
.LBB76_114:
	s_cmp_eq_u32 s23, 2
	s_waitcnt lgkmcnt(0)
	s_barrier
	s_cbranch_scc1 .LBB76_116
; %bb.115:
	ds_read_b32 v1, v8 offset:8
	s_waitcnt lgkmcnt(0)
	s_barrier
	v_add_f32_e32 v5, v5, v1
	ds_write_b32 v8, v5
.LBB76_116:
	s_waitcnt lgkmcnt(0)
	s_barrier
	ds_read_b32 v1, v8 offset:4
	v_cmp_eq_u32_e64 s[0:1], 0, v0
	s_xor_b64 s[2:3], vcc, -1
	s_and_b64 s[0:1], s[0:1], s[2:3]
	s_waitcnt lgkmcnt(0)
	v_add_f32_e32 v4, v5, v1
	s_barrier
	ds_write_b32 v8, v4
	s_and_saveexec_b64 s[2:3], s[0:1]
	s_cbranch_execz .LBB76_120
; %bb.117:
	v_cmp_eq_f32_e64 s[0:1], s22, 0
	s_and_b64 vcc, exec, s[0:1]
	v_lshl_add_u64 v[0:1], v[2:3], 2, s[34:35]
	s_cbranch_vccnz .LBB76_119
; %bb.118:
	global_load_dword v2, v[0:1], off
	s_waitcnt vmcnt(0)
	v_fmac_f32_e32 v4, s22, v2
.LBB76_119:
	global_store_dword v[0:1], v4, off
.LBB76_120:
	s_endpgm
	.section	.rodata,"a",@progbits
	.p2align	6, 0x0
	.amdhsa_kernel _ZN9rocsparseL22csrmvn_adaptive_kernelIli18rocsparse_bfloat16S1_ffEEvbT_PKS2_PjPKT0_NS_24const_host_device_scalarIT4_EES4_S8_PKT1_PKT2_SB_PT3_21rocsparse_index_base_b
		.amdhsa_group_segment_fixed_size 4096
		.amdhsa_private_segment_fixed_size 0
		.amdhsa_kernarg_size 104
		.amdhsa_user_sgpr_count 2
		.amdhsa_user_sgpr_dispatch_ptr 0
		.amdhsa_user_sgpr_queue_ptr 0
		.amdhsa_user_sgpr_kernarg_segment_ptr 1
		.amdhsa_user_sgpr_dispatch_id 0
		.amdhsa_user_sgpr_kernarg_preload_length 0
		.amdhsa_user_sgpr_kernarg_preload_offset 0
		.amdhsa_user_sgpr_private_segment_size 0
		.amdhsa_uses_dynamic_stack 0
		.amdhsa_enable_private_segment 0
		.amdhsa_system_sgpr_workgroup_id_x 1
		.amdhsa_system_sgpr_workgroup_id_y 0
		.amdhsa_system_sgpr_workgroup_id_z 0
		.amdhsa_system_sgpr_workgroup_info 0
		.amdhsa_system_vgpr_workitem_id 0
		.amdhsa_next_free_vgpr 23
		.amdhsa_next_free_sgpr 64
		.amdhsa_accum_offset 24
		.amdhsa_reserve_vcc 1
		.amdhsa_float_round_mode_32 0
		.amdhsa_float_round_mode_16_64 0
		.amdhsa_float_denorm_mode_32 3
		.amdhsa_float_denorm_mode_16_64 3
		.amdhsa_dx10_clamp 1
		.amdhsa_ieee_mode 1
		.amdhsa_fp16_overflow 0
		.amdhsa_tg_split 0
		.amdhsa_exception_fp_ieee_invalid_op 0
		.amdhsa_exception_fp_denorm_src 0
		.amdhsa_exception_fp_ieee_div_zero 0
		.amdhsa_exception_fp_ieee_overflow 0
		.amdhsa_exception_fp_ieee_underflow 0
		.amdhsa_exception_fp_ieee_inexact 0
		.amdhsa_exception_int_div_zero 0
	.end_amdhsa_kernel
	.section	.text._ZN9rocsparseL22csrmvn_adaptive_kernelIli18rocsparse_bfloat16S1_ffEEvbT_PKS2_PjPKT0_NS_24const_host_device_scalarIT4_EES4_S8_PKT1_PKT2_SB_PT3_21rocsparse_index_base_b,"axG",@progbits,_ZN9rocsparseL22csrmvn_adaptive_kernelIli18rocsparse_bfloat16S1_ffEEvbT_PKS2_PjPKT0_NS_24const_host_device_scalarIT4_EES4_S8_PKT1_PKT2_SB_PT3_21rocsparse_index_base_b,comdat
.Lfunc_end76:
	.size	_ZN9rocsparseL22csrmvn_adaptive_kernelIli18rocsparse_bfloat16S1_ffEEvbT_PKS2_PjPKT0_NS_24const_host_device_scalarIT4_EES4_S8_PKT1_PKT2_SB_PT3_21rocsparse_index_base_b, .Lfunc_end76-_ZN9rocsparseL22csrmvn_adaptive_kernelIli18rocsparse_bfloat16S1_ffEEvbT_PKS2_PjPKT0_NS_24const_host_device_scalarIT4_EES4_S8_PKT1_PKT2_SB_PT3_21rocsparse_index_base_b
                                        ; -- End function
	.set _ZN9rocsparseL22csrmvn_adaptive_kernelIli18rocsparse_bfloat16S1_ffEEvbT_PKS2_PjPKT0_NS_24const_host_device_scalarIT4_EES4_S8_PKT1_PKT2_SB_PT3_21rocsparse_index_base_b.num_vgpr, 23
	.set _ZN9rocsparseL22csrmvn_adaptive_kernelIli18rocsparse_bfloat16S1_ffEEvbT_PKS2_PjPKT0_NS_24const_host_device_scalarIT4_EES4_S8_PKT1_PKT2_SB_PT3_21rocsparse_index_base_b.num_agpr, 0
	.set _ZN9rocsparseL22csrmvn_adaptive_kernelIli18rocsparse_bfloat16S1_ffEEvbT_PKS2_PjPKT0_NS_24const_host_device_scalarIT4_EES4_S8_PKT1_PKT2_SB_PT3_21rocsparse_index_base_b.numbered_sgpr, 64
	.set _ZN9rocsparseL22csrmvn_adaptive_kernelIli18rocsparse_bfloat16S1_ffEEvbT_PKS2_PjPKT0_NS_24const_host_device_scalarIT4_EES4_S8_PKT1_PKT2_SB_PT3_21rocsparse_index_base_b.num_named_barrier, 0
	.set _ZN9rocsparseL22csrmvn_adaptive_kernelIli18rocsparse_bfloat16S1_ffEEvbT_PKS2_PjPKT0_NS_24const_host_device_scalarIT4_EES4_S8_PKT1_PKT2_SB_PT3_21rocsparse_index_base_b.private_seg_size, 0
	.set _ZN9rocsparseL22csrmvn_adaptive_kernelIli18rocsparse_bfloat16S1_ffEEvbT_PKS2_PjPKT0_NS_24const_host_device_scalarIT4_EES4_S8_PKT1_PKT2_SB_PT3_21rocsparse_index_base_b.uses_vcc, 1
	.set _ZN9rocsparseL22csrmvn_adaptive_kernelIli18rocsparse_bfloat16S1_ffEEvbT_PKS2_PjPKT0_NS_24const_host_device_scalarIT4_EES4_S8_PKT1_PKT2_SB_PT3_21rocsparse_index_base_b.uses_flat_scratch, 0
	.set _ZN9rocsparseL22csrmvn_adaptive_kernelIli18rocsparse_bfloat16S1_ffEEvbT_PKS2_PjPKT0_NS_24const_host_device_scalarIT4_EES4_S8_PKT1_PKT2_SB_PT3_21rocsparse_index_base_b.has_dyn_sized_stack, 0
	.set _ZN9rocsparseL22csrmvn_adaptive_kernelIli18rocsparse_bfloat16S1_ffEEvbT_PKS2_PjPKT0_NS_24const_host_device_scalarIT4_EES4_S8_PKT1_PKT2_SB_PT3_21rocsparse_index_base_b.has_recursion, 0
	.set _ZN9rocsparseL22csrmvn_adaptive_kernelIli18rocsparse_bfloat16S1_ffEEvbT_PKS2_PjPKT0_NS_24const_host_device_scalarIT4_EES4_S8_PKT1_PKT2_SB_PT3_21rocsparse_index_base_b.has_indirect_call, 0
	.section	.AMDGPU.csdata,"",@progbits
; Kernel info:
; codeLenInByte = 4184
; TotalNumSgprs: 70
; NumVgprs: 23
; NumAgprs: 0
; TotalNumVgprs: 23
; ScratchSize: 0
; MemoryBound: 0
; FloatMode: 240
; IeeeMode: 1
; LDSByteSize: 4096 bytes/workgroup (compile time only)
; SGPRBlocks: 8
; VGPRBlocks: 2
; NumSGPRsForWavesPerEU: 70
; NumVGPRsForWavesPerEU: 23
; AccumOffset: 24
; Occupancy: 8
; WaveLimiterHint : 1
; COMPUTE_PGM_RSRC2:SCRATCH_EN: 0
; COMPUTE_PGM_RSRC2:USER_SGPR: 2
; COMPUTE_PGM_RSRC2:TRAP_HANDLER: 0
; COMPUTE_PGM_RSRC2:TGID_X_EN: 1
; COMPUTE_PGM_RSRC2:TGID_Y_EN: 0
; COMPUTE_PGM_RSRC2:TGID_Z_EN: 0
; COMPUTE_PGM_RSRC2:TIDIG_COMP_CNT: 0
; COMPUTE_PGM_RSRC3_GFX90A:ACCUM_OFFSET: 5
; COMPUTE_PGM_RSRC3_GFX90A:TG_SPLIT: 0
	.section	.text._ZN9rocsparseL27csrmvn_symm_adaptive_kernelIli18rocsparse_bfloat16S1_ffEEvbT_S2_PKS2_NS_24const_host_device_scalarIT4_EES4_PKT0_PKT1_PKT2_S7_PT3_21rocsparse_index_base_b,"axG",@progbits,_ZN9rocsparseL27csrmvn_symm_adaptive_kernelIli18rocsparse_bfloat16S1_ffEEvbT_S2_PKS2_NS_24const_host_device_scalarIT4_EES4_PKT0_PKT1_PKT2_S7_PT3_21rocsparse_index_base_b,comdat
	.globl	_ZN9rocsparseL27csrmvn_symm_adaptive_kernelIli18rocsparse_bfloat16S1_ffEEvbT_S2_PKS2_NS_24const_host_device_scalarIT4_EES4_PKT0_PKT1_PKT2_S7_PT3_21rocsparse_index_base_b ; -- Begin function _ZN9rocsparseL27csrmvn_symm_adaptive_kernelIli18rocsparse_bfloat16S1_ffEEvbT_S2_PKS2_NS_24const_host_device_scalarIT4_EES4_PKT0_PKT1_PKT2_S7_PT3_21rocsparse_index_base_b
	.p2align	8
	.type	_ZN9rocsparseL27csrmvn_symm_adaptive_kernelIli18rocsparse_bfloat16S1_ffEEvbT_S2_PKS2_NS_24const_host_device_scalarIT4_EES4_PKT0_PKT1_PKT2_S7_PT3_21rocsparse_index_base_b,@function
_ZN9rocsparseL27csrmvn_symm_adaptive_kernelIli18rocsparse_bfloat16S1_ffEEvbT_S2_PKS2_NS_24const_host_device_scalarIT4_EES4_PKT0_PKT1_PKT2_S7_PT3_21rocsparse_index_base_b: ; @_ZN9rocsparseL27csrmvn_symm_adaptive_kernelIli18rocsparse_bfloat16S1_ffEEvbT_S2_PKS2_NS_24const_host_device_scalarIT4_EES4_PKT0_PKT1_PKT2_S7_PT3_21rocsparse_index_base_b
; %bb.0:
	s_load_dwordx2 s[28:29], s[0:1], 0x58
	s_load_dwordx2 s[36:37], s[0:1], 0x20
	;; [unrolled: 1-line block ×3, first 2 shown]
	s_waitcnt lgkmcnt(0)
	s_bitcmp1_b32 s29, 0
	s_cselect_b64 s[8:9], -1, 0
	s_xor_b64 s[6:7], s[8:9], -1
	s_and_b64 vcc, exec, s[8:9]
	s_cbranch_vccnz .LBB77_2
; %bb.1:
	s_load_dword s36, s[36:37], 0x0
.LBB77_2:
	s_andn2_b64 vcc, exec, s[6:7]
	s_cbranch_vccnz .LBB77_4
; %bb.3:
	s_load_dword s4, s[4:5], 0x0
.LBB77_4:
	s_waitcnt lgkmcnt(0)
	v_cmp_neq_f32_e64 s[6:7], s36, 0
	v_cmp_neq_f32_e64 s[4:5], s4, 1.0
	s_or_b64 s[4:5], s[6:7], s[4:5]
	s_andn2_b64 vcc, exec, s[4:5]
	s_cbranch_vccnz .LBB77_146
; %bb.5:
	s_load_dwordx2 s[4:5], s[0:1], 0x18
	s_ashr_i32 s3, s2, 31
	s_lshl_b64 s[2:3], s[2:3], 3
	v_lshlrev_b32_e32 v18, 2, v0
	v_mov_b32_e32 v1, 0
	s_waitcnt lgkmcnt(0)
	s_add_u32 s2, s4, s2
	s_addc_u32 s3, s5, s3
	ds_write2st64_b32 v18, v1, v1 offset1:4
	ds_write2st64_b32 v18, v1, v1 offset0:8 offset1:12
	s_waitcnt lgkmcnt(0)
	s_barrier
	s_load_dwordx4 s[20:23], s[2:3], 0x0
	s_load_dwordx8 s[12:19], s[0:1], 0x28
	s_load_dwordx2 s[24:25], s[0:1], 0x50
	s_mov_b64 s[2:3], -1
	s_waitcnt lgkmcnt(0)
	s_sub_u32 s26, s22, s20
	s_subb_u32 s27, s23, s21
	v_cmp_gt_i64_e64 s[4:5], s[26:27], 2
	s_and_b64 vcc, exec, s[4:5]
	s_cbranch_vccnz .LBB77_36
; %bb.6:
	v_mov_b64_e32 v[2:3], s[20:21]
	v_cmp_le_i64_e32 vcc, s[22:23], v[2:3]
	v_subrev_co_u32_e64 v2, s[2:3], s28, v0
	s_nop 1
	v_subb_co_u32_e64 v3, s[2:3], 0, 0, s[2:3]
	s_cbranch_vccnz .LBB77_26
; %bb.7:
	s_movk_i32 s2, 0x100
	v_cmp_gt_u32_e64 s[2:3], s2, v0
	v_cmp_gt_u32_e64 s[4:5], 64, v0
	;; [unrolled: 1-line block ×4, first 2 shown]
	v_cmp_eq_u32_e64 s[10:11], 0, v0
	s_mov_b64 s[30:31], 0x100
	s_mov_b64 s[34:35], 0x400
	;; [unrolled: 1-line block ×3, first 2 shown]
	v_mov_b32_e32 v1, 0
	v_mov_b64_e32 v[4:5], s[22:23]
	s_mov_b64 s[40:41], s[20:21]
	s_branch .LBB77_9
.LBB77_8:                               ;   in Loop: Header=BB77_9 Depth=1
	s_or_b64 exec, exec, s[42:43]
	s_add_u32 s40, s40, 1
	s_addc_u32 s41, s41, 0
	v_cmp_ge_i64_e32 vcc, s[40:41], v[4:5]
	s_cbranch_vccnz .LBB77_26
.LBB77_9:                               ; =>This Loop Header: Depth=1
                                        ;     Child Loop BB77_11 Depth 2
	s_lshl_b64 s[42:43], s[40:41], 3
	s_add_u32 s42, s12, s42
	s_addc_u32 s43, s13, s43
	s_load_dwordx4 s[44:47], s[42:43], 0x0
	v_mov_b32_e32 v12, 0
	s_waitcnt lgkmcnt(0)
	s_sub_u32 s42, s46, s28
	v_lshl_add_u64 v[6:7], s[44:45], 0, v[2:3]
	s_subb_u32 s43, s47, 0
	v_cmp_gt_i64_e32 vcc, s[42:43], v[6:7]
	s_and_saveexec_b64 s[44:45], vcc
	s_cbranch_execz .LBB77_13
; %bb.10:                               ;   in Loop: Header=BB77_9 Depth=1
	v_lshl_add_u64 v[8:9], v[6:7], 2, s[14:15]
	v_lshl_add_u64 v[10:11], v[6:7], 1, s[16:17]
	v_mov_b32_e32 v12, 0
	s_mov_b64 s[46:47], 0
.LBB77_11:                              ;   Parent Loop BB77_9 Depth=1
                                        ; =>  This Inner Loop Header: Depth=2
	global_load_dword v13, v[8:9], off
	global_load_ushort v16, v[10:11], off
	v_lshl_add_u64 v[6:7], v[6:7], 0, s[30:31]
	v_cmp_le_i64_e32 vcc, s[42:43], v[6:7]
	v_lshl_add_u64 v[8:9], v[8:9], 0, s[34:35]
	v_lshl_add_u64 v[10:11], v[10:11], 0, s[38:39]
	s_or_b64 s[46:47], vcc, s[46:47]
	s_waitcnt vmcnt(1)
	v_subrev_u32_e32 v14, s28, v13
	v_ashrrev_i32_e32 v15, 31, v14
	v_lshl_add_u64 v[14:15], v[14:15], 1, s[18:19]
	global_load_ushort v13, v[14:15], off
	s_waitcnt vmcnt(1)
	v_lshlrev_b32_e32 v14, 16, v16
	s_waitcnt vmcnt(0)
	v_lshlrev_b32_e32 v13, 16, v13
	v_fmac_f32_e32 v12, v14, v13
	s_andn2_b64 exec, exec, s[46:47]
	s_cbranch_execnz .LBB77_11
; %bb.12:                               ;   in Loop: Header=BB77_9 Depth=1
	s_or_b64 exec, exec, s[46:47]
.LBB77_13:                              ;   in Loop: Header=BB77_9 Depth=1
	s_or_b64 exec, exec, s[44:45]
	ds_write_b32 v18, v12
	s_waitcnt lgkmcnt(0)
	s_barrier
	s_and_saveexec_b64 s[42:43], s[2:3]
	s_cbranch_execz .LBB77_15
; %bb.14:                               ;   in Loop: Header=BB77_9 Depth=1
	ds_read2st64_b32 v[6:7], v18 offset1:4
	ds_read2st64_b32 v[8:9], v18 offset0:8 offset1:12
	s_waitcnt lgkmcnt(0)
	v_add_f32_e32 v7, v7, v8
	v_add_f32_e32 v7, v7, v9
	;; [unrolled: 1-line block ×3, first 2 shown]
	ds_write_b32 v18, v6
.LBB77_15:                              ;   in Loop: Header=BB77_9 Depth=1
	s_or_b64 exec, exec, s[42:43]
	s_waitcnt lgkmcnt(0)
	s_barrier
	s_and_saveexec_b64 s[42:43], s[4:5]
	s_cbranch_execz .LBB77_17
; %bb.16:                               ;   in Loop: Header=BB77_9 Depth=1
	ds_read2st64_b32 v[6:7], v18 offset1:1
	ds_read2st64_b32 v[8:9], v18 offset0:2 offset1:3
	s_waitcnt lgkmcnt(0)
	v_add_f32_e32 v7, v7, v8
	v_add_f32_e32 v7, v7, v9
	;; [unrolled: 1-line block ×3, first 2 shown]
	ds_write_b32 v18, v6
.LBB77_17:                              ;   in Loop: Header=BB77_9 Depth=1
	s_or_b64 exec, exec, s[42:43]
	s_waitcnt lgkmcnt(0)
	s_barrier
	s_and_saveexec_b64 s[42:43], s[6:7]
	s_cbranch_execz .LBB77_19
; %bb.18:                               ;   in Loop: Header=BB77_9 Depth=1
	ds_read2_b32 v[6:7], v18 offset1:16
	ds_read2_b32 v[8:9], v18 offset0:32 offset1:48
	s_waitcnt lgkmcnt(0)
	v_add_f32_e32 v7, v7, v8
	v_add_f32_e32 v7, v7, v9
	;; [unrolled: 1-line block ×3, first 2 shown]
	ds_write_b32 v18, v6
.LBB77_19:                              ;   in Loop: Header=BB77_9 Depth=1
	s_or_b64 exec, exec, s[42:43]
	s_waitcnt lgkmcnt(0)
	s_barrier
	s_and_saveexec_b64 s[42:43], s[8:9]
	s_cbranch_execz .LBB77_21
; %bb.20:                               ;   in Loop: Header=BB77_9 Depth=1
	ds_read2_b32 v[6:7], v18 offset1:4
	ds_read2_b32 v[8:9], v18 offset0:8 offset1:12
	s_waitcnt lgkmcnt(0)
	v_add_f32_e32 v7, v7, v8
	v_add_f32_e32 v7, v7, v9
	;; [unrolled: 1-line block ×3, first 2 shown]
	ds_write_b32 v18, v6
.LBB77_21:                              ;   in Loop: Header=BB77_9 Depth=1
	s_or_b64 exec, exec, s[42:43]
	s_waitcnt lgkmcnt(0)
	s_barrier
	s_and_saveexec_b64 s[42:43], s[10:11]
	s_cbranch_execz .LBB77_23
; %bb.22:                               ;   in Loop: Header=BB77_9 Depth=1
	ds_read2_b32 v[6:7], v1 offset0:1 offset1:2
	ds_read_b32 v8, v1 offset:12
	ds_read_b32 v9, v18
	s_waitcnt lgkmcnt(2)
	v_add_f32_e32 v6, v6, v7
	s_waitcnt lgkmcnt(1)
	v_add_f32_e32 v6, v6, v8
	;; [unrolled: 2-line block ×3, first 2 shown]
	ds_write_b32 v18, v6
.LBB77_23:                              ;   in Loop: Header=BB77_9 Depth=1
	s_or_b64 exec, exec, s[42:43]
	s_waitcnt lgkmcnt(0)
	s_barrier
	s_and_saveexec_b64 s[42:43], s[10:11]
	s_cbranch_execz .LBB77_8
; %bb.24:                               ;   in Loop: Header=BB77_9 Depth=1
	s_mov_b64 s[44:45], exec
	v_mbcnt_lo_u32_b32 v6, s44, 0
	v_mbcnt_hi_u32_b32 v6, s45, v6
	v_cmp_eq_u32_e32 vcc, 0, v6
	s_and_b64 s[46:47], exec, vcc
	s_mov_b64 exec, s[46:47]
	s_cbranch_execz .LBB77_8
; %bb.25:                               ;   in Loop: Header=BB77_9 Depth=1
	ds_read_b32 v6, v1
	s_lshl_b64 s[46:47], s[40:41], 2
	s_add_u32 s46, s24, s46
	s_addc_u32 s47, s25, s47
	s_bcnt1_i32_b64 s29, s[44:45]
	s_waitcnt lgkmcnt(0)
	v_mul_f32_e32 v6, s36, v6
	v_cvt_f32_ubyte0_e32 v7, s29
	v_mul_f32_e32 v6, v6, v7
	global_atomic_add_f32 v1, v6, s[46:47]
	s_branch .LBB77_8
.LBB77_26:
	s_lshl_b64 s[2:3], s[20:21], 3
	s_add_u32 s2, s12, s2
	s_addc_u32 s3, s13, s3
	s_lshl_b64 s[4:5], s[22:23], 3
	s_add_u32 s4, s12, s4
	s_addc_u32 s5, s13, s5
	s_load_dwordx2 s[6:7], s[4:5], 0x0
	s_load_dwordx2 s[8:9], s[2:3], 0x0
	s_waitcnt lgkmcnt(0)
	s_sub_u32 s6, s6, s28
	s_subb_u32 s7, s7, 0
	v_lshl_add_u64 v[2:3], s[8:9], 0, v[2:3]
	v_cmp_gt_i64_e32 vcc, s[6:7], v[2:3]
	s_and_saveexec_b64 s[8:9], vcc
	s_cbranch_execz .LBB77_35
; %bb.27:
	s_add_u32 s10, s22, -1
	s_addc_u32 s11, s23, -1
	s_add_u32 s2, s22, -2
	s_addc_u32 s3, s23, -1
	v_mov_b64_e32 v[4:5], s[10:11]
	s_cmp_lg_u64 s[20:21], s[2:3]
	v_cmp_lt_i64_e32 vcc, s[20:21], v[4:5]
	s_cselect_b64 s[2:3], -1, 0
	s_and_b64 s[2:3], vcc, s[2:3]
	v_cndmask_b32_e64 v1, 0, 1, s[2:3]
	s_mov_b64 s[30:31], 0
	v_cmp_ne_u32_e64 s[2:3], 1, v1
	v_mov_b32_e32 v5, 0
	s_mov_b64 s[34:35], 0x100
	s_branch .LBB77_29
.LBB77_28:                              ;   in Loop: Header=BB77_29 Depth=1
	s_or_b64 exec, exec, s[4:5]
	v_lshl_add_u64 v[2:3], v[2:3], 0, s[34:35]
	v_cmp_le_i64_e32 vcc, s[6:7], v[2:3]
	s_or_b64 s[30:31], vcc, s[30:31]
	s_andn2_b64 exec, exec, s[30:31]
	s_cbranch_execz .LBB77_35
.LBB77_29:                              ; =>This Loop Header: Depth=1
                                        ;     Child Loop BB77_31 Depth 2
	s_and_b64 vcc, exec, s[2:3]
	v_mov_b64_e32 v[6:7], s[20:21]
	v_mov_b64_e32 v[8:9], s[10:11]
	s_cbranch_vccnz .LBB77_33
; %bb.30:                               ;   in Loop: Header=BB77_29 Depth=1
	s_mov_b64 s[38:39], 0
	v_mov_b64_e32 v[6:7], s[20:21]
	v_mov_b64_e32 v[8:9], s[10:11]
.LBB77_31:                              ;   Parent Loop BB77_29 Depth=1
                                        ; =>  This Inner Loop Header: Depth=2
	v_lshl_add_u64 v[10:11], v[8:9], 0, v[6:7]
	v_lshrrev_b32_e32 v4, 31, v11
	v_lshl_add_u64 v[10:11], v[10:11], 0, v[4:5]
	v_ashrrev_i64 v[10:11], 1, v[10:11]
	v_lshl_add_u64 v[12:13], v[10:11], 3, s[12:13]
	global_load_dwordx2 v[12:13], v[12:13], off
	s_waitcnt vmcnt(0)
	v_subrev_co_u32_e32 v12, vcc, s28, v12
	s_nop 1
	v_subbrev_co_u32_e32 v13, vcc, 0, v13, vcc
	v_cmp_lt_i64_e32 vcc, v[2:3], v[12:13]
	s_nop 1
	v_cndmask_b32_e32 v9, v9, v11, vcc
	v_cndmask_b32_e32 v8, v8, v10, vcc
	;; [unrolled: 1-line block ×4, first 2 shown]
	v_lshl_add_u64 v[10:11], v[8:9], 0, -1
	v_cmp_ge_i64_e32 vcc, v[6:7], v[8:9]
	v_cmp_eq_u64_e64 s[4:5], v[6:7], v[10:11]
	s_or_b64 s[4:5], vcc, s[4:5]
	s_and_b64 s[4:5], exec, s[4:5]
	s_or_b64 s[38:39], s[4:5], s[38:39]
	s_andn2_b64 exec, exec, s[38:39]
	s_cbranch_execnz .LBB77_31
; %bb.32:                               ;   in Loop: Header=BB77_29 Depth=1
	s_or_b64 exec, exec, s[38:39]
.LBB77_33:                              ;   in Loop: Header=BB77_29 Depth=1
	v_lshl_add_u64 v[10:11], v[8:9], 3, s[12:13]
	global_load_dwordx2 v[10:11], v[10:11], off
	v_lshl_add_u64 v[12:13], v[2:3], 2, s[14:15]
	global_load_dword v1, v[12:13], off
	s_waitcnt vmcnt(1)
	v_subrev_co_u32_e32 v12, vcc, s28, v10
	s_nop 1
	v_subbrev_co_u32_e32 v13, vcc, 0, v11, vcc
	s_waitcnt vmcnt(0)
	v_subrev_u32_e32 v10, s28, v1
	v_cmp_lt_i64_e32 vcc, v[2:3], v[12:13]
	v_ashrrev_i32_e32 v11, 31, v10
	s_nop 0
	v_cndmask_b32_e32 v7, v9, v7, vcc
	v_cndmask_b32_e32 v6, v8, v6, vcc
	v_cmp_ne_u64_e32 vcc, v[6:7], v[10:11]
	s_and_saveexec_b64 s[4:5], vcc
	s_cbranch_execz .LBB77_28
; %bb.34:                               ;   in Loop: Header=BB77_29 Depth=1
	v_lshl_add_u64 v[8:9], v[2:3], 1, s[16:17]
	global_load_ushort v1, v[8:9], off
	v_lshl_add_u64 v[6:7], v[6:7], 1, s[18:19]
	global_load_ushort v4, v[6:7], off
	v_lshl_add_u64 v[6:7], v[10:11], 2, s[24:25]
	s_waitcnt vmcnt(1)
	v_lshlrev_b32_e32 v1, 16, v1
	v_mul_f32_e32 v1, s36, v1
	s_waitcnt vmcnt(0)
	v_lshlrev_b32_e32 v4, 16, v4
	v_mul_f32_e32 v1, v1, v4
	global_atomic_add_f32 v[6:7], v1, off
	s_branch .LBB77_28
.LBB77_35:
	s_or_b64 exec, exec, s[8:9]
	s_mov_b64 s[2:3], 0
.LBB77_36:
	s_and_b64 vcc, exec, s[2:3]
	s_cbranch_vccz .LBB77_146
; %bb.37:
	s_load_dword s2, s[0:1], 0x6c
	s_mov_b32 s31, 0
	v_mov_b64_e32 v[2:3], s[26:27]
	s_mov_b64 s[34:35], 0
	s_waitcnt lgkmcnt(0)
	s_and_b32 s30, s2, 0xffff
	v_cmp_lt_u64_e32 vcc, s[30:31], v[2:3]
	s_cbranch_vccnz .LBB77_39
; %bb.38:
	v_cvt_f32_u32_e32 v1, s26
	s_sub_i32 s2, 0, s26
	v_rcp_iflag_f32_e32 v1, v1
	s_nop 0
	v_mul_f32_e32 v1, 0x4f7ffffe, v1
	v_cvt_u32_f32_e32 v1, v1
	s_nop 0
	v_readfirstlane_b32 s3, v1
	s_mul_i32 s2, s2, s3
	s_mul_hi_u32 s2, s3, s2
	s_add_i32 s3, s3, s2
	s_mul_hi_u32 s2, s30, s3
	s_mul_i32 s4, s2, s26
	s_sub_i32 s4, s30, s4
	s_add_i32 s3, s2, 1
	s_sub_i32 s5, s4, s26
	s_cmp_ge_u32 s4, s26
	s_cselect_b32 s2, s3, s2
	s_cselect_b32 s4, s5, s4
	s_add_i32 s3, s2, 1
	s_cmp_ge_u32 s4, s26
	s_cselect_b32 s34, s3, s2
.LBB77_39:
	s_load_dwordx4 s[4:7], s[0:1], 0x8
	s_lshl_b64 s[0:1], s[20:21], 3
	s_add_u32 s10, s12, s0
	s_addc_u32 s11, s13, s1
	s_load_dwordx2 s[8:9], s[10:11], 0x0
	v_subrev_co_u32_e32 v2, vcc, s28, v0
	v_mov_b32_e32 v1, 0
	s_nop 0
	v_subb_co_u32_e64 v3, s[0:1], 0, 0, vcc
	s_waitcnt lgkmcnt(0)
	v_lshl_add_u64 v[10:11], s[8:9], 0, v[2:3]
	s_mov_b64 s[0:1], 0x300
	v_lshl_add_u64 v[8:9], v[10:11], 0, s[0:1]
	v_cmp_le_i64_e32 vcc, s[4:5], v[8:9]
	s_and_saveexec_b64 s[0:1], vcc
	s_xor_b64 s[2:3], exec, s[0:1]
	s_cbranch_execnz .LBB77_42
; %bb.40:
	s_andn2_saveexec_b64 s[0:1], s[2:3]
	s_cbranch_execnz .LBB77_53
.LBB77_41:
	s_or_b64 exec, exec, s[0:1]
	v_cmp_gt_i64_e64 s[0:1], s[6:7], v[0:1]
	s_and_saveexec_b64 s[2:3], s[0:1]
	s_cbranch_execnz .LBB77_54
	s_branch .LBB77_61
.LBB77_42:
	s_lshl_b64 s[0:1], s[22:23], 3
	s_add_u32 s0, s12, s0
	s_addc_u32 s1, s13, s1
	s_load_dwordx2 s[40:41], s[0:1], 0x0
	s_waitcnt lgkmcnt(0)
	s_sub_u32 s4, s40, s8
	s_subb_u32 s5, s41, s9
	v_cmp_gt_i64_e64 s[0:1], s[4:5], v[0:1]
	s_and_saveexec_b64 s[38:39], s[0:1]
	s_cbranch_execz .LBB77_52
; %bb.43:
	s_not_b64 s[0:1], s[8:9]
	s_add_u32 s0, s40, s0
	s_addc_u32 s1, s41, s1
	v_mov_b32_e32 v2, s1
	v_sub_co_u32_e64 v4, s[0:1], s0, v0
	s_mov_b64 s[42:43], 0
	s_nop 0
	v_subbrev_co_u32_e64 v5, s[0:1], 0, v2, s[0:1]
	s_mov_b64 s[0:1], 0xff
	s_nop 0
	v_cmp_lt_u64_e64 s[0:1], s[0:1], v[4:5]
	v_lshlrev_b64 v[2:3], 1, v[10:11]
                                        ; implicit-def: $vgpr12_vgpr13
	s_and_saveexec_b64 s[40:41], s[0:1]
	s_xor_b64 s[40:41], exec, s[40:41]
	s_cbranch_execnz .LBB77_46
; %bb.44:
	s_andn2_saveexec_b64 s[0:1], s[40:41]
	s_cbranch_execnz .LBB77_49
.LBB77_45:
	s_or_b64 exec, exec, s[0:1]
	s_and_b64 exec, exec, s[42:43]
	s_cbranch_execnz .LBB77_50
	s_branch .LBB77_52
.LBB77_46:
	v_lshrrev_b64 v[2:3], 8, v[4:5]
	v_lshl_add_u64 v[4:5], v[2:3], 0, 1
	v_lshlrev_b64 v[2:3], 1, v[10:11]
	v_and_b32_e32 v6, -2, v4
	v_mov_b32_e32 v7, v5
	v_lshl_add_u64 v[12:13], s[16:17], 0, v[2:3]
	s_mov_b64 s[0:1], 0x200
	s_mov_b32 s37, s36
	v_lshl_add_u64 v[12:13], v[12:13], 0, s[0:1]
	s_mov_b64 s[44:45], 0x100
	s_mov_b64 s[46:47], 0x400
	v_mov_b64_e32 v[14:15], v[6:7]
	s_mov_b64 s[48:49], 0
.LBB77_47:                              ; =>This Inner Loop Header: Depth=1
	global_load_ushort v16, v[12:13], off
	global_load_ushort v19, v[12:13], off offset:-512
	v_lshl_add_u32 v20, s48, 2, v18
	s_add_u32 s48, s48, 0x200
	s_addc_u32 s49, s49, 0
	v_lshl_add_u32 v21, s44, 2, v18
	v_lshl_add_u64 v[14:15], v[14:15], 0, -2
	s_add_u32 s44, s44, 0x200
	v_cmp_eq_u64_e64 s[0:1], 0, v[14:15]
	s_addc_u32 s45, s45, 0
	v_lshl_add_u64 v[12:13], v[12:13], 0, s[46:47]
	s_or_b64 s[42:43], s[0:1], s[42:43]
	s_waitcnt vmcnt(1)
	v_lshlrev_b32_e32 v17, 16, v16
	s_waitcnt vmcnt(0)
	v_lshlrev_b32_e32 v16, 16, v19
	v_pk_mul_f32 v[16:17], s[36:37], v[16:17]
	ds_write_b32 v20, v16
	ds_write_b32 v21, v17
	s_andn2_b64 exec, exec, s[42:43]
	s_cbranch_execnz .LBB77_47
; %bb.48:
	s_or_b64 exec, exec, s[42:43]
	v_cmp_ne_u64_e64 s[0:1], v[4:5], v[6:7]
	v_lshlrev_b64 v[12:13], 8, v[6:7]
	s_and_b64 s[42:43], s[0:1], exec
	s_andn2_saveexec_b64 s[0:1], s[40:41]
	s_cbranch_execz .LBB77_45
.LBB77_49:
	v_mov_b64_e32 v[12:13], 0
	s_or_b64 s[42:43], s[42:43], exec
	s_or_b64 exec, exec, s[0:1]
	s_and_b64 exec, exec, s[42:43]
	s_cbranch_execz .LBB77_52
.LBB77_50:
	v_lshl_add_u64 v[2:3], v[12:13], 1, v[2:3]
	v_lshlrev_b32_e32 v6, 2, v12
	v_lshl_add_u64 v[2:3], s[16:17], 0, v[2:3]
	v_lshl_add_u64 v[4:5], v[12:13], 0, v[0:1]
	v_lshl_add_u32 v6, v0, 2, v6
	s_mov_b64 s[40:41], 0
	s_mov_b64 s[42:43], 0x200
	;; [unrolled: 1-line block ×3, first 2 shown]
.LBB77_51:                              ; =>This Inner Loop Header: Depth=1
	global_load_ushort v7, v[2:3], off
	v_lshl_add_u64 v[4:5], v[4:5], 0, s[44:45]
	v_cmp_le_i64_e64 s[0:1], s[4:5], v[4:5]
	v_lshl_add_u64 v[2:3], v[2:3], 0, s[42:43]
	s_or_b64 s[40:41], s[0:1], s[40:41]
	s_waitcnt vmcnt(0)
	v_lshlrev_b32_e32 v7, 16, v7
	v_mul_f32_e32 v7, s36, v7
	ds_write_b32 v6, v7
	v_add_u32_e32 v6, 0x400, v6
	s_andn2_b64 exec, exec, s[40:41]
	s_cbranch_execnz .LBB77_51
.LBB77_52:
	s_or_b64 exec, exec, s[38:39]
	s_andn2_saveexec_b64 s[0:1], s[2:3]
	s_cbranch_execz .LBB77_41
.LBB77_53:
	v_lshl_add_u64 v[2:3], v[10:11], 1, s[16:17]
	global_load_ushort v4, v[2:3], off
	global_load_ushort v5, v[2:3], off offset:512
	global_load_ushort v6, v[2:3], off offset:1024
	;; [unrolled: 1-line block ×3, first 2 shown]
	s_waitcnt vmcnt(3)
	v_lshlrev_b32_e32 v2, 16, v4
	s_waitcnt vmcnt(2)
	v_lshlrev_b32_e32 v3, 16, v5
	;; [unrolled: 2-line block ×4, first 2 shown]
	v_mul_f32_e32 v2, s36, v2
	v_mul_f32_e32 v3, s36, v3
	;; [unrolled: 1-line block ×4, first 2 shown]
	ds_write2st64_b32 v18, v2, v3 offset1:4
	ds_write2st64_b32 v18, v4, v5 offset0:8 offset1:12
	s_or_b64 exec, exec, s[0:1]
	v_cmp_gt_i64_e64 s[0:1], s[6:7], v[0:1]
	s_and_saveexec_b64 s[2:3], s[0:1]
	s_cbranch_execz .LBB77_61
.LBB77_54:
	v_mov_b32_e32 v3, -1
	v_not_b32_e32 v2, v0
	v_lshl_add_u64 v[4:5], s[6:7], 0, v[2:3]
	s_mov_b64 s[0:1], 0xff
	v_cmp_lt_u64_e64 s[0:1], s[0:1], v[4:5]
	s_mov_b64 s[16:17], -1
	v_mov_b64_e32 v[2:3], v[0:1]
	s_and_saveexec_b64 s[4:5], s[0:1]
	s_cbranch_execz .LBB77_58
; %bb.55:
	v_lshrrev_b64 v[2:3], 8, v[4:5]
	v_lshl_add_u64 v[12:13], v[2:3], 0, 1
	v_mov_b32_e32 v3, 0
	v_or_b32_e32 v4, 0x100, v0
	v_mov_b32_e32 v5, v3
	v_and_b32_e32 v14, -2, v12
	v_mov_b32_e32 v15, v13
	v_mov_b32_e32 v2, v0
	v_mov_b64_e32 v[6:7], v[4:5]
	s_mov_b64 s[16:17], 0
	v_mov_b32_e32 v19, 0x1000
	s_mov_b64 s[36:37], 0x200
	v_mov_b64_e32 v[16:17], v[14:15]
	v_mov_b64_e32 v[4:5], v[2:3]
.LBB77_56:                              ; =>This Inner Loop Header: Depth=1
	v_lshl_add_u64 v[16:17], v[16:17], 0, -2
	v_cmp_eq_u64_e64 s[0:1], 0, v[16:17]
	v_lshl_add_u32 v2, v4, 2, v19
	v_lshl_add_u32 v20, v6, 2, v19
	v_lshl_add_u64 v[6:7], v[6:7], 0, s[36:37]
	v_lshl_add_u64 v[4:5], v[4:5], 0, s[36:37]
	s_or_b64 s[16:17], s[0:1], s[16:17]
	ds_write_b32 v2, v3
	ds_write_b32 v20, v3
	s_andn2_b64 exec, exec, s[16:17]
	s_cbranch_execnz .LBB77_56
; %bb.57:
	s_or_b64 exec, exec, s[16:17]
	v_lshlrev_b64 v[2:3], 8, v[14:15]
	v_cmp_ne_u64_e64 s[0:1], v[12:13], v[14:15]
	v_or_b32_e32 v2, v2, v0
	s_orn2_b64 s[16:17], s[0:1], exec
.LBB77_58:
	s_or_b64 exec, exec, s[4:5]
	s_and_b64 exec, exec, s[16:17]
	s_cbranch_execz .LBB77_61
; %bb.59:
	v_mov_b32_e32 v4, 0x1000
	v_lshl_add_u32 v4, v2, 2, v4
	s_mov_b64 s[4:5], 0
	v_mov_b32_e32 v5, 0
	s_mov_b64 s[16:17], 0x100
.LBB77_60:                              ; =>This Inner Loop Header: Depth=1
	v_lshl_add_u64 v[2:3], v[2:3], 0, s[16:17]
	v_cmp_le_i64_e64 s[0:1], s[6:7], v[2:3]
	ds_write_b32 v4, v5
	s_or_b64 s[4:5], s[0:1], s[4:5]
	v_add_u32_e32 v4, 0x400, v4
	s_andn2_b64 exec, exec, s[4:5]
	s_cbranch_execnz .LBB77_60
.LBB77_61:
	s_or_b64 exec, exec, s[2:3]
	s_sub_u32 s2, s22, s6
	v_mov_b64_e32 v[2:3], s[6:7]
	s_subb_u32 s3, s23, s7
	v_cmp_ge_i64_e64 s[0:1], s[22:23], v[2:3]
	s_and_b64 s[0:1], s[0:1], exec
	s_cselect_b32 s5, s3, 0
	s_cselect_b32 s4, s2, 0
	s_waitcnt lgkmcnt(0)
	s_barrier
	s_and_saveexec_b64 s[0:1], vcc
	s_xor_b64 s[16:17], exec, s[0:1]
	s_cbranch_execz .LBB77_75
; %bb.62:
	s_lshl_b64 s[0:1], s[22:23], 3
	s_add_u32 s0, s12, s0
	s_addc_u32 s1, s13, s1
	s_load_dwordx2 s[0:1], s[0:1], 0x0
	s_waitcnt lgkmcnt(0)
	s_sub_u32 s36, s0, s8
	s_subb_u32 s37, s1, s9
	v_cmp_gt_i64_e32 vcc, s[36:37], v[0:1]
	s_and_saveexec_b64 s[38:39], vcc
	s_cbranch_execz .LBB77_74
; %bb.63:
	s_add_u32 s40, s22, -1
	s_addc_u32 s41, s23, -1
	s_add_u32 s2, s22, -2
	s_addc_u32 s3, s23, -1
	s_cmp_lg_u64 s[20:21], s[2:3]
	s_cselect_b64 s[2:3], -1, 0
	s_sub_u32 s42, s0, s28
	v_cndmask_b32_e64 v2, 0, 1, s[2:3]
	s_subb_u32 s43, s1, 0
	s_mov_b64 s[44:45], 0
	v_cmp_ne_u32_e64 s[0:1], 1, v2
	v_mov_b32_e32 v3, 0
	v_mov_b32_e32 v14, 0x1000
	s_mov_b64 s[46:47], 0
	s_branch .LBB77_65
.LBB77_64:                              ;   in Loop: Header=BB77_65 Depth=1
	s_or_b64 exec, exec, s[48:49]
	s_add_u32 s46, s46, 0x100
	s_addc_u32 s47, s47, 0
	v_lshl_add_u64 v[4:5], s[46:47], 0, v[0:1]
	v_cmp_le_i64_e32 vcc, s[36:37], v[4:5]
	s_or_b64 s[44:45], vcc, s[44:45]
	s_andn2_b64 exec, exec, s[44:45]
	s_cbranch_execz .LBB77_74
.LBB77_65:                              ; =>This Loop Header: Depth=1
                                        ;     Child Loop BB77_67 Depth 2
	v_lshl_add_u64 v[4:5], s[46:47], 0, v[10:11]
	s_and_b64 vcc, exec, s[0:1]
	v_mov_b64_e32 v[6:7], s[20:21]
	v_mov_b64_e32 v[8:9], s[40:41]
	s_cbranch_vccnz .LBB77_69
; %bb.66:                               ;   in Loop: Header=BB77_65 Depth=1
	s_mov_b64 s[48:49], 0
	v_mov_b64_e32 v[6:7], s[20:21]
	v_mov_b64_e32 v[8:9], s[40:41]
.LBB77_67:                              ;   Parent Loop BB77_65 Depth=1
                                        ; =>  This Inner Loop Header: Depth=2
	v_lshl_add_u64 v[12:13], v[8:9], 0, v[6:7]
	v_lshrrev_b32_e32 v2, 31, v13
	v_lshl_add_u64 v[12:13], v[12:13], 0, v[2:3]
	v_ashrrev_i64 v[12:13], 1, v[12:13]
	v_lshl_add_u64 v[16:17], v[12:13], 3, s[12:13]
	global_load_dwordx2 v[16:17], v[16:17], off
	s_waitcnt vmcnt(0)
	v_subrev_co_u32_e32 v16, vcc, s28, v16
	s_nop 1
	v_subbrev_co_u32_e32 v17, vcc, 0, v17, vcc
	v_cmp_lt_i64_e32 vcc, v[4:5], v[16:17]
	s_nop 1
	v_cndmask_b32_e32 v9, v9, v13, vcc
	v_cndmask_b32_e32 v8, v8, v12, vcc
	;; [unrolled: 1-line block ×4, first 2 shown]
	v_lshl_add_u64 v[12:13], v[8:9], 0, -1
	v_cmp_ge_i64_e32 vcc, v[6:7], v[8:9]
	v_cmp_eq_u64_e64 s[2:3], v[6:7], v[12:13]
	s_or_b64 s[2:3], vcc, s[2:3]
	s_and_b64 s[2:3], exec, s[2:3]
	s_or_b64 s[48:49], s[2:3], s[48:49]
	s_andn2_b64 exec, exec, s[48:49]
	s_cbranch_execnz .LBB77_67
; %bb.68:                               ;   in Loop: Header=BB77_65 Depth=1
	s_or_b64 exec, exec, s[48:49]
.LBB77_69:                              ;   in Loop: Header=BB77_65 Depth=1
	v_lshl_add_u64 v[12:13], v[8:9], 3, s[12:13]
	global_load_dwordx2 v[12:13], v[12:13], off
	v_lshl_add_u64 v[16:17], v[4:5], 2, s[14:15]
	global_load_dword v2, v[16:17], off
	v_cmp_gt_i64_e64 s[2:3], s[42:43], v[4:5]
	s_waitcnt vmcnt(1)
	v_subrev_co_u32_e32 v16, vcc, s28, v12
	s_nop 1
	v_subbrev_co_u32_e32 v17, vcc, 0, v13, vcc
	s_waitcnt vmcnt(0)
	v_subrev_u32_e32 v12, s28, v2
	v_cmp_lt_i64_e32 vcc, v[4:5], v[16:17]
	v_ashrrev_i32_e32 v13, 31, v12
	s_nop 0
	v_cndmask_b32_e32 v7, v9, v7, vcc
	v_cndmask_b32_e32 v6, v8, v6, vcc
	v_cmp_ne_u64_e32 vcc, v[6:7], v[12:13]
	s_and_b64 s[2:3], vcc, s[2:3]
	s_and_saveexec_b64 s[48:49], s[2:3]
	s_cbranch_execz .LBB77_64
; %bb.70:                               ;   in Loop: Header=BB77_65 Depth=1
	v_lshl_add_u64 v[4:5], s[46:47], 0, v[0:1]
	v_cmp_gt_i64_e32 vcc, s[4:5], v[12:13]
	v_cmp_le_i64_e64 s[2:3], s[22:23], v[12:13]
	s_or_b64 s[2:3], vcc, s[2:3]
	v_lshlrev_b32_e32 v2, 2, v4
	v_lshl_add_u64 v[4:5], v[6:7], 1, s[18:19]
	s_and_saveexec_b64 s[50:51], s[2:3]
	s_xor_b64 s[2:3], exec, s[50:51]
	s_cbranch_execz .LBB77_72
; %bb.71:                               ;   in Loop: Header=BB77_65 Depth=1
	global_load_ushort v6, v[4:5], off
	ds_read_b32 v2, v2
	v_lshl_add_u64 v[4:5], v[12:13], 2, s[24:25]
                                        ; implicit-def: $vgpr12_vgpr13
	s_waitcnt vmcnt(0)
	v_lshlrev_b32_e32 v6, 16, v6
	s_waitcnt lgkmcnt(0)
	v_mul_f32_e32 v2, v2, v6
	global_atomic_add_f32 v[4:5], v2, off
                                        ; implicit-def: $vgpr2
                                        ; implicit-def: $vgpr4_vgpr5
.LBB77_72:                              ;   in Loop: Header=BB77_65 Depth=1
	s_andn2_saveexec_b64 s[2:3], s[2:3]
	s_cbranch_execz .LBB77_64
; %bb.73:                               ;   in Loop: Header=BB77_65 Depth=1
	global_load_ushort v4, v[4:5], off
	ds_read_b32 v2, v2
	v_subrev_u32_e32 v5, s4, v12
	v_lshl_add_u32 v5, v5, 2, v14
	s_waitcnt vmcnt(0)
	v_lshlrev_b32_e32 v4, 16, v4
	s_waitcnt lgkmcnt(0)
	v_mul_f32_e32 v2, v2, v4
	ds_add_f32 v5, v2
	s_branch .LBB77_64
.LBB77_74:
	s_or_b64 exec, exec, s[38:39]
                                        ; implicit-def: $vgpr8_vgpr9
                                        ; implicit-def: $vgpr10_vgpr11
.LBB77_75:
	s_andn2_saveexec_b64 s[16:17], s[16:17]
	s_cbranch_execz .LBB77_117
; %bb.76:
	s_add_u32 s36, s22, -1
	s_addc_u32 s37, s23, -1
	s_add_u32 s0, s22, -2
	s_addc_u32 s1, s23, -1
	s_cmp_lg_u64 s[20:21], s[0:1]
	s_cselect_b64 s[2:3], -1, 0
	s_cmp_eq_u64 s[20:21], s[0:1]
	v_mov_b64_e32 v[4:5], s[20:21]
	v_mov_b64_e32 v[6:7], s[36:37]
	s_cbranch_scc1 .LBB77_80
; %bb.77:
	s_mov_b64 s[38:39], 0
	v_mov_b64_e32 v[4:5], s[20:21]
	v_mov_b64_e32 v[6:7], s[36:37]
	v_mov_b32_e32 v3, 0
.LBB77_78:                              ; =>This Inner Loop Header: Depth=1
	v_lshl_add_u64 v[12:13], v[6:7], 0, v[4:5]
	v_lshrrev_b32_e32 v2, 31, v13
	v_lshl_add_u64 v[12:13], v[12:13], 0, v[2:3]
	v_ashrrev_i64 v[12:13], 1, v[12:13]
	v_lshl_add_u64 v[14:15], v[12:13], 3, s[12:13]
	global_load_dwordx2 v[14:15], v[14:15], off
	s_waitcnt vmcnt(0)
	v_subrev_co_u32_e32 v14, vcc, s28, v14
	s_nop 1
	v_subbrev_co_u32_e32 v15, vcc, 0, v15, vcc
	v_cmp_lt_i64_e32 vcc, v[10:11], v[14:15]
	s_nop 1
	v_cndmask_b32_e32 v7, v7, v13, vcc
	v_cndmask_b32_e32 v6, v6, v12, vcc
	;; [unrolled: 1-line block ×4, first 2 shown]
	v_lshl_add_u64 v[12:13], v[6:7], 0, -1
	v_cmp_ge_i64_e32 vcc, v[4:5], v[6:7]
	v_cmp_eq_u64_e64 s[0:1], v[4:5], v[12:13]
	s_or_b64 s[0:1], vcc, s[0:1]
	s_and_b64 s[0:1], exec, s[0:1]
	s_or_b64 s[38:39], s[0:1], s[38:39]
	s_andn2_b64 exec, exec, s[38:39]
	s_cbranch_execnz .LBB77_78
; %bb.79:
	s_or_b64 exec, exec, s[38:39]
.LBB77_80:
	v_lshl_add_u64 v[2:3], v[6:7], 3, s[12:13]
	global_load_dwordx2 v[12:13], v[2:3], off
	v_lshl_add_u64 v[2:3], v[10:11], 2, s[14:15]
	global_load_dword v16, v[2:3], off
	s_lshl_b64 s[0:1], s[22:23], 3
	s_add_u32 s14, s12, s0
	s_addc_u32 s15, s13, s1
	s_waitcnt vmcnt(1)
	v_subrev_co_u32_e32 v14, vcc, s28, v12
	s_nop 1
	v_subbrev_co_u32_e32 v15, vcc, 0, v13, vcc
	s_waitcnt vmcnt(0)
	v_subrev_u32_e32 v12, s28, v16
	v_cmp_lt_i64_e32 vcc, v[10:11], v[14:15]
	v_ashrrev_i32_e32 v13, 31, v12
	s_nop 0
	v_cndmask_b32_e32 v5, v7, v5, vcc
	v_cndmask_b32_e32 v4, v6, v4, vcc
	v_cmp_ne_u64_e32 vcc, v[4:5], v[12:13]
	s_and_saveexec_b64 s[38:39], vcc
	s_cbranch_execz .LBB77_86
; %bb.81:
	s_load_dwordx2 s[0:1], s[14:15], 0x0
	s_waitcnt lgkmcnt(0)
	s_sub_u32 s0, s0, s28
	s_subb_u32 s1, s1, 0
	v_cmp_gt_i64_e32 vcc, s[0:1], v[10:11]
	s_and_b64 exec, exec, vcc
	s_cbranch_execz .LBB77_86
; %bb.82:
	v_cmp_gt_i64_e32 vcc, s[4:5], v[12:13]
	v_cmp_le_i64_e64 s[0:1], s[22:23], v[12:13]
	s_or_b64 s[0:1], vcc, s[0:1]
	v_lshl_add_u64 v[4:5], v[4:5], 1, s[18:19]
	s_and_saveexec_b64 s[40:41], s[0:1]
	s_xor_b64 s[0:1], exec, s[40:41]
	s_cbranch_execz .LBB77_84
; %bb.83:
	global_load_ushort v6, v[4:5], off
	ds_read_b32 v7, v18
	v_lshl_add_u64 v[4:5], v[12:13], 2, s[24:25]
                                        ; implicit-def: $vgpr12_vgpr13
	s_waitcnt vmcnt(0)
	v_lshlrev_b32_e32 v6, 16, v6
	s_waitcnt lgkmcnt(0)
	v_mul_f32_e32 v6, v7, v6
	global_atomic_add_f32 v[4:5], v6, off
                                        ; implicit-def: $vgpr4_vgpr5
.LBB77_84:
	s_andn2_saveexec_b64 s[0:1], s[0:1]
	s_cbranch_execz .LBB77_86
; %bb.85:
	global_load_ushort v4, v[4:5], off
	ds_read_b32 v5, v18
	v_subrev_u32_e32 v6, s4, v12
	v_mov_b32_e32 v7, 0x1000
	v_lshl_add_u32 v6, v6, 2, v7
	s_waitcnt vmcnt(0)
	v_lshlrev_b32_e32 v4, 16, v4
	s_waitcnt lgkmcnt(0)
	v_mul_f32_e32 v4, v5, v4
	ds_add_f32 v6, v4
.LBB77_86:
	s_or_b64 exec, exec, s[38:39]
	s_mov_b64 s[0:1], 0x100
	v_cndmask_b32_e64 v6, 0, 1, s[2:3]
	v_lshl_add_u64 v[4:5], v[10:11], 0, s[0:1]
	v_cmp_ne_u32_e64 s[0:1], 1, v6
	s_andn2_b64 vcc, exec, s[2:3]
	v_mov_b64_e32 v[6:7], s[20:21]
	v_mov_b64_e32 v[12:13], s[36:37]
	s_cbranch_vccnz .LBB77_90
; %bb.87:
	s_mov_b64 s[38:39], 0
	v_mov_b64_e32 v[6:7], s[20:21]
	v_mov_b64_e32 v[12:13], s[36:37]
	v_mov_b32_e32 v15, 0
.LBB77_88:                              ; =>This Inner Loop Header: Depth=1
	v_lshl_add_u64 v[16:17], v[12:13], 0, v[6:7]
	v_lshrrev_b32_e32 v14, 31, v17
	v_lshl_add_u64 v[16:17], v[16:17], 0, v[14:15]
	v_ashrrev_i64 v[16:17], 1, v[16:17]
	v_lshl_add_u64 v[20:21], v[16:17], 3, s[12:13]
	global_load_dwordx2 v[20:21], v[20:21], off
	s_waitcnt vmcnt(0)
	v_subrev_co_u32_e32 v20, vcc, s28, v20
	s_nop 1
	v_subbrev_co_u32_e32 v21, vcc, 0, v21, vcc
	v_cmp_lt_i64_e32 vcc, v[4:5], v[20:21]
	s_nop 1
	v_cndmask_b32_e32 v13, v13, v17, vcc
	v_cndmask_b32_e32 v12, v12, v16, vcc
	;; [unrolled: 1-line block ×4, first 2 shown]
	v_lshl_add_u64 v[16:17], v[12:13], 0, -1
	v_cmp_ge_i64_e32 vcc, v[6:7], v[12:13]
	v_cmp_eq_u64_e64 s[2:3], v[6:7], v[16:17]
	s_or_b64 s[2:3], vcc, s[2:3]
	s_and_b64 s[2:3], exec, s[2:3]
	s_or_b64 s[38:39], s[2:3], s[38:39]
	s_andn2_b64 exec, exec, s[38:39]
	s_cbranch_execnz .LBB77_88
; %bb.89:
	s_or_b64 exec, exec, s[38:39]
.LBB77_90:
	v_lshl_add_u64 v[14:15], v[12:13], 3, s[12:13]
	global_load_dwordx2 v[16:17], v[14:15], off
	global_load_dword v19, v[2:3], off offset:1024
	s_waitcnt vmcnt(1)
	v_subrev_co_u32_e32 v16, vcc, s28, v16
	s_nop 1
	v_subbrev_co_u32_e32 v17, vcc, 0, v17, vcc
	s_waitcnt vmcnt(0)
	v_subrev_u32_e32 v14, s28, v19
	v_cmp_lt_i64_e32 vcc, v[4:5], v[16:17]
	v_ashrrev_i32_e32 v15, 31, v14
	s_nop 0
	v_cndmask_b32_e32 v7, v13, v7, vcc
	v_cndmask_b32_e32 v6, v12, v6, vcc
	v_cmp_ne_u64_e32 vcc, v[6:7], v[14:15]
	s_and_saveexec_b64 s[38:39], vcc
	s_cbranch_execz .LBB77_96
; %bb.91:
	s_load_dwordx2 s[2:3], s[14:15], 0x0
	s_waitcnt lgkmcnt(0)
	s_sub_u32 s2, s2, s28
	s_subb_u32 s3, s3, 0
	v_cmp_gt_i64_e32 vcc, s[2:3], v[4:5]
	s_and_b64 exec, exec, vcc
	s_cbranch_execz .LBB77_96
; %bb.92:
	v_cmp_gt_i64_e32 vcc, s[4:5], v[14:15]
	v_cmp_le_i64_e64 s[2:3], s[22:23], v[14:15]
	s_or_b64 s[2:3], vcc, s[2:3]
	v_lshl_add_u64 v[4:5], v[6:7], 1, s[18:19]
	s_and_saveexec_b64 s[40:41], s[2:3]
	s_xor_b64 s[2:3], exec, s[40:41]
	s_cbranch_execz .LBB77_94
; %bb.93:
	global_load_ushort v6, v[4:5], off
	ds_read_b32 v7, v18 offset:1024
	v_lshl_add_u64 v[4:5], v[14:15], 2, s[24:25]
                                        ; implicit-def: $vgpr14_vgpr15
	s_waitcnt vmcnt(0)
	v_lshlrev_b32_e32 v6, 16, v6
	s_waitcnt lgkmcnt(0)
	v_mul_f32_e32 v6, v7, v6
	global_atomic_add_f32 v[4:5], v6, off
                                        ; implicit-def: $vgpr4_vgpr5
.LBB77_94:
	s_andn2_saveexec_b64 s[2:3], s[2:3]
	s_cbranch_execz .LBB77_96
; %bb.95:
	global_load_ushort v4, v[4:5], off
	ds_read_b32 v5, v18 offset:1024
	v_subrev_u32_e32 v6, s4, v14
	v_mov_b32_e32 v7, 0x1000
	v_lshl_add_u32 v6, v6, 2, v7
	s_waitcnt vmcnt(0)
	v_lshlrev_b32_e32 v4, 16, v4
	s_waitcnt lgkmcnt(0)
	v_mul_f32_e32 v4, v5, v4
	ds_add_f32 v6, v4
.LBB77_96:
	s_or_b64 exec, exec, s[38:39]
	s_mov_b64 s[2:3], 0x200
	v_lshl_add_u64 v[4:5], v[10:11], 0, s[2:3]
	s_and_b64 vcc, exec, s[0:1]
	v_mov_b64_e32 v[6:7], s[20:21]
	v_mov_b64_e32 v[10:11], s[36:37]
	s_cbranch_vccnz .LBB77_100
; %bb.97:
	s_mov_b64 s[38:39], 0
	v_mov_b64_e32 v[6:7], s[20:21]
	v_mov_b64_e32 v[10:11], s[36:37]
	v_mov_b32_e32 v13, 0
.LBB77_98:                              ; =>This Inner Loop Header: Depth=1
	v_lshl_add_u64 v[14:15], v[10:11], 0, v[6:7]
	v_lshrrev_b32_e32 v12, 31, v15
	v_lshl_add_u64 v[14:15], v[14:15], 0, v[12:13]
	v_ashrrev_i64 v[14:15], 1, v[14:15]
	v_lshl_add_u64 v[16:17], v[14:15], 3, s[12:13]
	global_load_dwordx2 v[16:17], v[16:17], off
	s_waitcnt vmcnt(0)
	v_subrev_co_u32_e32 v16, vcc, s28, v16
	s_nop 1
	v_subbrev_co_u32_e32 v17, vcc, 0, v17, vcc
	v_cmp_lt_i64_e32 vcc, v[4:5], v[16:17]
	s_nop 1
	v_cndmask_b32_e32 v11, v11, v15, vcc
	v_cndmask_b32_e32 v10, v10, v14, vcc
	;; [unrolled: 1-line block ×4, first 2 shown]
	v_lshl_add_u64 v[14:15], v[10:11], 0, -1
	v_cmp_ge_i64_e32 vcc, v[6:7], v[10:11]
	v_cmp_eq_u64_e64 s[2:3], v[6:7], v[14:15]
	s_or_b64 s[2:3], vcc, s[2:3]
	s_and_b64 s[2:3], exec, s[2:3]
	s_or_b64 s[38:39], s[2:3], s[38:39]
	s_andn2_b64 exec, exec, s[38:39]
	s_cbranch_execnz .LBB77_98
; %bb.99:
	s_or_b64 exec, exec, s[38:39]
.LBB77_100:
	v_lshl_add_u64 v[12:13], v[10:11], 3, s[12:13]
	global_load_dwordx2 v[14:15], v[12:13], off
	global_load_dword v16, v[2:3], off offset:2048
	s_waitcnt vmcnt(1)
	v_subrev_co_u32_e32 v14, vcc, s28, v14
	s_nop 1
	v_subbrev_co_u32_e32 v15, vcc, 0, v15, vcc
	s_waitcnt vmcnt(0)
	v_subrev_u32_e32 v12, s28, v16
	v_cmp_lt_i64_e32 vcc, v[4:5], v[14:15]
	v_ashrrev_i32_e32 v13, 31, v12
	s_nop 0
	v_cndmask_b32_e32 v7, v11, v7, vcc
	v_cndmask_b32_e32 v6, v10, v6, vcc
	v_cmp_ne_u64_e32 vcc, v[6:7], v[12:13]
	s_and_saveexec_b64 s[38:39], vcc
	s_cbranch_execz .LBB77_106
; %bb.101:
	s_load_dwordx2 s[2:3], s[14:15], 0x0
	s_waitcnt lgkmcnt(0)
	s_sub_u32 s2, s2, s28
	s_subb_u32 s3, s3, 0
	v_cmp_gt_i64_e32 vcc, s[2:3], v[4:5]
	s_and_b64 exec, exec, vcc
	s_cbranch_execz .LBB77_106
; %bb.102:
	v_cmp_gt_i64_e32 vcc, s[4:5], v[12:13]
	v_cmp_le_i64_e64 s[2:3], s[22:23], v[12:13]
	s_or_b64 s[2:3], vcc, s[2:3]
	v_lshl_add_u64 v[4:5], v[6:7], 1, s[18:19]
	s_and_saveexec_b64 s[40:41], s[2:3]
	s_xor_b64 s[2:3], exec, s[40:41]
	s_cbranch_execz .LBB77_104
; %bb.103:
	global_load_ushort v6, v[4:5], off
	ds_read_b32 v7, v18 offset:2048
	v_lshl_add_u64 v[4:5], v[12:13], 2, s[24:25]
                                        ; implicit-def: $vgpr12_vgpr13
	s_waitcnt vmcnt(0)
	v_lshlrev_b32_e32 v6, 16, v6
	s_waitcnt lgkmcnt(0)
	v_mul_f32_e32 v6, v7, v6
	global_atomic_add_f32 v[4:5], v6, off
                                        ; implicit-def: $vgpr4_vgpr5
.LBB77_104:
	s_andn2_saveexec_b64 s[2:3], s[2:3]
	s_cbranch_execz .LBB77_106
; %bb.105:
	global_load_ushort v4, v[4:5], off
	ds_read_b32 v5, v18 offset:2048
	v_subrev_u32_e32 v6, s4, v12
	v_mov_b32_e32 v7, 0x1000
	v_lshl_add_u32 v6, v6, 2, v7
	s_waitcnt vmcnt(0)
	v_lshlrev_b32_e32 v4, 16, v4
	s_waitcnt lgkmcnt(0)
	v_mul_f32_e32 v4, v5, v4
	ds_add_f32 v6, v4
.LBB77_106:
	s_or_b64 exec, exec, s[38:39]
	s_and_b64 vcc, exec, s[0:1]
	v_mov_b64_e32 v[4:5], s[20:21]
	v_mov_b64_e32 v[6:7], s[36:37]
	s_cbranch_vccnz .LBB77_110
; %bb.107:
	s_mov_b64 s[2:3], 0
	v_mov_b64_e32 v[4:5], s[20:21]
	v_mov_b64_e32 v[6:7], s[36:37]
	v_mov_b32_e32 v11, 0
.LBB77_108:                             ; =>This Inner Loop Header: Depth=1
	v_lshl_add_u64 v[12:13], v[6:7], 0, v[4:5]
	v_lshrrev_b32_e32 v10, 31, v13
	v_lshl_add_u64 v[12:13], v[12:13], 0, v[10:11]
	v_ashrrev_i64 v[12:13], 1, v[12:13]
	v_lshl_add_u64 v[14:15], v[12:13], 3, s[12:13]
	global_load_dwordx2 v[14:15], v[14:15], off
	s_waitcnt vmcnt(0)
	v_subrev_co_u32_e32 v14, vcc, s28, v14
	s_nop 1
	v_subbrev_co_u32_e32 v15, vcc, 0, v15, vcc
	v_cmp_lt_i64_e32 vcc, v[8:9], v[14:15]
	s_nop 1
	v_cndmask_b32_e32 v7, v7, v13, vcc
	v_cndmask_b32_e32 v6, v6, v12, vcc
	;; [unrolled: 1-line block ×4, first 2 shown]
	v_lshl_add_u64 v[12:13], v[6:7], 0, -1
	v_cmp_ge_i64_e32 vcc, v[4:5], v[6:7]
	v_cmp_eq_u64_e64 s[0:1], v[4:5], v[12:13]
	s_or_b64 s[0:1], vcc, s[0:1]
	s_and_b64 s[0:1], exec, s[0:1]
	s_or_b64 s[2:3], s[0:1], s[2:3]
	s_andn2_b64 exec, exec, s[2:3]
	s_cbranch_execnz .LBB77_108
; %bb.109:
	s_or_b64 exec, exec, s[2:3]
.LBB77_110:
	global_load_dword v12, v[2:3], off offset:3072
	v_lshl_add_u64 v[2:3], v[6:7], 3, s[12:13]
	global_load_dwordx2 v[10:11], v[2:3], off
	s_waitcnt vmcnt(1)
	v_subrev_u32_e32 v2, s28, v12
	v_ashrrev_i32_e32 v3, 31, v2
	s_waitcnt vmcnt(0)
	v_subrev_co_u32_e32 v10, vcc, s28, v10
	s_nop 1
	v_subbrev_co_u32_e32 v11, vcc, 0, v11, vcc
	v_cmp_lt_i64_e32 vcc, v[8:9], v[10:11]
	s_nop 1
	v_cndmask_b32_e32 v5, v7, v5, vcc
	v_cndmask_b32_e32 v4, v6, v4, vcc
	v_cmp_ne_u64_e32 vcc, v[4:5], v[2:3]
	s_and_saveexec_b64 s[2:3], vcc
	s_cbranch_execz .LBB77_116
; %bb.111:
	s_load_dwordx2 s[0:1], s[14:15], 0x0
	s_waitcnt lgkmcnt(0)
	s_sub_u32 s0, s0, s28
	s_subb_u32 s1, s1, 0
	v_cmp_gt_i64_e32 vcc, s[0:1], v[8:9]
	s_and_b64 exec, exec, vcc
	s_cbranch_execz .LBB77_116
; %bb.112:
	v_cmp_gt_i64_e32 vcc, s[4:5], v[2:3]
	v_cmp_le_i64_e64 s[0:1], s[22:23], v[2:3]
	s_or_b64 s[0:1], vcc, s[0:1]
	v_lshl_add_u64 v[4:5], v[4:5], 1, s[18:19]
	s_and_saveexec_b64 s[14:15], s[0:1]
	s_xor_b64 s[0:1], exec, s[14:15]
	s_cbranch_execz .LBB77_114
; %bb.113:
	global_load_ushort v4, v[4:5], off
	ds_read_b32 v5, v18 offset:3072
	v_lshl_add_u64 v[2:3], v[2:3], 2, s[24:25]
	s_waitcnt vmcnt(0)
	v_lshlrev_b32_e32 v4, 16, v4
	s_waitcnt lgkmcnt(0)
	v_mul_f32_e32 v4, v5, v4
	global_atomic_add_f32 v[2:3], v4, off
                                        ; implicit-def: $vgpr2_vgpr3
                                        ; implicit-def: $vgpr4_vgpr5
.LBB77_114:
	s_andn2_saveexec_b64 s[0:1], s[0:1]
	s_cbranch_execz .LBB77_116
; %bb.115:
	global_load_ushort v3, v[4:5], off
	ds_read_b32 v4, v18 offset:3072
	v_subrev_u32_e32 v2, s4, v2
	v_mov_b32_e32 v5, 0x1000
	v_lshl_add_u32 v2, v2, 2, v5
	s_waitcnt vmcnt(0)
	v_lshlrev_b32_e32 v3, 16, v3
	s_waitcnt lgkmcnt(0)
	v_mul_f32_e32 v3, v4, v3
	ds_add_f32 v2, v3
.LBB77_116:
	s_or_b64 exec, exec, s[2:3]
.LBB77_117:
	s_or_b64 exec, exec, s[16:17]
	v_mov_b64_e32 v[2:3], s[6:7]
	v_cmp_lt_i64_e32 vcc, s[22:23], v[2:3]
	s_and_b64 s[0:1], vcc, exec
	s_cselect_b32 s16, s22, s6
	s_cselect_b32 s0, s23, s7
	s_sub_u32 s2, s16, s26
	s_subb_u32 s3, s0, s27
	v_cmp_gt_i64_e32 vcc, s[2:3], v[0:1]
	s_waitcnt lgkmcnt(0)
	s_barrier
	s_and_saveexec_b64 s[0:1], vcc
	s_cbranch_execz .LBB77_120
; %bb.118:
	v_mov_b64_e32 v[2:3], s[6:7]
	v_cmp_gt_i64_e32 vcc, s[22:23], v[2:3]
	s_and_b64 s[4:5], vcc, exec
	s_cselect_b32 s5, s23, s7
	s_cselect_b32 s4, s22, s6
	v_lshlrev_b32_e32 v2, 2, v0
	v_mov_b32_e32 v3, 0
	v_lshl_add_u64 v[2:3], s[4:5], 2, v[2:3]
	s_lshl_b64 s[4:5], s[6:7], 2
	v_mov_b32_e32 v4, s5
	v_subrev_co_u32_e32 v2, vcc, s4, v2
	s_mov_b64 s[4:5], 0
	s_nop 0
	v_subb_co_u32_e32 v3, vcc, v3, v4, vcc
	v_mov_b32_e32 v4, 0x1000
	v_lshl_add_u64 v[2:3], s[24:25], 0, v[2:3]
	v_lshl_add_u32 v6, v0, 2, v4
	s_mov_b64 s[6:7], 0x100
	s_mov_b64 s[14:15], 0x400
	v_mov_b64_e32 v[4:5], v[0:1]
.LBB77_119:                             ; =>This Inner Loop Header: Depth=1
	ds_read_b32 v7, v6
	v_lshl_add_u64 v[4:5], v[4:5], 0, s[6:7]
	v_cmp_le_i64_e32 vcc, s[2:3], v[4:5]
	v_add_u32_e32 v6, 0x400, v6
	s_or_b64 s[4:5], vcc, s[4:5]
	s_waitcnt lgkmcnt(0)
	global_atomic_add_f32 v[2:3], v7, off
	v_lshl_add_u64 v[2:3], v[2:3], 0, s[14:15]
	s_andn2_b64 exec, exec, s[4:5]
	s_cbranch_execnz .LBB77_119
.LBB77_120:
	s_or_b64 exec, exec, s[0:1]
	s_add_i32 s0, s34, -1
	s_ashr_i32 s1, s0, 1
	s_or_b32 s0, s1, s0
	s_ashr_i32 s1, s0, 2
	s_or_b32 s0, s1, s0
	;; [unrolled: 2-line block ×5, first 2 shown]
	s_add_i32 s0, s0, 1
	s_ashr_i32 s3, s0, 1
	v_lshl_add_u64 v[6:7], s[20:21], 0, v[0:1]
	s_cmp_gt_i32 s3, 1
	s_mov_b64 s[0:1], -1
	s_barrier
	s_cbranch_scc1 .LBB77_129
; %bb.121:
	v_cmp_gt_i64_e32 vcc, s[22:23], v[6:7]
	s_and_saveexec_b64 s[0:1], vcc
	s_cbranch_execz .LBB77_128
; %bb.122:
	s_sub_i32 s4, s16, s22
	s_lshl_b32 s4, s4, 2
	s_add_i32 s16, s4, 0x1000
	s_lshl_b32 s4, s8, 2
	s_sub_i32 s17, 0, s4
	s_mov_b64 s[4:5], 0
	v_mov_b64_e32 v[8:9], v[6:7]
	s_branch .LBB77_124
.LBB77_123:                             ;   in Loop: Header=BB77_124 Depth=1
	s_or_b64 exec, exec, s[6:7]
	v_lshl_add_u32 v2, v8, 2, s16
	ds_read_b32 v2, v2
	s_waitcnt lgkmcnt(0)
	v_add_f32_e32 v4, v12, v2
	v_lshl_add_u64 v[2:3], v[8:9], 2, s[24:25]
	global_atomic_add_f32 v[2:3], v4, off
	v_lshl_add_u64 v[8:9], v[8:9], 0, s[30:31]
	v_cmp_le_i64_e32 vcc, s[22:23], v[8:9]
	s_or_b64 s[4:5], vcc, s[4:5]
	s_andn2_b64 exec, exec, s[4:5]
	s_cbranch_execz .LBB77_128
.LBB77_124:                             ; =>This Loop Header: Depth=1
                                        ;     Child Loop BB77_126 Depth 2
	v_lshl_add_u64 v[2:3], v[8:9], 3, s[12:13]
	global_load_dwordx4 v[2:5], v[2:3], off
	v_mov_b32_e32 v12, 0
	s_waitcnt vmcnt(0)
	v_cmp_lt_i64_e32 vcc, v[2:3], v[4:5]
	s_and_saveexec_b64 s[6:7], vcc
	s_cbranch_execz .LBB77_123
; %bb.125:                              ;   in Loop: Header=BB77_124 Depth=1
	v_mov_b32_e32 v10, s9
	v_subrev_co_u32_e32 v4, vcc, s8, v4
	v_mov_b32_e32 v11, s9
	s_nop 0
	v_subb_co_u32_e32 v5, vcc, v5, v10, vcc
	v_subrev_co_u32_e32 v10, vcc, s8, v2
	v_lshl_add_u32 v2, v2, 2, s17
	s_nop 0
	v_subb_co_u32_e32 v11, vcc, v3, v11, vcc
	v_mov_b32_e32 v12, 0
	s_mov_b64 s[14:15], 0
.LBB77_126:                             ;   Parent Loop BB77_124 Depth=1
                                        ; =>  This Inner Loop Header: Depth=2
	ds_read_b32 v3, v2
	v_lshl_add_u64 v[10:11], v[10:11], 0, 1
	v_cmp_ge_i64_e32 vcc, v[10:11], v[4:5]
	v_add_u32_e32 v2, 4, v2
	s_or_b64 s[14:15], vcc, s[14:15]
	s_waitcnt lgkmcnt(0)
	v_add_f32_e32 v12, v12, v3
	s_andn2_b64 exec, exec, s[14:15]
	s_cbranch_execnz .LBB77_126
; %bb.127:                              ;   in Loop: Header=BB77_124 Depth=1
	s_or_b64 exec, exec, s[14:15]
	s_branch .LBB77_123
.LBB77_128:
	s_or_b64 exec, exec, s[0:1]
	s_mov_b64 s[0:1], 0
.LBB77_129:
	s_andn2_b64 vcc, exec, s[0:1]
	s_cbranch_vccnz .LBB77_146
; %bb.130:
	v_cvt_f32_u32_e32 v2, s3
	s_sub_i32 s12, 0, s3
	v_mov_b32_e32 v5, 0
	v_mov_b32_e32 v13, s9
	v_rcp_iflag_f32_e32 v2, v2
	s_nop 0
	v_mul_f32_e32 v2, 0x4f7ffffe, v2
	v_cvt_u32_f32_e32 v2, v2
	v_mul_lo_u32 v3, s12, v2
	v_mul_hi_u32 v3, v2, v3
	v_add_u32_e32 v2, v2, v3
	v_mul_hi_u32 v2, v0, v2
	v_mul_lo_u32 v3, v2, s3
	v_sub_u32_e32 v3, v0, v3
	v_add_u32_e32 v4, 1, v2
	v_cmp_le_u32_e32 vcc, s3, v3
	s_nop 1
	v_cndmask_b32_e32 v2, v2, v4, vcc
	v_subrev_u32_e32 v4, s3, v3
	v_cndmask_b32_e32 v3, v3, v4, vcc
	v_add_u32_e32 v4, 1, v2
	v_cmp_le_u32_e32 vcc, s3, v3
	s_nop 1
	v_cndmask_b32_e32 v4, v2, v4, vcc
	v_lshl_add_u64 v[2:3], v[4:5], 3, s[10:11]
	global_load_dwordx4 v[8:11], v[2:3], off
	v_mov_b32_e32 v3, s9
	s_waitcnt vmcnt(0)
	v_subrev_co_u32_e32 v2, vcc, s8, v8
	s_nop 1
	v_subb_co_u32_e32 v3, vcc, v9, v3, vcc
	v_subrev_co_u32_e32 v12, vcc, s8, v10
	v_mov_b32_e32 v10, v5
	s_nop 0
	v_subb_co_u32_e32 v13, vcc, v11, v13, vcc
	v_sub_co_u32_e32 v8, vcc, v12, v2
	s_nop 1
	v_subb_co_u32_e32 v9, vcc, v13, v3, vcc
	v_mov_b32_e32 v11, v9
	v_cmp_ne_u64_e32 vcc, 0, v[10:11]
                                        ; implicit-def: $vgpr10_vgpr11
	s_and_saveexec_b64 s[0:1], vcc
	s_xor_b64 s[4:5], exec, s[0:1]
	s_cbranch_execz .LBB77_132
; %bb.131:
	s_add_u32 s0, s3, 0
	s_addc_u32 s1, 0, 0
	s_xor_b64 s[6:7], s[0:1], 0
	v_cvt_f32_u32_e32 v10, s6
	v_cvt_f32_u32_e32 v11, s7
	s_sub_u32 s8, 0, s6
	s_subb_u32 s9, 0, s7
	v_ashrrev_i32_e32 v14, 31, v9
	v_fmamk_f32 v10, v11, 0x4f800000, v10
	v_rcp_f32_e32 v10, v10
	v_mov_b32_e32 v15, v14
	v_lshl_add_u64 v[8:9], v[8:9], 0, v[14:15]
	v_xor_b32_e32 v19, v8, v14
	v_mul_f32_e32 v10, 0x5f7ffffc, v10
	v_mul_f32_e32 v11, 0x2f800000, v10
	v_trunc_f32_e32 v11, v11
	v_fmamk_f32 v10, v11, 0xcf800000, v10
	v_cvt_u32_f32_e32 v11, v11
	v_cvt_u32_f32_e32 v10, v10
	v_xor_b32_e32 v15, v9, v14
	v_readfirstlane_b32 s10, v11
	v_readfirstlane_b32 s0, v10
	s_mul_i32 s1, s8, s10
	s_mul_hi_u32 s13, s8, s0
	s_mul_i32 s11, s9, s0
	s_add_i32 s1, s13, s1
	s_mul_i32 s14, s8, s0
	s_add_i32 s1, s1, s11
	s_mul_i32 s13, s0, s1
	s_mul_hi_u32 s15, s0, s14
	s_mul_hi_u32 s11, s0, s1
	s_add_u32 s13, s15, s13
	s_addc_u32 s11, 0, s11
	s_mul_hi_u32 s16, s10, s14
	s_mul_i32 s14, s10, s14
	s_add_u32 s13, s13, s14
	s_mul_hi_u32 s15, s10, s1
	s_addc_u32 s11, s11, s16
	s_addc_u32 s13, s15, 0
	s_mul_i32 s1, s10, s1
	s_add_u32 s1, s11, s1
	s_addc_u32 s11, 0, s13
	s_add_u32 s13, s0, s1
	s_cselect_b64 s[0:1], -1, 0
	s_cmp_lg_u64 s[0:1], 0
	s_addc_u32 s10, s10, s11
	s_mul_i32 s0, s8, s10
	s_mul_hi_u32 s1, s8, s13
	s_add_i32 s0, s1, s0
	s_mul_i32 s9, s9, s13
	s_add_i32 s0, s0, s9
	s_mul_i32 s8, s8, s13
	s_mul_hi_u32 s9, s10, s8
	s_mul_i32 s11, s10, s8
	s_mul_i32 s15, s13, s0
	s_mul_hi_u32 s8, s13, s8
	s_mul_hi_u32 s14, s13, s0
	s_add_u32 s8, s8, s15
	s_addc_u32 s14, 0, s14
	s_add_u32 s8, s8, s11
	s_mul_hi_u32 s1, s10, s0
	s_addc_u32 s8, s14, s9
	s_addc_u32 s1, s1, 0
	s_mul_i32 s0, s10, s0
	s_add_u32 s0, s8, s0
	s_addc_u32 s8, 0, s1
	s_add_u32 s9, s13, s0
	s_cselect_b64 s[0:1], -1, 0
	s_cmp_lg_u64 s[0:1], 0
	s_addc_u32 s8, s10, s8
	v_mad_u64_u32 v[8:9], s[0:1], v19, s8, 0
	v_mul_hi_u32 v10, v19, s9
	v_mov_b32_e32 v11, v5
	v_lshl_add_u64 v[8:9], v[10:11], 0, v[8:9]
	v_mad_u64_u32 v[16:17], s[0:1], v15, s9, 0
	v_add_co_u32_e32 v8, vcc, v8, v16
	v_mad_u64_u32 v[10:11], s[0:1], v15, s8, 0
	s_nop 0
	v_addc_co_u32_e32 v8, vcc, v9, v17, vcc
	v_mov_b32_e32 v9, v5
	s_nop 0
	v_addc_co_u32_e32 v11, vcc, 0, v11, vcc
	v_lshl_add_u64 v[8:9], v[8:9], 0, v[10:11]
	v_mul_lo_u32 v16, s7, v8
	v_mul_lo_u32 v17, s6, v9
	v_mad_u64_u32 v[10:11], s[0:1], s6, v8, 0
	v_add3_u32 v20, v11, v17, v16
	v_sub_u32_e32 v11, v15, v20
	v_mov_b32_e32 v16, s7
	v_sub_co_u32_e32 v19, vcc, v19, v10
	s_nop 1
	v_subb_co_u32_e64 v10, s[0:1], v11, v16, vcc
	v_subrev_co_u32_e64 v11, s[0:1], s6, v19
	v_subb_co_u32_e32 v15, vcc, v15, v20, vcc
	s_nop 0
	v_subbrev_co_u32_e64 v10, s[0:1], 0, v10, s[0:1]
	v_cmp_le_u32_e64 s[0:1], s7, v10
	v_cmp_le_u32_e32 vcc, s7, v15
	s_nop 0
	v_cndmask_b32_e64 v16, 0, -1, s[0:1]
	v_cmp_le_u32_e64 s[0:1], s6, v11
	s_nop 1
	v_cndmask_b32_e64 v11, 0, -1, s[0:1]
	v_cmp_eq_u32_e64 s[0:1], s7, v10
	s_nop 1
	v_cndmask_b32_e64 v21, v16, v11, s[0:1]
	v_lshl_add_u64 v[10:11], v[8:9], 0, 2
	v_lshl_add_u64 v[16:17], v[8:9], 0, 1
	v_cmp_ne_u32_e64 s[0:1], 0, v21
	s_nop 1
	v_cndmask_b32_e64 v11, v17, v11, s[0:1]
	v_cndmask_b32_e64 v17, 0, -1, vcc
	v_cmp_le_u32_e32 vcc, s6, v19
	v_cndmask_b32_e64 v10, v16, v10, s[0:1]
	s_nop 0
	v_cndmask_b32_e64 v19, 0, -1, vcc
	v_cmp_eq_u32_e32 vcc, s7, v15
	s_nop 1
	v_cndmask_b32_e32 v15, v17, v19, vcc
	v_cmp_ne_u32_e32 vcc, 0, v15
	s_nop 1
	v_cndmask_b32_e32 v8, v8, v10, vcc
	v_cndmask_b32_e32 v9, v9, v11, vcc
	v_xor_b32_e32 v8, v8, v14
	v_xor_b32_e32 v9, v9, v14
	v_sub_co_u32_e32 v10, vcc, v8, v14
                                        ; implicit-def: $vgpr8
	s_nop 1
	v_subb_co_u32_e32 v11, vcc, v9, v14, vcc
.LBB77_132:
	s_andn2_saveexec_b64 s[0:1], s[4:5]
	s_cbranch_execz .LBB77_134
; %bb.133:
	v_cvt_f32_u32_e32 v9, s3
	v_rcp_iflag_f32_e32 v9, v9
	s_nop 0
	v_mul_f32_e32 v9, 0x4f7ffffe, v9
	v_cvt_u32_f32_e32 v9, v9
	v_mul_lo_u32 v10, s12, v9
	v_mul_hi_u32 v10, v9, v10
	v_add_u32_e32 v9, v9, v10
	v_mul_hi_u32 v9, v8, v9
	v_mul_lo_u32 v10, v9, s3
	v_sub_u32_e32 v8, v8, v10
	v_add_u32_e32 v11, 1, v9
	v_subrev_u32_e32 v10, s3, v8
	v_cmp_le_u32_e32 vcc, s3, v8
	s_nop 1
	v_cndmask_b32_e32 v8, v8, v10, vcc
	v_cndmask_b32_e32 v9, v9, v11, vcc
	v_add_u32_e32 v10, 1, v9
	v_cmp_le_u32_e32 vcc, s3, v8
	v_mov_b32_e32 v11, 0
	s_nop 0
	v_cndmask_b32_e32 v10, v9, v10, vcc
.LBB77_134:
	s_or_b64 exec, exec, s[0:1]
	v_cmp_gt_i64_e32 vcc, s[26:27], v[4:5]
	v_mov_b32_e32 v14, 0
	s_and_saveexec_b64 s[0:1], vcc
	s_cbranch_execz .LBB77_142
; %bb.135:
	s_add_i32 s4, s3, -1
	v_and_b32_e32 v4, s4, v0
	s_mov_b64 s[4:5], 0
	v_cmp_lt_i64_e32 vcc, 0, v[10:11]
	v_mov_b32_e32 v14, 0
	v_lshlrev_b32_e32 v15, 2, v4
	s_and_saveexec_b64 s[6:7], vcc
	s_cbranch_execz .LBB77_139
; %bb.136:
	v_lshl_add_u32 v5, v2, 2, v15
	s_lshl_b32 s8, s3, 2
	v_mov_b32_e32 v14, 0
	v_mov_b64_e32 v[8:9], v[10:11]
.LBB77_137:                             ; =>This Inner Loop Header: Depth=1
	ds_read_b32 v16, v5
	v_lshl_add_u64 v[8:9], v[8:9], 0, -1
	v_cmp_eq_u64_e32 vcc, 0, v[8:9]
	v_add_u32_e32 v5, s8, v5
	s_or_b64 s[4:5], vcc, s[4:5]
	s_waitcnt lgkmcnt(0)
	v_add_f32_e32 v14, v14, v16
	s_andn2_b64 exec, exec, s[4:5]
	s_cbranch_execnz .LBB77_137
; %bb.138:
	s_or_b64 exec, exec, s[4:5]
.LBB77_139:
	s_or_b64 exec, exec, s[6:7]
	v_mad_u64_u32 v[2:3], s[4:5], v10, s3, v[2:3]
	v_mov_b32_e32 v8, v3
	v_mad_u64_u32 v[8:9], s[4:5], v11, s3, v[8:9]
	v_sub_co_u32_e32 v10, vcc, v12, v2
	v_mov_b32_e32 v5, 0
	s_nop 0
	v_subb_co_u32_e32 v11, vcc, v13, v8, vcc
	v_cmp_gt_i64_e32 vcc, v[10:11], v[4:5]
	s_and_saveexec_b64 s[4:5], vcc
	s_cbranch_execz .LBB77_141
; %bb.140:
	v_lshl_add_u32 v2, v2, 2, v15
	ds_read_b32 v2, v2
	s_waitcnt lgkmcnt(0)
	v_add_f32_e32 v14, v14, v2
.LBB77_141:
	s_or_b64 exec, exec, s[4:5]
.LBB77_142:
	s_or_b64 exec, exec, s[0:1]
	v_cmp_gt_i64_e32 vcc, s[26:27], v[0:1]
	s_barrier
	ds_write_b32 v18, v14
	s_waitcnt lgkmcnt(0)
	s_barrier
	s_and_saveexec_b64 s[0:1], vcc
	s_cbranch_execz .LBB77_146
; %bb.143:
	v_mul_lo_u32 v1, s3, v0
	v_lshlrev_b32_e32 v2, 2, v1
	v_mov_b32_e32 v1, 0
.LBB77_144:                             ; =>This Inner Loop Header: Depth=1
	ds_read_b32 v3, v2
	s_add_i32 s3, s3, -1
	v_add_u32_e32 v2, 4, v2
	s_cmp_eq_u32 s3, 0
	s_waitcnt lgkmcnt(0)
	v_add_f32_e32 v1, v1, v3
	s_cbranch_scc0 .LBB77_144
; %bb.145:
	s_lshl_b32 s0, s2, 2
	s_addk_i32 s0, 0x1000
	v_lshl_add_u32 v0, v0, 2, s0
	ds_read_b32 v0, v0
	s_waitcnt lgkmcnt(0)
	v_add_f32_e32 v2, v1, v0
	v_lshl_add_u64 v[0:1], v[6:7], 2, s[24:25]
	global_atomic_add_f32 v[0:1], v2, off
.LBB77_146:
	s_endpgm
	.section	.rodata,"a",@progbits
	.p2align	6, 0x0
	.amdhsa_kernel _ZN9rocsparseL27csrmvn_symm_adaptive_kernelIli18rocsparse_bfloat16S1_ffEEvbT_S2_PKS2_NS_24const_host_device_scalarIT4_EES4_PKT0_PKT1_PKT2_S7_PT3_21rocsparse_index_base_b
		.amdhsa_group_segment_fixed_size 4096
		.amdhsa_private_segment_fixed_size 0
		.amdhsa_kernarg_size 352
		.amdhsa_user_sgpr_count 2
		.amdhsa_user_sgpr_dispatch_ptr 0
		.amdhsa_user_sgpr_queue_ptr 0
		.amdhsa_user_sgpr_kernarg_segment_ptr 1
		.amdhsa_user_sgpr_dispatch_id 0
		.amdhsa_user_sgpr_kernarg_preload_length 0
		.amdhsa_user_sgpr_kernarg_preload_offset 0
		.amdhsa_user_sgpr_private_segment_size 0
		.amdhsa_uses_dynamic_stack 0
		.amdhsa_enable_private_segment 0
		.amdhsa_system_sgpr_workgroup_id_x 1
		.amdhsa_system_sgpr_workgroup_id_y 0
		.amdhsa_system_sgpr_workgroup_id_z 0
		.amdhsa_system_sgpr_workgroup_info 0
		.amdhsa_system_vgpr_workitem_id 0
		.amdhsa_next_free_vgpr 22
		.amdhsa_next_free_sgpr 52
		.amdhsa_accum_offset 24
		.amdhsa_reserve_vcc 1
		.amdhsa_float_round_mode_32 0
		.amdhsa_float_round_mode_16_64 0
		.amdhsa_float_denorm_mode_32 3
		.amdhsa_float_denorm_mode_16_64 3
		.amdhsa_dx10_clamp 1
		.amdhsa_ieee_mode 1
		.amdhsa_fp16_overflow 0
		.amdhsa_tg_split 0
		.amdhsa_exception_fp_ieee_invalid_op 0
		.amdhsa_exception_fp_denorm_src 0
		.amdhsa_exception_fp_ieee_div_zero 0
		.amdhsa_exception_fp_ieee_overflow 0
		.amdhsa_exception_fp_ieee_underflow 0
		.amdhsa_exception_fp_ieee_inexact 0
		.amdhsa_exception_int_div_zero 0
	.end_amdhsa_kernel
	.section	.text._ZN9rocsparseL27csrmvn_symm_adaptive_kernelIli18rocsparse_bfloat16S1_ffEEvbT_S2_PKS2_NS_24const_host_device_scalarIT4_EES4_PKT0_PKT1_PKT2_S7_PT3_21rocsparse_index_base_b,"axG",@progbits,_ZN9rocsparseL27csrmvn_symm_adaptive_kernelIli18rocsparse_bfloat16S1_ffEEvbT_S2_PKS2_NS_24const_host_device_scalarIT4_EES4_PKT0_PKT1_PKT2_S7_PT3_21rocsparse_index_base_b,comdat
.Lfunc_end77:
	.size	_ZN9rocsparseL27csrmvn_symm_adaptive_kernelIli18rocsparse_bfloat16S1_ffEEvbT_S2_PKS2_NS_24const_host_device_scalarIT4_EES4_PKT0_PKT1_PKT2_S7_PT3_21rocsparse_index_base_b, .Lfunc_end77-_ZN9rocsparseL27csrmvn_symm_adaptive_kernelIli18rocsparse_bfloat16S1_ffEEvbT_S2_PKS2_NS_24const_host_device_scalarIT4_EES4_PKT0_PKT1_PKT2_S7_PT3_21rocsparse_index_base_b
                                        ; -- End function
	.set _ZN9rocsparseL27csrmvn_symm_adaptive_kernelIli18rocsparse_bfloat16S1_ffEEvbT_S2_PKS2_NS_24const_host_device_scalarIT4_EES4_PKT0_PKT1_PKT2_S7_PT3_21rocsparse_index_base_b.num_vgpr, 22
	.set _ZN9rocsparseL27csrmvn_symm_adaptive_kernelIli18rocsparse_bfloat16S1_ffEEvbT_S2_PKS2_NS_24const_host_device_scalarIT4_EES4_PKT0_PKT1_PKT2_S7_PT3_21rocsparse_index_base_b.num_agpr, 0
	.set _ZN9rocsparseL27csrmvn_symm_adaptive_kernelIli18rocsparse_bfloat16S1_ffEEvbT_S2_PKS2_NS_24const_host_device_scalarIT4_EES4_PKT0_PKT1_PKT2_S7_PT3_21rocsparse_index_base_b.numbered_sgpr, 52
	.set _ZN9rocsparseL27csrmvn_symm_adaptive_kernelIli18rocsparse_bfloat16S1_ffEEvbT_S2_PKS2_NS_24const_host_device_scalarIT4_EES4_PKT0_PKT1_PKT2_S7_PT3_21rocsparse_index_base_b.num_named_barrier, 0
	.set _ZN9rocsparseL27csrmvn_symm_adaptive_kernelIli18rocsparse_bfloat16S1_ffEEvbT_S2_PKS2_NS_24const_host_device_scalarIT4_EES4_PKT0_PKT1_PKT2_S7_PT3_21rocsparse_index_base_b.private_seg_size, 0
	.set _ZN9rocsparseL27csrmvn_symm_adaptive_kernelIli18rocsparse_bfloat16S1_ffEEvbT_S2_PKS2_NS_24const_host_device_scalarIT4_EES4_PKT0_PKT1_PKT2_S7_PT3_21rocsparse_index_base_b.uses_vcc, 1
	.set _ZN9rocsparseL27csrmvn_symm_adaptive_kernelIli18rocsparse_bfloat16S1_ffEEvbT_S2_PKS2_NS_24const_host_device_scalarIT4_EES4_PKT0_PKT1_PKT2_S7_PT3_21rocsparse_index_base_b.uses_flat_scratch, 0
	.set _ZN9rocsparseL27csrmvn_symm_adaptive_kernelIli18rocsparse_bfloat16S1_ffEEvbT_S2_PKS2_NS_24const_host_device_scalarIT4_EES4_PKT0_PKT1_PKT2_S7_PT3_21rocsparse_index_base_b.has_dyn_sized_stack, 0
	.set _ZN9rocsparseL27csrmvn_symm_adaptive_kernelIli18rocsparse_bfloat16S1_ffEEvbT_S2_PKS2_NS_24const_host_device_scalarIT4_EES4_PKT0_PKT1_PKT2_S7_PT3_21rocsparse_index_base_b.has_recursion, 0
	.set _ZN9rocsparseL27csrmvn_symm_adaptive_kernelIli18rocsparse_bfloat16S1_ffEEvbT_S2_PKS2_NS_24const_host_device_scalarIT4_EES4_PKT0_PKT1_PKT2_S7_PT3_21rocsparse_index_base_b.has_indirect_call, 0
	.section	.AMDGPU.csdata,"",@progbits
; Kernel info:
; codeLenInByte = 7044
; TotalNumSgprs: 58
; NumVgprs: 22
; NumAgprs: 0
; TotalNumVgprs: 22
; ScratchSize: 0
; MemoryBound: 0
; FloatMode: 240
; IeeeMode: 1
; LDSByteSize: 4096 bytes/workgroup (compile time only)
; SGPRBlocks: 7
; VGPRBlocks: 2
; NumSGPRsForWavesPerEU: 58
; NumVGPRsForWavesPerEU: 22
; AccumOffset: 24
; Occupancy: 8
; WaveLimiterHint : 1
; COMPUTE_PGM_RSRC2:SCRATCH_EN: 0
; COMPUTE_PGM_RSRC2:USER_SGPR: 2
; COMPUTE_PGM_RSRC2:TRAP_HANDLER: 0
; COMPUTE_PGM_RSRC2:TGID_X_EN: 1
; COMPUTE_PGM_RSRC2:TGID_Y_EN: 0
; COMPUTE_PGM_RSRC2:TGID_Z_EN: 0
; COMPUTE_PGM_RSRC2:TIDIG_COMP_CNT: 0
; COMPUTE_PGM_RSRC3_GFX90A:ACCUM_OFFSET: 5
; COMPUTE_PGM_RSRC3_GFX90A:TG_SPLIT: 0
	.section	.text._ZL33csrmvn_symm_large_adaptive_kernelIli18rocsparse_bfloat16S0_ffEvbT_PKS1_N9rocsparse24const_host_device_scalarIT4_EES3_PKT0_PKT1_PKT2_S7_PT3_21rocsparse_index_base_b,"axG",@progbits,_ZL33csrmvn_symm_large_adaptive_kernelIli18rocsparse_bfloat16S0_ffEvbT_PKS1_N9rocsparse24const_host_device_scalarIT4_EES3_PKT0_PKT1_PKT2_S7_PT3_21rocsparse_index_base_b,comdat
	.globl	_ZL33csrmvn_symm_large_adaptive_kernelIli18rocsparse_bfloat16S0_ffEvbT_PKS1_N9rocsparse24const_host_device_scalarIT4_EES3_PKT0_PKT1_PKT2_S7_PT3_21rocsparse_index_base_b ; -- Begin function _ZL33csrmvn_symm_large_adaptive_kernelIli18rocsparse_bfloat16S0_ffEvbT_PKS1_N9rocsparse24const_host_device_scalarIT4_EES3_PKT0_PKT1_PKT2_S7_PT3_21rocsparse_index_base_b
	.p2align	8
	.type	_ZL33csrmvn_symm_large_adaptive_kernelIli18rocsparse_bfloat16S0_ffEvbT_PKS1_N9rocsparse24const_host_device_scalarIT4_EES3_PKT0_PKT1_PKT2_S7_PT3_21rocsparse_index_base_b,@function
_ZL33csrmvn_symm_large_adaptive_kernelIli18rocsparse_bfloat16S0_ffEvbT_PKS1_N9rocsparse24const_host_device_scalarIT4_EES3_PKT0_PKT1_PKT2_S7_PT3_21rocsparse_index_base_b: ; @_ZL33csrmvn_symm_large_adaptive_kernelIli18rocsparse_bfloat16S0_ffEvbT_PKS1_N9rocsparse24const_host_device_scalarIT4_EES3_PKT0_PKT1_PKT2_S7_PT3_21rocsparse_index_base_b
; %bb.0:
	s_load_dwordx2 s[20:21], s[0:1], 0x50
	s_load_dwordx2 s[22:23], s[0:1], 0x18
	;; [unrolled: 1-line block ×3, first 2 shown]
	s_waitcnt lgkmcnt(0)
	s_bitcmp1_b32 s21, 0
	s_cselect_b64 s[8:9], -1, 0
	s_xor_b64 s[6:7], s[8:9], -1
	s_and_b64 vcc, exec, s[8:9]
	s_cbranch_vccnz .LBB78_2
; %bb.1:
	s_load_dword s22, s[22:23], 0x0
.LBB78_2:
	s_andn2_b64 vcc, exec, s[6:7]
	s_cbranch_vccnz .LBB78_4
; %bb.3:
	s_load_dword s4, s[4:5], 0x0
.LBB78_4:
	s_waitcnt lgkmcnt(0)
	v_cmp_neq_f32_e64 s[6:7], s22, 0
	v_cmp_neq_f32_e64 s[4:5], s4, 1.0
	s_or_b64 s[4:5], s[6:7], s[4:5]
	s_andn2_b64 vcc, exec, s[4:5]
	s_cbranch_vccnz .LBB78_32
; %bb.5:
	s_load_dwordx2 s[4:5], s[0:1], 0x10
	s_ashr_i32 s3, s2, 31
	s_lshl_b64 s[2:3], s[2:3], 3
	v_lshlrev_b32_e32 v10, 2, v0
	v_mov_b32_e32 v11, 0
	s_waitcnt lgkmcnt(0)
	s_add_u32 s2, s4, s2
	s_addc_u32 s3, s5, s3
	ds_write2st64_b32 v10, v11, v11 offset1:4
	ds_write2st64_b32 v10, v11, v11 offset0:8 offset1:12
	s_waitcnt lgkmcnt(0)
	s_barrier
	s_load_dwordx4 s[16:19], s[2:3], 0x0
	s_load_dwordx8 s[8:15], s[0:1], 0x20
	s_load_dwordx2 s[24:25], s[0:1], 0x48
	s_waitcnt lgkmcnt(0)
	v_mov_b64_e32 v[2:3], s[18:19]
	v_cmp_ge_i64_e32 vcc, s[16:17], v[2:3]
	v_subrev_co_u32_e64 v2, s[0:1], s20, v0
	s_nop 1
	v_subb_co_u32_e64 v3, s[0:1], 0, 0, s[0:1]
	s_cbranch_vccnz .LBB78_23
; %bb.6:
	v_cmp_gt_u32_e64 s[0:1], 64, v0
	v_cmp_gt_u32_e64 s[2:3], 16, v0
	;; [unrolled: 1-line block ×3, first 2 shown]
	v_cmp_eq_u32_e64 s[6:7], 0, v0
	s_mov_b64 s[26:27], 0x100
	s_mov_b64 s[28:29], 0x400
	;; [unrolled: 1-line block ×3, first 2 shown]
	v_mov_b64_e32 v[0:1], s[18:19]
	s_mov_b64 s[34:35], s[16:17]
	s_branch .LBB78_8
.LBB78_7:                               ;   in Loop: Header=BB78_8 Depth=1
	s_or_b64 exec, exec, s[36:37]
	s_add_u32 s34, s34, 1
	s_addc_u32 s35, s35, 0
	v_cmp_ge_i64_e32 vcc, s[34:35], v[0:1]
	s_cbranch_vccnz .LBB78_23
.LBB78_8:                               ; =>This Loop Header: Depth=1
                                        ;     Child Loop BB78_10 Depth 2
	s_lshl_b64 s[36:37], s[34:35], 3
	s_add_u32 s36, s8, s36
	s_addc_u32 s37, s9, s37
	s_load_dwordx4 s[40:43], s[36:37], 0x0
	v_mov_b32_e32 v12, 0
	s_waitcnt lgkmcnt(0)
	s_sub_u32 s36, s42, s20
	v_lshl_add_u64 v[4:5], s[40:41], 0, v[2:3]
	s_subb_u32 s37, s43, 0
	v_cmp_gt_i64_e32 vcc, s[36:37], v[4:5]
	s_and_saveexec_b64 s[38:39], vcc
	s_cbranch_execz .LBB78_12
; %bb.9:                                ;   in Loop: Header=BB78_8 Depth=1
	v_lshl_add_u64 v[6:7], v[4:5], 2, s[10:11]
	v_lshl_add_u64 v[8:9], v[4:5], 1, s[12:13]
	v_mov_b32_e32 v12, 0
	s_mov_b64 s[40:41], 0
.LBB78_10:                              ;   Parent Loop BB78_8 Depth=1
                                        ; =>  This Inner Loop Header: Depth=2
	global_load_dword v13, v[6:7], off
	global_load_ushort v16, v[8:9], off
	v_lshl_add_u64 v[4:5], v[4:5], 0, s[26:27]
	v_cmp_le_i64_e32 vcc, s[36:37], v[4:5]
	v_lshl_add_u64 v[6:7], v[6:7], 0, s[28:29]
	v_lshl_add_u64 v[8:9], v[8:9], 0, s[30:31]
	s_or_b64 s[40:41], vcc, s[40:41]
	s_waitcnt vmcnt(1)
	v_subrev_u32_e32 v14, s20, v13
	v_ashrrev_i32_e32 v15, 31, v14
	v_lshl_add_u64 v[14:15], v[14:15], 1, s[14:15]
	global_load_ushort v13, v[14:15], off
	s_waitcnt vmcnt(1)
	v_lshlrev_b32_e32 v14, 16, v16
	s_waitcnt vmcnt(0)
	v_lshlrev_b32_e32 v13, 16, v13
	v_fmac_f32_e32 v12, v14, v13
	s_andn2_b64 exec, exec, s[40:41]
	s_cbranch_execnz .LBB78_10
; %bb.11:                               ;   in Loop: Header=BB78_8 Depth=1
	s_or_b64 exec, exec, s[40:41]
.LBB78_12:                              ;   in Loop: Header=BB78_8 Depth=1
	s_or_b64 exec, exec, s[38:39]
	ds_write_b32 v10, v12
	s_waitcnt lgkmcnt(0)
	s_barrier
	ds_read2st64_b32 v[4:5], v10 offset1:4
	ds_read2st64_b32 v[6:7], v10 offset0:8 offset1:12
	s_waitcnt lgkmcnt(0)
	v_add_f32_e32 v5, v5, v6
	v_add_f32_e32 v5, v5, v7
	;; [unrolled: 1-line block ×3, first 2 shown]
	ds_write_b32 v10, v4
	s_waitcnt lgkmcnt(0)
	s_barrier
	s_and_saveexec_b64 s[36:37], s[0:1]
	s_cbranch_execz .LBB78_14
; %bb.13:                               ;   in Loop: Header=BB78_8 Depth=1
	ds_read2st64_b32 v[4:5], v10 offset1:1
	ds_read2st64_b32 v[6:7], v10 offset0:2 offset1:3
	s_waitcnt lgkmcnt(0)
	v_add_f32_e32 v5, v5, v6
	v_add_f32_e32 v5, v5, v7
	;; [unrolled: 1-line block ×3, first 2 shown]
	ds_write_b32 v10, v4
.LBB78_14:                              ;   in Loop: Header=BB78_8 Depth=1
	s_or_b64 exec, exec, s[36:37]
	s_waitcnt lgkmcnt(0)
	s_barrier
	s_and_saveexec_b64 s[36:37], s[2:3]
	s_cbranch_execz .LBB78_16
; %bb.15:                               ;   in Loop: Header=BB78_8 Depth=1
	ds_read2_b32 v[4:5], v10 offset1:16
	ds_read2_b32 v[6:7], v10 offset0:32 offset1:48
	s_waitcnt lgkmcnt(0)
	v_add_f32_e32 v5, v5, v6
	v_add_f32_e32 v5, v5, v7
	;; [unrolled: 1-line block ×3, first 2 shown]
	ds_write_b32 v10, v4
.LBB78_16:                              ;   in Loop: Header=BB78_8 Depth=1
	s_or_b64 exec, exec, s[36:37]
	s_waitcnt lgkmcnt(0)
	s_barrier
	s_and_saveexec_b64 s[36:37], s[4:5]
	s_cbranch_execz .LBB78_18
; %bb.17:                               ;   in Loop: Header=BB78_8 Depth=1
	ds_read2_b32 v[4:5], v10 offset1:4
	ds_read2_b32 v[6:7], v10 offset0:8 offset1:12
	s_waitcnt lgkmcnt(0)
	v_add_f32_e32 v5, v5, v6
	v_add_f32_e32 v5, v5, v7
	;; [unrolled: 1-line block ×3, first 2 shown]
	ds_write_b32 v10, v4
.LBB78_18:                              ;   in Loop: Header=BB78_8 Depth=1
	s_or_b64 exec, exec, s[36:37]
	s_waitcnt lgkmcnt(0)
	s_barrier
	s_and_saveexec_b64 s[36:37], s[6:7]
	s_cbranch_execz .LBB78_20
; %bb.19:                               ;   in Loop: Header=BB78_8 Depth=1
	ds_read2_b32 v[4:5], v11 offset0:1 offset1:2
	ds_read_b32 v6, v11 offset:12
	ds_read_b32 v7, v10
	s_waitcnt lgkmcnt(2)
	v_add_f32_e32 v4, v4, v5
	s_waitcnt lgkmcnt(1)
	v_add_f32_e32 v4, v4, v6
	;; [unrolled: 2-line block ×3, first 2 shown]
	ds_write_b32 v10, v4
.LBB78_20:                              ;   in Loop: Header=BB78_8 Depth=1
	s_or_b64 exec, exec, s[36:37]
	s_waitcnt lgkmcnt(0)
	s_barrier
	s_and_saveexec_b64 s[36:37], s[6:7]
	s_cbranch_execz .LBB78_7
; %bb.21:                               ;   in Loop: Header=BB78_8 Depth=1
	s_mov_b64 s[38:39], exec
	v_mbcnt_lo_u32_b32 v4, s38, 0
	v_mbcnt_hi_u32_b32 v4, s39, v4
	v_cmp_eq_u32_e32 vcc, 0, v4
	s_and_b64 s[40:41], exec, vcc
	s_mov_b64 exec, s[40:41]
	s_cbranch_execz .LBB78_7
; %bb.22:                               ;   in Loop: Header=BB78_8 Depth=1
	ds_read_b32 v4, v11
	s_lshl_b64 s[40:41], s[34:35], 2
	s_add_u32 s40, s24, s40
	s_addc_u32 s41, s25, s41
	s_bcnt1_i32_b64 s21, s[38:39]
	s_waitcnt lgkmcnt(0)
	v_mul_f32_e32 v4, s22, v4
	v_cvt_f32_ubyte0_e32 v5, s21
	v_mul_f32_e32 v4, v4, v5
	global_atomic_add_f32 v11, v4, s[40:41]
	s_branch .LBB78_7
.LBB78_23:
	s_lshl_b64 s[0:1], s[16:17], 3
	s_add_u32 s0, s8, s0
	s_addc_u32 s1, s9, s1
	s_lshl_b64 s[2:3], s[18:19], 3
	s_add_u32 s2, s8, s2
	s_addc_u32 s3, s9, s3
	s_load_dwordx2 s[4:5], s[2:3], 0x0
	s_load_dwordx2 s[6:7], s[0:1], 0x0
	s_waitcnt lgkmcnt(0)
	s_sub_u32 s4, s4, s20
	s_subb_u32 s5, s5, 0
	v_lshl_add_u64 v[0:1], s[6:7], 0, v[2:3]
	v_cmp_gt_i64_e32 vcc, s[4:5], v[0:1]
	s_and_saveexec_b64 s[0:1], vcc
	s_cbranch_execz .LBB78_32
; %bb.24:
	s_add_u32 s6, s18, -1
	s_addc_u32 s7, s19, -1
	s_add_u32 s0, s18, -2
	s_addc_u32 s1, s19, -1
	v_mov_b64_e32 v[2:3], s[6:7]
	s_cmp_lg_u64 s[16:17], s[0:1]
	v_cmp_lt_i64_e32 vcc, s[16:17], v[2:3]
	s_cselect_b64 s[0:1], -1, 0
	s_and_b64 s[0:1], vcc, s[0:1]
	v_cndmask_b32_e64 v2, 0, 1, s[0:1]
	s_mov_b64 s[18:19], 0
	v_cmp_ne_u32_e64 s[0:1], 1, v2
	v_mov_b32_e32 v3, 0
	s_mov_b64 s[26:27], 0x100
	s_branch .LBB78_26
.LBB78_25:                              ;   in Loop: Header=BB78_26 Depth=1
	s_or_b64 exec, exec, s[2:3]
	v_lshl_add_u64 v[0:1], v[0:1], 0, s[26:27]
	v_cmp_le_i64_e32 vcc, s[4:5], v[0:1]
	s_or_b64 s[18:19], vcc, s[18:19]
	s_andn2_b64 exec, exec, s[18:19]
	s_cbranch_execz .LBB78_32
.LBB78_26:                              ; =>This Loop Header: Depth=1
                                        ;     Child Loop BB78_28 Depth 2
	s_and_b64 vcc, exec, s[0:1]
	v_mov_b64_e32 v[4:5], s[16:17]
	v_mov_b64_e32 v[6:7], s[6:7]
	s_cbranch_vccnz .LBB78_30
; %bb.27:                               ;   in Loop: Header=BB78_26 Depth=1
	s_mov_b64 s[28:29], 0
	v_mov_b64_e32 v[4:5], s[16:17]
	v_mov_b64_e32 v[6:7], s[6:7]
.LBB78_28:                              ;   Parent Loop BB78_26 Depth=1
                                        ; =>  This Inner Loop Header: Depth=2
	v_lshl_add_u64 v[8:9], v[6:7], 0, v[4:5]
	v_lshrrev_b32_e32 v2, 31, v9
	v_lshl_add_u64 v[8:9], v[8:9], 0, v[2:3]
	v_ashrrev_i64 v[8:9], 1, v[8:9]
	v_lshl_add_u64 v[10:11], v[8:9], 3, s[8:9]
	global_load_dwordx2 v[10:11], v[10:11], off
	s_waitcnt vmcnt(0)
	v_subrev_co_u32_e32 v10, vcc, s20, v10
	s_nop 1
	v_subbrev_co_u32_e32 v11, vcc, 0, v11, vcc
	v_cmp_lt_i64_e32 vcc, v[0:1], v[10:11]
	s_nop 1
	v_cndmask_b32_e32 v7, v7, v9, vcc
	v_cndmask_b32_e32 v6, v6, v8, vcc
	;; [unrolled: 1-line block ×4, first 2 shown]
	v_lshl_add_u64 v[8:9], v[6:7], 0, -1
	v_cmp_ge_i64_e32 vcc, v[4:5], v[6:7]
	v_cmp_eq_u64_e64 s[2:3], v[4:5], v[8:9]
	s_or_b64 s[2:3], vcc, s[2:3]
	s_and_b64 s[2:3], exec, s[2:3]
	s_or_b64 s[28:29], s[2:3], s[28:29]
	s_andn2_b64 exec, exec, s[28:29]
	s_cbranch_execnz .LBB78_28
; %bb.29:                               ;   in Loop: Header=BB78_26 Depth=1
	s_or_b64 exec, exec, s[28:29]
.LBB78_30:                              ;   in Loop: Header=BB78_26 Depth=1
	v_lshl_add_u64 v[8:9], v[6:7], 3, s[8:9]
	global_load_dwordx2 v[8:9], v[8:9], off
	v_lshl_add_u64 v[10:11], v[0:1], 2, s[10:11]
	global_load_dword v2, v[10:11], off
	s_waitcnt vmcnt(1)
	v_subrev_co_u32_e32 v10, vcc, s20, v8
	s_nop 1
	v_subbrev_co_u32_e32 v11, vcc, 0, v9, vcc
	s_waitcnt vmcnt(0)
	v_subrev_u32_e32 v8, s20, v2
	v_cmp_lt_i64_e32 vcc, v[0:1], v[10:11]
	v_ashrrev_i32_e32 v9, 31, v8
	s_nop 0
	v_cndmask_b32_e32 v5, v7, v5, vcc
	v_cndmask_b32_e32 v4, v6, v4, vcc
	v_cmp_ne_u64_e32 vcc, v[4:5], v[8:9]
	s_and_saveexec_b64 s[2:3], vcc
	s_cbranch_execz .LBB78_25
; %bb.31:                               ;   in Loop: Header=BB78_26 Depth=1
	v_lshl_add_u64 v[6:7], v[0:1], 1, s[12:13]
	global_load_ushort v2, v[6:7], off
	v_lshl_add_u64 v[4:5], v[4:5], 1, s[14:15]
	global_load_ushort v6, v[4:5], off
	v_lshl_add_u64 v[4:5], v[8:9], 2, s[24:25]
	s_waitcnt vmcnt(1)
	v_lshlrev_b32_e32 v2, 16, v2
	v_mul_f32_e32 v2, s22, v2
	s_waitcnt vmcnt(0)
	v_lshlrev_b32_e32 v6, 16, v6
	v_mul_f32_e32 v2, v2, v6
	global_atomic_add_f32 v[4:5], v2, off
	s_branch .LBB78_25
.LBB78_32:
	s_endpgm
	.section	.rodata,"a",@progbits
	.p2align	6, 0x0
	.amdhsa_kernel _ZL33csrmvn_symm_large_adaptive_kernelIli18rocsparse_bfloat16S0_ffEvbT_PKS1_N9rocsparse24const_host_device_scalarIT4_EES3_PKT0_PKT1_PKT2_S7_PT3_21rocsparse_index_base_b
		.amdhsa_group_segment_fixed_size 4096
		.amdhsa_private_segment_fixed_size 0
		.amdhsa_kernarg_size 88
		.amdhsa_user_sgpr_count 2
		.amdhsa_user_sgpr_dispatch_ptr 0
		.amdhsa_user_sgpr_queue_ptr 0
		.amdhsa_user_sgpr_kernarg_segment_ptr 1
		.amdhsa_user_sgpr_dispatch_id 0
		.amdhsa_user_sgpr_kernarg_preload_length 0
		.amdhsa_user_sgpr_kernarg_preload_offset 0
		.amdhsa_user_sgpr_private_segment_size 0
		.amdhsa_uses_dynamic_stack 0
		.amdhsa_enable_private_segment 0
		.amdhsa_system_sgpr_workgroup_id_x 1
		.amdhsa_system_sgpr_workgroup_id_y 0
		.amdhsa_system_sgpr_workgroup_id_z 0
		.amdhsa_system_sgpr_workgroup_info 0
		.amdhsa_system_vgpr_workitem_id 0
		.amdhsa_next_free_vgpr 17
		.amdhsa_next_free_sgpr 44
		.amdhsa_accum_offset 20
		.amdhsa_reserve_vcc 1
		.amdhsa_float_round_mode_32 0
		.amdhsa_float_round_mode_16_64 0
		.amdhsa_float_denorm_mode_32 3
		.amdhsa_float_denorm_mode_16_64 3
		.amdhsa_dx10_clamp 1
		.amdhsa_ieee_mode 1
		.amdhsa_fp16_overflow 0
		.amdhsa_tg_split 0
		.amdhsa_exception_fp_ieee_invalid_op 0
		.amdhsa_exception_fp_denorm_src 0
		.amdhsa_exception_fp_ieee_div_zero 0
		.amdhsa_exception_fp_ieee_overflow 0
		.amdhsa_exception_fp_ieee_underflow 0
		.amdhsa_exception_fp_ieee_inexact 0
		.amdhsa_exception_int_div_zero 0
	.end_amdhsa_kernel
	.section	.text._ZL33csrmvn_symm_large_adaptive_kernelIli18rocsparse_bfloat16S0_ffEvbT_PKS1_N9rocsparse24const_host_device_scalarIT4_EES3_PKT0_PKT1_PKT2_S7_PT3_21rocsparse_index_base_b,"axG",@progbits,_ZL33csrmvn_symm_large_adaptive_kernelIli18rocsparse_bfloat16S0_ffEvbT_PKS1_N9rocsparse24const_host_device_scalarIT4_EES3_PKT0_PKT1_PKT2_S7_PT3_21rocsparse_index_base_b,comdat
.Lfunc_end78:
	.size	_ZL33csrmvn_symm_large_adaptive_kernelIli18rocsparse_bfloat16S0_ffEvbT_PKS1_N9rocsparse24const_host_device_scalarIT4_EES3_PKT0_PKT1_PKT2_S7_PT3_21rocsparse_index_base_b, .Lfunc_end78-_ZL33csrmvn_symm_large_adaptive_kernelIli18rocsparse_bfloat16S0_ffEvbT_PKS1_N9rocsparse24const_host_device_scalarIT4_EES3_PKT0_PKT1_PKT2_S7_PT3_21rocsparse_index_base_b
                                        ; -- End function
	.set _ZL33csrmvn_symm_large_adaptive_kernelIli18rocsparse_bfloat16S0_ffEvbT_PKS1_N9rocsparse24const_host_device_scalarIT4_EES3_PKT0_PKT1_PKT2_S7_PT3_21rocsparse_index_base_b.num_vgpr, 17
	.set _ZL33csrmvn_symm_large_adaptive_kernelIli18rocsparse_bfloat16S0_ffEvbT_PKS1_N9rocsparse24const_host_device_scalarIT4_EES3_PKT0_PKT1_PKT2_S7_PT3_21rocsparse_index_base_b.num_agpr, 0
	.set _ZL33csrmvn_symm_large_adaptive_kernelIli18rocsparse_bfloat16S0_ffEvbT_PKS1_N9rocsparse24const_host_device_scalarIT4_EES3_PKT0_PKT1_PKT2_S7_PT3_21rocsparse_index_base_b.numbered_sgpr, 44
	.set _ZL33csrmvn_symm_large_adaptive_kernelIli18rocsparse_bfloat16S0_ffEvbT_PKS1_N9rocsparse24const_host_device_scalarIT4_EES3_PKT0_PKT1_PKT2_S7_PT3_21rocsparse_index_base_b.num_named_barrier, 0
	.set _ZL33csrmvn_symm_large_adaptive_kernelIli18rocsparse_bfloat16S0_ffEvbT_PKS1_N9rocsparse24const_host_device_scalarIT4_EES3_PKT0_PKT1_PKT2_S7_PT3_21rocsparse_index_base_b.private_seg_size, 0
	.set _ZL33csrmvn_symm_large_adaptive_kernelIli18rocsparse_bfloat16S0_ffEvbT_PKS1_N9rocsparse24const_host_device_scalarIT4_EES3_PKT0_PKT1_PKT2_S7_PT3_21rocsparse_index_base_b.uses_vcc, 1
	.set _ZL33csrmvn_symm_large_adaptive_kernelIli18rocsparse_bfloat16S0_ffEvbT_PKS1_N9rocsparse24const_host_device_scalarIT4_EES3_PKT0_PKT1_PKT2_S7_PT3_21rocsparse_index_base_b.uses_flat_scratch, 0
	.set _ZL33csrmvn_symm_large_adaptive_kernelIli18rocsparse_bfloat16S0_ffEvbT_PKS1_N9rocsparse24const_host_device_scalarIT4_EES3_PKT0_PKT1_PKT2_S7_PT3_21rocsparse_index_base_b.has_dyn_sized_stack, 0
	.set _ZL33csrmvn_symm_large_adaptive_kernelIli18rocsparse_bfloat16S0_ffEvbT_PKS1_N9rocsparse24const_host_device_scalarIT4_EES3_PKT0_PKT1_PKT2_S7_PT3_21rocsparse_index_base_b.has_recursion, 0
	.set _ZL33csrmvn_symm_large_adaptive_kernelIli18rocsparse_bfloat16S0_ffEvbT_PKS1_N9rocsparse24const_host_device_scalarIT4_EES3_PKT0_PKT1_PKT2_S7_PT3_21rocsparse_index_base_b.has_indirect_call, 0
	.section	.AMDGPU.csdata,"",@progbits
; Kernel info:
; codeLenInByte = 1416
; TotalNumSgprs: 50
; NumVgprs: 17
; NumAgprs: 0
; TotalNumVgprs: 17
; ScratchSize: 0
; MemoryBound: 0
; FloatMode: 240
; IeeeMode: 1
; LDSByteSize: 4096 bytes/workgroup (compile time only)
; SGPRBlocks: 6
; VGPRBlocks: 2
; NumSGPRsForWavesPerEU: 50
; NumVGPRsForWavesPerEU: 17
; AccumOffset: 20
; Occupancy: 8
; WaveLimiterHint : 1
; COMPUTE_PGM_RSRC2:SCRATCH_EN: 0
; COMPUTE_PGM_RSRC2:USER_SGPR: 2
; COMPUTE_PGM_RSRC2:TRAP_HANDLER: 0
; COMPUTE_PGM_RSRC2:TGID_X_EN: 1
; COMPUTE_PGM_RSRC2:TGID_Y_EN: 0
; COMPUTE_PGM_RSRC2:TGID_Z_EN: 0
; COMPUTE_PGM_RSRC2:TIDIG_COMP_CNT: 0
; COMPUTE_PGM_RSRC3_GFX90A:ACCUM_OFFSET: 4
; COMPUTE_PGM_RSRC3_GFX90A:TG_SPLIT: 0
	.section	.text._ZN9rocsparseL22csrmvn_adaptive_kernelIll18rocsparse_bfloat16S1_ffEEvbT_PKS2_PjPKT0_NS_24const_host_device_scalarIT4_EES4_S8_PKT1_PKT2_SB_PT3_21rocsparse_index_base_b,"axG",@progbits,_ZN9rocsparseL22csrmvn_adaptive_kernelIll18rocsparse_bfloat16S1_ffEEvbT_PKS2_PjPKT0_NS_24const_host_device_scalarIT4_EES4_S8_PKT1_PKT2_SB_PT3_21rocsparse_index_base_b,comdat
	.globl	_ZN9rocsparseL22csrmvn_adaptive_kernelIll18rocsparse_bfloat16S1_ffEEvbT_PKS2_PjPKT0_NS_24const_host_device_scalarIT4_EES4_S8_PKT1_PKT2_SB_PT3_21rocsparse_index_base_b ; -- Begin function _ZN9rocsparseL22csrmvn_adaptive_kernelIll18rocsparse_bfloat16S1_ffEEvbT_PKS2_PjPKT0_NS_24const_host_device_scalarIT4_EES4_S8_PKT1_PKT2_SB_PT3_21rocsparse_index_base_b
	.p2align	8
	.type	_ZN9rocsparseL22csrmvn_adaptive_kernelIll18rocsparse_bfloat16S1_ffEEvbT_PKS2_PjPKT0_NS_24const_host_device_scalarIT4_EES4_S8_PKT1_PKT2_SB_PT3_21rocsparse_index_base_b,@function
_ZN9rocsparseL22csrmvn_adaptive_kernelIll18rocsparse_bfloat16S1_ffEEvbT_PKS2_PjPKT0_NS_24const_host_device_scalarIT4_EES4_S8_PKT1_PKT2_SB_PT3_21rocsparse_index_base_b: ; @_ZN9rocsparseL22csrmvn_adaptive_kernelIll18rocsparse_bfloat16S1_ffEEvbT_PKS2_PjPKT0_NS_24const_host_device_scalarIT4_EES4_S8_PKT1_PKT2_SB_PT3_21rocsparse_index_base_b
; %bb.0:
	s_load_dwordx2 s[48:49], s[0:1], 0x60
	s_load_dwordx2 s[46:47], s[0:1], 0x28
	;; [unrolled: 1-line block ×3, first 2 shown]
	s_waitcnt lgkmcnt(0)
	s_bitcmp1_b32 s49, 0
	s_cselect_b64 s[6:7], -1, 0
	s_xor_b64 s[4:5], s[6:7], -1
	s_and_b64 vcc, exec, s[6:7]
	s_cbranch_vccnz .LBB79_2
; %bb.1:
	s_load_dword s46, s[46:47], 0x0
.LBB79_2:
	s_andn2_b64 vcc, exec, s[4:5]
	s_cbranch_vccnz .LBB79_4
; %bb.3:
	s_load_dword s22, s[22:23], 0x0
.LBB79_4:
	s_waitcnt lgkmcnt(0)
	v_cmp_neq_f32_e64 s[4:5], s46, 0
	v_cmp_neq_f32_e64 s[6:7], s22, 1.0
	s_or_b64 s[4:5], s[4:5], s[6:7]
	s_andn2_b64 vcc, exec, s[4:5]
	s_cbranch_vccnz .LBB79_114
; %bb.5:
	s_load_dwordx2 s[4:5], s[0:1], 0x10
	s_load_dwordx2 s[6:7], s[0:1], 0x20
	s_ashr_i32 s3, s2, 31
	s_lshl_b64 s[8:9], s[2:3], 3
	s_waitcnt lgkmcnt(0)
	s_add_u32 s4, s4, s8
	s_addc_u32 s5, s5, s9
	s_load_dwordx4 s[36:39], s[4:5], 0x0
	s_load_dwordx2 s[34:35], s[0:1], 0x58
	s_load_dwordx8 s[24:31], s[0:1], 0x30
	s_waitcnt lgkmcnt(0)
	s_sub_u32 s4, s38, s36
	s_subb_u32 s5, s39, s37
	s_add_u32 s6, s6, s8
	s_addc_u32 s7, s7, s9
	s_lshl_b64 s[8:9], s[36:37], 3
	s_add_u32 s44, s24, s8
	s_addc_u32 s45, s25, s9
	s_load_dwordx2 s[40:41], s[6:7], 0x0
	s_load_dwordx2 s[42:43], s[44:45], 0x0
	v_cmp_lt_i64_e64 s[8:9], s[4:5], 2
	s_mov_b64 s[6:7], -1
	s_and_b64 vcc, exec, s[8:9]
	s_cbranch_vccz .LBB79_70
; %bb.6:
	s_cmp_lg_u64 s[4:5], 1
	s_cselect_b64 s[4:5], -1, 0
	s_waitcnt lgkmcnt(0)
	s_cmp_lg_u64 s[40:41], 0
	s_cselect_b64 s[6:7], -1, 0
	s_or_b64 s[4:5], s[4:5], s[6:7]
	s_mov_b64 s[18:19], -1
	s_and_b64 vcc, exec, s[4:5]
	v_cmp_gt_u32_e64 s[4:5], 64, v0
	v_cmp_gt_u32_e64 s[6:7], 32, v0
	;; [unrolled: 1-line block ×6, first 2 shown]
	v_cmp_eq_u32_e64 s[16:17], 0, v0
	s_cbranch_vccnz .LBB79_34
; %bb.7:
	v_subrev_co_u32_e32 v2, vcc, s48, v0
	v_cmp_neq_f32_e64 s[20:21], s22, 0
	s_nop 0
	v_subb_co_u32_e64 v3, s[18:19], 0, 0, vcc
	s_movk_i32 s18, 0x80
	v_cndmask_b32_e64 v4, 0, 1, s[20:21]
	v_mov_b32_e32 v1, 0
	v_lshlrev_b32_e32 v12, 2, v0
	v_cmp_gt_u32_e64 s[18:19], s18, v0
	s_mov_b64 s[50:51], 0x100
	s_mov_b64 s[52:53], 0x200
	;; [unrolled: 1-line block ×3, first 2 shown]
	v_cmp_ne_u32_e64 s[20:21], 1, v4
	v_mov_b64_e32 v[4:5], s[38:39]
	s_mov_b64 s[56:57], s[36:37]
	s_branch .LBB79_10
.LBB79_8:                               ;   in Loop: Header=BB79_10 Depth=1
	s_lshl_b64 s[60:61], s[56:57], 2
	s_add_u32 s60, s34, s60
	s_addc_u32 s61, s35, s61
	s_waitcnt lgkmcnt(0)
	global_store_dword v1, v6, s[60:61]
.LBB79_9:                               ;   in Loop: Header=BB79_10 Depth=1
	s_or_b64 exec, exec, s[58:59]
	s_add_u32 s56, s56, 1
	s_addc_u32 s57, s57, 0
	v_cmp_ge_i64_e32 vcc, s[56:57], v[4:5]
	s_cbranch_vccnz .LBB79_33
.LBB79_10:                              ; =>This Loop Header: Depth=1
                                        ;     Child Loop BB79_12 Depth 2
	s_lshl_b64 s[58:59], s[56:57], 3
	s_add_u32 s58, s24, s58
	s_addc_u32 s59, s25, s59
	s_load_dwordx4 s[60:63], s[58:59], 0x0
	v_mov_b32_e32 v13, 0
	s_waitcnt lgkmcnt(0)
	s_sub_u32 s58, s62, s48
	v_lshl_add_u64 v[6:7], s[60:61], 0, v[2:3]
	s_subb_u32 s59, s63, 0
	v_cmp_gt_i64_e32 vcc, s[58:59], v[6:7]
	s_and_saveexec_b64 s[60:61], vcc
	s_cbranch_execz .LBB79_14
; %bb.11:                               ;   in Loop: Header=BB79_10 Depth=1
	v_lshl_add_u64 v[8:9], v[6:7], 1, s[28:29]
	v_lshl_add_u64 v[10:11], v[6:7], 3, s[26:27]
	v_mov_b32_e32 v13, 0
	s_mov_b64 s[62:63], 0
.LBB79_12:                              ;   Parent Loop BB79_10 Depth=1
                                        ; =>  This Inner Loop Header: Depth=2
	global_load_dwordx2 v[14:15], v[10:11], off
	global_load_ushort v16, v[8:9], off
	v_lshl_add_u64 v[6:7], v[6:7], 0, s[50:51]
	v_lshl_add_u64 v[8:9], v[8:9], 0, s[52:53]
	;; [unrolled: 1-line block ×3, first 2 shown]
	s_waitcnt vmcnt(1)
	v_subrev_co_u32_e32 v14, vcc, s48, v14
	s_nop 1
	v_subbrev_co_u32_e32 v15, vcc, 0, v15, vcc
	v_lshl_add_u64 v[14:15], v[14:15], 1, s[30:31]
	global_load_ushort v14, v[14:15], off
	s_waitcnt vmcnt(1)
	v_lshlrev_b32_e32 v15, 16, v16
	v_cmp_le_i64_e32 vcc, s[58:59], v[6:7]
	v_mul_f32_e32 v15, s46, v15
	s_or_b64 s[62:63], vcc, s[62:63]
	s_waitcnt vmcnt(0)
	v_lshlrev_b32_e32 v14, 16, v14
	v_fmac_f32_e32 v13, v15, v14
	s_andn2_b64 exec, exec, s[62:63]
	s_cbranch_execnz .LBB79_12
; %bb.13:                               ;   in Loop: Header=BB79_10 Depth=1
	s_or_b64 exec, exec, s[62:63]
.LBB79_14:                              ;   in Loop: Header=BB79_10 Depth=1
	s_or_b64 exec, exec, s[60:61]
	ds_write_b32 v12, v13
	s_waitcnt lgkmcnt(0)
	s_barrier
	s_and_saveexec_b64 s[58:59], s[18:19]
	s_cbranch_execz .LBB79_16
; %bb.15:                               ;   in Loop: Header=BB79_10 Depth=1
	ds_read2st64_b32 v[6:7], v12 offset1:2
	s_waitcnt lgkmcnt(0)
	v_add_f32_e32 v6, v6, v7
	ds_write_b32 v12, v6
.LBB79_16:                              ;   in Loop: Header=BB79_10 Depth=1
	s_or_b64 exec, exec, s[58:59]
	s_waitcnt lgkmcnt(0)
	s_barrier
	s_and_saveexec_b64 s[58:59], s[4:5]
	s_cbranch_execz .LBB79_18
; %bb.17:                               ;   in Loop: Header=BB79_10 Depth=1
	ds_read2st64_b32 v[6:7], v12 offset1:1
	s_waitcnt lgkmcnt(0)
	v_add_f32_e32 v6, v6, v7
	ds_write_b32 v12, v6
.LBB79_18:                              ;   in Loop: Header=BB79_10 Depth=1
	s_or_b64 exec, exec, s[58:59]
	s_waitcnt lgkmcnt(0)
	s_barrier
	s_and_saveexec_b64 s[58:59], s[6:7]
	s_cbranch_execz .LBB79_20
; %bb.19:                               ;   in Loop: Header=BB79_10 Depth=1
	ds_read2_b32 v[6:7], v12 offset1:32
	s_waitcnt lgkmcnt(0)
	v_add_f32_e32 v6, v6, v7
	ds_write_b32 v12, v6
.LBB79_20:                              ;   in Loop: Header=BB79_10 Depth=1
	s_or_b64 exec, exec, s[58:59]
	s_waitcnt lgkmcnt(0)
	s_barrier
	s_and_saveexec_b64 s[58:59], s[8:9]
	s_cbranch_execz .LBB79_22
; %bb.21:                               ;   in Loop: Header=BB79_10 Depth=1
	ds_read2_b32 v[6:7], v12 offset1:16
	s_waitcnt lgkmcnt(0)
	v_add_f32_e32 v6, v6, v7
	ds_write_b32 v12, v6
.LBB79_22:                              ;   in Loop: Header=BB79_10 Depth=1
	;; [unrolled: 11-line block ×5, first 2 shown]
	s_or_b64 exec, exec, s[58:59]
	s_waitcnt lgkmcnt(0)
	s_barrier
	s_and_saveexec_b64 s[58:59], s[16:17]
	s_cbranch_execz .LBB79_30
; %bb.29:                               ;   in Loop: Header=BB79_10 Depth=1
	ds_read_b64 v[6:7], v1
	s_waitcnt lgkmcnt(0)
	v_add_f32_e32 v6, v6, v7
	ds_write_b32 v1, v6
.LBB79_30:                              ;   in Loop: Header=BB79_10 Depth=1
	s_or_b64 exec, exec, s[58:59]
	s_waitcnt lgkmcnt(0)
	s_barrier
	s_and_saveexec_b64 s[58:59], s[16:17]
	s_cbranch_execz .LBB79_9
; %bb.31:                               ;   in Loop: Header=BB79_10 Depth=1
	ds_read_b32 v6, v1
	s_and_b64 vcc, exec, s[20:21]
	s_cbranch_vccnz .LBB79_8
; %bb.32:                               ;   in Loop: Header=BB79_10 Depth=1
	s_lshl_b64 s[60:61], s[56:57], 2
	s_add_u32 s60, s34, s60
	s_addc_u32 s61, s35, s61
	global_load_dword v7, v1, s[60:61]
	s_waitcnt vmcnt(0) lgkmcnt(0)
	v_fmac_f32_e32 v6, s22, v7
	s_branch .LBB79_8
.LBB79_33:
	s_mov_b64 s[18:19], 0
.LBB79_34:
	s_and_b64 vcc, exec, s[18:19]
	s_cbranch_vccz .LBB79_69
; %bb.35:
	s_load_dwordx2 s[6:7], s[0:1], 0x18
	s_sub_u32 s8, s2, s40
	s_subb_u32 s9, s3, s41
	s_lshl_b64 s[2:3], s[2:3], 2
	v_mov_b32_e32 v1, 0
	s_waitcnt lgkmcnt(0)
	s_add_u32 s4, s6, s2
	s_addc_u32 s5, s7, s3
	global_load_dword v8, v1, s[4:5]
	s_cmp_lg_u64 s[40:41], 0
	s_cselect_b64 s[10:11], -1, 0
	s_cmp_eq_u64 s[40:41], 0
	s_cselect_b64 s[2:3], -1, 0
	v_cmp_eq_u32_e32 vcc, 0, v0
	s_and_b64 s[2:3], vcc, s[2:3]
	v_mov_b32_e32 v9, 0
	s_and_saveexec_b64 s[12:13], s[2:3]
	s_cbranch_execz .LBB79_39
; %bb.36:
	s_lshl_b64 s[2:3], s[36:37], 2
	s_add_u32 s2, s34, s2
	s_addc_u32 s3, s35, s3
	v_mov_b32_e32 v4, 0
	global_load_dword v2, v4, s[2:3]
	s_mov_b64 s[14:15], exec
	v_mbcnt_lo_u32_b32 v5, s14, 0
	v_mbcnt_hi_u32_b32 v5, s15, v5
	v_add_f32_e64 v3, s22, -1.0
	v_cmp_eq_u32_e64 s[2:3], 0, v5
	s_waitcnt vmcnt(0) expcnt(0) lgkmcnt(0)
	s_and_saveexec_b64 s[16:17], s[2:3]
	s_cbranch_execz .LBB79_38
; %bb.37:
	s_lshl_b64 s[2:3], s[8:9], 2
	s_add_u32 s2, s6, s2
	s_addc_u32 s3, s7, s3
	s_bcnt1_i32_b64 s14, s[14:15]
	s_and_b32 s14, s14, 1
	v_mov_b32_e32 v5, s14
	global_atomic_xor v4, v5, s[2:3]
.LBB79_38:
	s_or_b64 exec, exec, s[16:17]
	v_mul_f32_e32 v9, v3, v2
.LBB79_39:
	s_or_b64 exec, exec, s[12:13]
	s_mul_i32 s2, s41, 0xc00
	s_mul_hi_u32 s3, s40, 0xc00
	s_add_i32 s12, s3, s2
	s_load_dwordx2 s[2:3], s[44:45], 0x8
	s_sub_u32 s14, s42, s48
	s_mul_i32 s13, s40, 0xc00
	s_subb_u32 s15, s43, 0
	s_add_u32 s16, s14, s13
	s_addc_u32 s17, s15, s12
	s_waitcnt lgkmcnt(0)
	s_sub_u32 s14, s2, s48
	s_subb_u32 s15, s3, 0
	v_lshl_add_u64 v[2:3], s[16:17], 0, v[0:1]
	v_cmp_gt_i64_e64 s[2:3], s[14:15], v[2:3]
	s_and_saveexec_b64 s[12:13], s[2:3]
	s_cbranch_execz .LBB79_43
; %bb.40:
	s_add_u32 s16, s16, 0xc00
	s_addc_u32 s17, s17, 0
	v_mov_b64_e32 v[4:5], s[14:15]
	v_cmp_lt_i64_e64 s[2:3], s[16:17], v[4:5]
	s_and_b64 s[2:3], s[2:3], exec
	s_cselect_b32 s15, s17, s15
	s_cselect_b32 s14, s16, s14
	v_lshl_add_u64 v[4:5], v[2:3], 1, s[28:29]
	v_lshl_add_u64 v[6:7], v[2:3], 3, s[26:27]
	s_mov_b64 s[16:17], 0
	s_mov_b64 s[18:19], 0x100
	;; [unrolled: 1-line block ×4, first 2 shown]
.LBB79_41:                              ; =>This Inner Loop Header: Depth=1
	global_load_dwordx2 v[10:11], v[6:7], off
	global_load_ushort v1, v[4:5], off
	v_lshl_add_u64 v[2:3], v[2:3], 0, s[18:19]
	v_lshl_add_u64 v[4:5], v[4:5], 0, s[20:21]
	v_lshl_add_u64 v[6:7], v[6:7], 0, s[50:51]
	s_waitcnt vmcnt(1)
	v_subrev_co_u32_e64 v10, s[2:3], s48, v10
	s_nop 1
	v_subbrev_co_u32_e64 v11, s[2:3], 0, v11, s[2:3]
	v_lshl_add_u64 v[10:11], v[10:11], 1, s[30:31]
	global_load_ushort v10, v[10:11], off
	s_waitcnt vmcnt(1)
	v_lshlrev_b32_e32 v1, 16, v1
	v_cmp_le_i64_e64 s[2:3], s[14:15], v[2:3]
	v_mul_f32_e32 v1, s46, v1
	s_or_b64 s[16:17], s[2:3], s[16:17]
	s_waitcnt vmcnt(0)
	v_lshlrev_b32_e32 v10, 16, v10
	v_fmac_f32_e32 v9, v1, v10
	s_andn2_b64 exec, exec, s[16:17]
	s_cbranch_execnz .LBB79_41
; %bb.42:
	s_or_b64 exec, exec, s[16:17]
.LBB79_43:
	s_or_b64 exec, exec, s[12:13]
	s_movk_i32 s2, 0x80
	v_lshlrev_b32_e32 v1, 2, v0
	v_cmp_gt_u32_e64 s[2:3], s2, v0
	ds_write_b32 v1, v9
	s_waitcnt lgkmcnt(0)
	s_barrier
	s_and_saveexec_b64 s[12:13], s[2:3]
	s_cbranch_execz .LBB79_45
; %bb.44:
	ds_read2st64_b32 v[2:3], v1 offset1:2
	s_waitcnt lgkmcnt(0)
	v_add_f32_e32 v2, v2, v3
	ds_write_b32 v1, v2
.LBB79_45:
	s_or_b64 exec, exec, s[12:13]
	v_cmp_gt_u32_e64 s[2:3], 64, v0
	s_waitcnt lgkmcnt(0)
	s_barrier
	s_and_saveexec_b64 s[12:13], s[2:3]
	s_cbranch_execz .LBB79_47
; %bb.46:
	ds_read2st64_b32 v[2:3], v1 offset1:1
	s_waitcnt lgkmcnt(0)
	v_add_f32_e32 v2, v2, v3
	ds_write_b32 v1, v2
.LBB79_47:
	s_or_b64 exec, exec, s[12:13]
	v_cmp_gt_u32_e64 s[2:3], 32, v0
	s_waitcnt lgkmcnt(0)
	s_barrier
	s_and_saveexec_b64 s[12:13], s[2:3]
	s_cbranch_execz .LBB79_49
; %bb.48:
	ds_read2_b32 v[2:3], v1 offset1:32
	s_waitcnt lgkmcnt(0)
	v_add_f32_e32 v2, v2, v3
	ds_write_b32 v1, v2
.LBB79_49:
	s_or_b64 exec, exec, s[12:13]
	v_cmp_gt_u32_e64 s[2:3], 16, v0
	s_waitcnt lgkmcnt(0)
	s_barrier
	s_and_saveexec_b64 s[12:13], s[2:3]
	s_cbranch_execz .LBB79_51
; %bb.50:
	ds_read2_b32 v[2:3], v1 offset1:16
	s_waitcnt lgkmcnt(0)
	v_add_f32_e32 v2, v2, v3
	ds_write_b32 v1, v2
.LBB79_51:
	;; [unrolled: 12-line block ×5, first 2 shown]
	s_or_b64 exec, exec, s[12:13]
	s_waitcnt lgkmcnt(0)
	s_barrier
	s_and_saveexec_b64 s[2:3], vcc
	s_cbranch_execz .LBB79_59
; %bb.58:
	v_mov_b32_e32 v1, 0
	ds_read_b64 v[2:3], v1
	s_waitcnt lgkmcnt(0)
	v_add_f32_e32 v2, v2, v3
	ds_write_b32 v1, v2
.LBB79_59:
	s_or_b64 exec, exec, s[2:3]
	s_waitcnt lgkmcnt(0)
	s_barrier
	s_and_saveexec_b64 s[2:3], vcc
	s_cbranch_execz .LBB79_68
; %bb.60:
	s_andn2_b64 vcc, exec, s[10:11]
	s_cbranch_vccnz .LBB79_66
; %bb.61:
	s_lshl_b64 s[8:9], s[8:9], 2
	s_add_u32 s6, s6, s8
	s_addc_u32 s7, s7, s9
	v_mov_b32_e32 v1, 0
	s_branch .LBB79_63
.LBB79_62:                              ;   in Loop: Header=BB79_63 Depth=1
	s_or_b64 exec, exec, s[8:9]
	s_waitcnt vmcnt(0)
	v_readfirstlane_b32 s8, v2
	s_nop 1
	v_cmp_eq_u32_e32 vcc, s8, v8
	s_cbranch_vccz .LBB79_65
.LBB79_63:                              ; =>This Inner Loop Header: Depth=1
	v_mbcnt_lo_u32_b32 v2, exec_lo, 0
	v_mbcnt_hi_u32_b32 v2, exec_hi, v2
	v_cmp_eq_u32_e32 vcc, 0, v2
                                        ; implicit-def: $vgpr2
	s_and_saveexec_b64 s[8:9], vcc
	s_cbranch_execz .LBB79_62
; %bb.64:                               ;   in Loop: Header=BB79_63 Depth=1
	global_load_dword v2, v1, s[6:7] sc1
	s_branch .LBB79_62
.LBB79_65:
	v_mov_b32_e32 v1, 0
	global_load_ushort v2, v1, s[4:5]
	s_waitcnt vmcnt(0)
	v_xor_b32_e32 v2, 1, v2
	global_store_short v1, v2, s[4:5]
.LBB79_66:
	s_mov_b64 s[4:5], exec
	v_mbcnt_lo_u32_b32 v1, s4, 0
	v_mbcnt_hi_u32_b32 v1, s5, v1
	v_cmp_eq_u32_e32 vcc, 0, v1
	s_and_b64 s[6:7], exec, vcc
	s_mov_b64 exec, s[6:7]
	s_cbranch_execz .LBB79_68
; %bb.67:
	v_mov_b32_e32 v1, 0
	ds_read_b32 v2, v1
	s_lshl_b64 s[6:7], s[36:37], 2
	s_add_u32 s6, s34, s6
	s_addc_u32 s7, s35, s7
	s_bcnt1_i32_b64 s4, s[4:5]
	v_cvt_f32_ubyte0_e32 v3, s4
	s_waitcnt lgkmcnt(0)
	v_mul_f32_e32 v2, v2, v3
	global_atomic_add_f32 v1, v2, s[6:7]
.LBB79_68:
	s_or_b64 exec, exec, s[2:3]
.LBB79_69:
	s_mov_b64 s[6:7], 0
.LBB79_70:
	s_andn2_b64 vcc, exec, s[6:7]
	s_cbranch_vccnz .LBB79_114
; %bb.71:
	s_load_dwordx2 s[0:1], s[0:1], 0x8
	v_subrev_co_u32_e32 v2, vcc, s48, v0
	v_mov_b32_e32 v1, 0
	s_nop 0
	v_subb_co_u32_e64 v3, s[2:3], 0, 0, vcc
	s_waitcnt lgkmcnt(0)
	v_lshl_add_u64 v[2:3], s[42:43], 0, v[2:3]
	s_mov_b64 s[2:3], 0x300
	v_lshl_add_u64 v[4:5], v[2:3], 0, s[2:3]
	v_cmp_le_i64_e32 vcc, s[0:1], v[4:5]
	s_and_saveexec_b64 s[0:1], vcc
	s_xor_b64 s[0:1], exec, s[0:1]
	s_cbranch_execz .LBB79_76
; %bb.72:
	s_lshl_b64 s[2:3], s[38:39], 3
	s_add_u32 s2, s24, s2
	s_addc_u32 s3, s25, s3
	s_load_dwordx2 s[2:3], s[2:3], 0x0
	s_waitcnt lgkmcnt(0)
	s_sub_u32 s2, s2, s48
	s_subb_u32 s3, s3, 0
	v_cmp_gt_i64_e32 vcc, s[2:3], v[2:3]
	s_and_saveexec_b64 s[4:5], vcc
	s_cbranch_execz .LBB79_75
; %bb.73:
	s_waitcnt vmcnt(0)
	v_lshlrev_b32_e32 v8, 2, v0
	v_lshl_add_u64 v[4:5], v[2:3], 1, s[28:29]
	v_lshl_add_u64 v[6:7], v[2:3], 3, s[26:27]
	s_mov_b64 s[6:7], 0
	s_mov_b64 s[8:9], 0x100
	;; [unrolled: 1-line block ×4, first 2 shown]
.LBB79_74:                              ; =>This Inner Loop Header: Depth=1
	global_load_dwordx2 v[10:11], v[6:7], off
	global_load_ushort v9, v[4:5], off
	v_lshl_add_u64 v[2:3], v[2:3], 0, s[8:9]
	v_lshl_add_u64 v[4:5], v[4:5], 0, s[10:11]
	;; [unrolled: 1-line block ×3, first 2 shown]
	s_waitcnt vmcnt(1)
	v_subrev_co_u32_e32 v10, vcc, s48, v10
	s_nop 1
	v_subbrev_co_u32_e32 v11, vcc, 0, v11, vcc
	v_lshl_add_u64 v[10:11], v[10:11], 1, s[30:31]
	global_load_ushort v10, v[10:11], off
	s_waitcnt vmcnt(1)
	v_lshlrev_b32_e32 v9, 16, v9
	v_mul_f32_e32 v9, s46, v9
	v_cmp_le_i64_e32 vcc, s[2:3], v[2:3]
	s_or_b64 s[6:7], vcc, s[6:7]
	s_waitcnt vmcnt(0)
	v_lshlrev_b32_e32 v10, 16, v10
	v_mul_f32_e32 v9, v9, v10
	ds_write_b32 v8, v9
	v_add_u32_e32 v8, 0x400, v8
	s_andn2_b64 exec, exec, s[6:7]
	s_cbranch_execnz .LBB79_74
.LBB79_75:
	s_or_b64 exec, exec, s[4:5]
                                        ; implicit-def: $vgpr2_vgpr3
.LBB79_76:
	s_or_saveexec_b64 s[0:1], s[0:1]
	v_lshlrev_b32_e32 v10, 2, v0
	s_xor_b64 exec, exec, s[0:1]
	s_cbranch_execz .LBB79_78
; %bb.77:
	v_lshl_add_u64 v[4:5], v[2:3], 3, s[26:27]
	global_load_dwordx2 v[6:7], v[4:5], off
	global_load_dwordx2 v[8:9], v[4:5], off offset:2048
	s_movk_i32 s2, 0x1000
	v_add_co_u32_e32 v4, vcc, s2, v4
	v_lshl_add_u64 v[2:3], v[2:3], 1, s[28:29]
	s_nop 0
	v_addc_co_u32_e32 v5, vcc, 0, v5, vcc
	global_load_dwordx2 v[12:13], v[4:5], off
	global_load_dwordx2 v[14:15], v[4:5], off offset:2048
	global_load_ushort v11, v[2:3], off
	global_load_ushort v16, v[2:3], off offset:512
	global_load_ushort v17, v[2:3], off offset:1024
	;; [unrolled: 1-line block ×3, first 2 shown]
	s_waitcnt vmcnt(7)
	v_subrev_co_u32_e32 v2, vcc, s48, v6
	s_nop 1
	v_subbrev_co_u32_e32 v3, vcc, 0, v7, vcc
	s_waitcnt vmcnt(6)
	v_subrev_co_u32_e32 v4, vcc, s48, v8
	v_lshl_add_u64 v[2:3], v[2:3], 1, s[30:31]
	s_nop 0
	v_subbrev_co_u32_e32 v5, vcc, 0, v9, vcc
	s_waitcnt vmcnt(5)
	v_subrev_co_u32_e32 v6, vcc, s48, v12
	v_lshl_add_u64 v[4:5], v[4:5], 1, s[30:31]
	s_nop 0
	v_subbrev_co_u32_e32 v7, vcc, 0, v13, vcc
	s_waitcnt vmcnt(4)
	v_subrev_co_u32_e32 v8, vcc, s48, v14
	global_load_ushort v12, v[2:3], off
	global_load_ushort v13, v[4:5], off
	v_subbrev_co_u32_e32 v9, vcc, 0, v15, vcc
	v_lshl_add_u64 v[2:3], v[6:7], 1, s[30:31]
	v_lshl_add_u64 v[4:5], v[8:9], 1, s[30:31]
	global_load_ushort v6, v[2:3], off
	global_load_ushort v7, v[4:5], off
	s_waitcnt vmcnt(7)
	v_lshlrev_b32_e32 v2, 16, v11
	s_waitcnt vmcnt(6)
	v_lshlrev_b32_e32 v3, 16, v16
	s_waitcnt vmcnt(5)
	v_lshlrev_b32_e32 v4, 16, v17
	s_waitcnt vmcnt(4)
	v_lshlrev_b32_e32 v5, 16, v18
	v_mul_f32_e32 v2, s46, v2
	v_mul_f32_e32 v3, s46, v3
	;; [unrolled: 1-line block ×4, first 2 shown]
	s_waitcnt vmcnt(3)
	v_lshlrev_b32_e32 v8, 16, v12
	s_waitcnt vmcnt(2)
	v_lshlrev_b32_e32 v9, 16, v13
	v_mul_f32_e32 v2, v2, v8
	v_mul_f32_e32 v3, v3, v9
	ds_write2st64_b32 v10, v2, v3 offset1:4
	s_waitcnt vmcnt(1)
	v_lshlrev_b32_e32 v6, 16, v6
	s_waitcnt vmcnt(0)
	v_lshlrev_b32_e32 v7, 16, v7
	v_mul_f32_e32 v2, v4, v6
	v_mul_f32_e32 v3, v5, v7
	ds_write2st64_b32 v10, v2, v3 offset0:8 offset1:12
.LBB79_78:
	s_or_b64 exec, exec, s[0:1]
	v_cmp_lt_i64_e64 s[2:3], s[40:41], 2
	s_mov_b64 s[0:1], -1
	s_and_b64 vcc, exec, s[2:3]
	s_waitcnt lgkmcnt(0)
	s_barrier
	s_cbranch_vccz .LBB79_89
; %bb.79:
	v_lshl_add_u64 v[6:7], s[36:37], 0, v[0:1]
	v_cmp_gt_i64_e32 vcc, s[38:39], v[6:7]
	s_and_saveexec_b64 s[0:1], vcc
	s_cbranch_execz .LBB79_88
; %bb.80:
	s_lshl_b32 s4, s42, 2
	v_cmp_neq_f32_e64 s[2:3], s22, 0
	s_sub_i32 s12, 0, s4
	s_mov_b64 s[4:5], 0
	s_mov_b64 s[6:7], 0x100
	s_branch .LBB79_82
.LBB79_81:                              ;   in Loop: Header=BB79_82 Depth=1
	v_lshl_add_u64 v[6:7], v[6:7], 0, s[6:7]
	v_cmp_le_i64_e32 vcc, s[38:39], v[6:7]
	s_or_b64 s[4:5], vcc, s[4:5]
	global_store_dword v[2:3], v1, off
	s_andn2_b64 exec, exec, s[4:5]
	s_cbranch_execz .LBB79_88
.LBB79_82:                              ; =>This Loop Header: Depth=1
                                        ;     Child Loop BB79_84 Depth 2
	v_lshl_add_u64 v[2:3], v[6:7], 3, s[24:25]
	global_load_dwordx4 v[2:5], v[2:3], off
	v_mov_b32_e32 v1, 0
	s_waitcnt vmcnt(0)
	v_cmp_lt_i64_e32 vcc, v[2:3], v[4:5]
	s_and_saveexec_b64 s[8:9], vcc
	s_cbranch_execz .LBB79_86
; %bb.83:                               ;   in Loop: Header=BB79_82 Depth=1
	v_mov_b32_e32 v1, s43
	v_subrev_co_u32_e32 v4, vcc, s42, v4
	s_mov_b64 s[10:11], 0
	s_nop 0
	v_subb_co_u32_e32 v5, vcc, v5, v1, vcc
	v_subrev_co_u32_e32 v8, vcc, s42, v2
	v_lshl_add_u32 v2, v2, 2, s12
	s_nop 0
	v_subb_co_u32_e32 v9, vcc, v3, v1, vcc
	v_mov_b32_e32 v1, 0
.LBB79_84:                              ;   Parent Loop BB79_82 Depth=1
                                        ; =>  This Inner Loop Header: Depth=2
	ds_read_b32 v3, v2
	v_lshl_add_u64 v[8:9], v[8:9], 0, 1
	v_cmp_ge_i64_e32 vcc, v[8:9], v[4:5]
	v_add_u32_e32 v2, 4, v2
	s_or_b64 s[10:11], vcc, s[10:11]
	s_waitcnt lgkmcnt(0)
	v_add_f32_e32 v1, v1, v3
	s_andn2_b64 exec, exec, s[10:11]
	s_cbranch_execnz .LBB79_84
; %bb.85:                               ;   in Loop: Header=BB79_82 Depth=1
	s_or_b64 exec, exec, s[10:11]
.LBB79_86:                              ;   in Loop: Header=BB79_82 Depth=1
	s_or_b64 exec, exec, s[8:9]
	s_and_b64 vcc, exec, s[2:3]
	v_lshl_add_u64 v[2:3], v[6:7], 2, s[34:35]
	s_cbranch_vccz .LBB79_81
; %bb.87:                               ;   in Loop: Header=BB79_82 Depth=1
	global_load_dword v4, v[2:3], off
	s_waitcnt vmcnt(0)
	v_fmac_f32_e32 v1, s22, v4
	s_branch .LBB79_81
.LBB79_88:
	s_or_b64 exec, exec, s[0:1]
	s_mov_b64 s[0:1], 0
.LBB79_89:
	s_andn2_b64 vcc, exec, s[0:1]
	s_cbranch_vccnz .LBB79_114
; %bb.90:
	s_flbit_i32_b32 s0, s40
	s_min_u32 s0, s0, 32
	s_sub_i32 s0, 31, s0
	v_lshrrev_b32_e32 v4, s0, v0
	v_mov_b32_e32 v5, 0
	v_lshl_add_u64 v[2:3], s[36:37], 0, v[4:5]
	s_add_i32 s0, s40, -1
	v_and_b32_e32 v0, s0, v0
	v_mov_b32_e32 v1, v5
	v_cmp_le_i64_e64 s[0:1], s[38:39], v[2:3]
	v_cmp_gt_i64_e32 vcc, s[38:39], v[2:3]
	s_and_saveexec_b64 s[2:3], vcc
	s_cbranch_execz .LBB79_96
; %bb.91:
	v_lshlrev_b32_e32 v4, 3, v4
	global_load_dwordx4 v[4:7], v4, s[44:45]
	v_mov_b32_e32 v9, s43
	s_waitcnt vmcnt(1)
	v_subrev_co_u32_e32 v8, vcc, s42, v0
	v_mov_b32_e32 v11, s43
	s_nop 0
	v_subb_co_u32_e32 v9, vcc, 0, v9, vcc
	s_waitcnt vmcnt(0)
	v_subrev_co_u32_e32 v6, vcc, s42, v6
	s_nop 1
	v_subb_co_u32_e32 v7, vcc, v7, v11, vcc
	v_lshl_add_u64 v[8:9], v[4:5], 0, v[8:9]
	v_cmp_lt_i64_e32 vcc, v[8:9], v[6:7]
	v_mov_b32_e32 v5, 0
	s_and_saveexec_b64 s[4:5], vcc
	s_cbranch_execz .LBB79_95
; %bb.92:
	v_lshlrev_b32_e32 v4, 2, v8
	s_lshl_b32 s8, s40, 2
	v_mov_b32_e32 v5, 0
	s_mov_b64 s[6:7], 0
.LBB79_93:                              ; =>This Inner Loop Header: Depth=1
	ds_read_b32 v11, v4
	v_lshl_add_u64 v[8:9], v[8:9], 0, s[40:41]
	v_cmp_ge_i64_e32 vcc, v[8:9], v[6:7]
	v_add_u32_e32 v4, s8, v4
	s_or_b64 s[6:7], vcc, s[6:7]
	s_waitcnt lgkmcnt(0)
	v_add_f32_e32 v5, v5, v11
	s_andn2_b64 exec, exec, s[6:7]
	s_cbranch_execnz .LBB79_93
; %bb.94:
	s_or_b64 exec, exec, s[6:7]
.LBB79_95:
	s_or_b64 exec, exec, s[4:5]
.LBB79_96:
	s_or_b64 exec, exec, s[2:3]
	v_mov_b64_e32 v[6:7], 0x81
	v_cmp_lt_u64_e32 vcc, s[40:41], v[6:7]
	s_and_b64 vcc, exec, vcc
	s_barrier
	ds_write_b32 v10, v5
	s_waitcnt lgkmcnt(0)
	s_barrier
	s_cbranch_vccnz .LBB79_98
; %bb.97:
	ds_read_b32 v4, v10 offset:512
	s_waitcnt lgkmcnt(0)
	s_barrier
	v_add_f32_e32 v5, v5, v4
	ds_write_b32 v10, v5
.LBB79_98:
	v_mov_b64_e32 v[6:7], 0x41
	v_cmp_lt_u64_e32 vcc, s[40:41], v[6:7]
	s_waitcnt lgkmcnt(0)
	s_barrier
	s_cbranch_vccnz .LBB79_100
; %bb.99:
	ds_read_b32 v4, v10 offset:256
	s_waitcnt lgkmcnt(0)
	s_barrier
	v_add_f32_e32 v5, v5, v4
	ds_write_b32 v10, v5
.LBB79_100:
	v_cmp_lt_u64_e64 s[2:3], s[40:41], 33
	s_and_b64 vcc, exec, s[2:3]
	s_waitcnt lgkmcnt(0)
	s_barrier
	s_cbranch_vccnz .LBB79_102
; %bb.101:
	ds_read_b32 v4, v10 offset:128
	s_waitcnt lgkmcnt(0)
	s_barrier
	v_add_f32_e32 v5, v5, v4
	ds_write_b32 v10, v5
.LBB79_102:
	v_cmp_lt_u64_e64 s[2:3], s[40:41], 17
	s_and_b64 vcc, exec, s[2:3]
	;; [unrolled: 12-line block ×4, first 2 shown]
	s_waitcnt lgkmcnt(0)
	s_barrier
	s_cbranch_vccnz .LBB79_108
; %bb.107:
	ds_read_b32 v4, v10 offset:16
	s_waitcnt lgkmcnt(0)
	s_barrier
	v_add_f32_e32 v5, v5, v4
	ds_write_b32 v10, v5
.LBB79_108:
	s_cmp_eq_u64 s[40:41], 2
	s_waitcnt lgkmcnt(0)
	s_barrier
	s_cbranch_scc1 .LBB79_110
; %bb.109:
	ds_read_b32 v4, v10 offset:8
	s_waitcnt lgkmcnt(0)
	s_barrier
	v_add_f32_e32 v5, v5, v4
	ds_write_b32 v10, v5
.LBB79_110:
	s_waitcnt lgkmcnt(0)
	s_barrier
	ds_read_b32 v4, v10 offset:4
	v_cmp_eq_u64_e32 vcc, 0, v[0:1]
	s_xor_b64 s[0:1], s[0:1], -1
	s_and_b64 s[0:1], vcc, s[0:1]
	s_waitcnt lgkmcnt(0)
	v_add_f32_e32 v4, v5, v4
	s_barrier
	ds_write_b32 v10, v4
	s_and_saveexec_b64 s[2:3], s[0:1]
	s_cbranch_execz .LBB79_114
; %bb.111:
	v_cmp_eq_f32_e64 s[0:1], s22, 0
	s_and_b64 vcc, exec, s[0:1]
	v_lshl_add_u64 v[0:1], v[2:3], 2, s[34:35]
	s_cbranch_vccnz .LBB79_113
; %bb.112:
	global_load_dword v2, v[0:1], off
	s_waitcnt vmcnt(0)
	v_fmac_f32_e32 v4, s22, v2
.LBB79_113:
	global_store_dword v[0:1], v4, off
.LBB79_114:
	s_endpgm
	.section	.rodata,"a",@progbits
	.p2align	6, 0x0
	.amdhsa_kernel _ZN9rocsparseL22csrmvn_adaptive_kernelIll18rocsparse_bfloat16S1_ffEEvbT_PKS2_PjPKT0_NS_24const_host_device_scalarIT4_EES4_S8_PKT1_PKT2_SB_PT3_21rocsparse_index_base_b
		.amdhsa_group_segment_fixed_size 4096
		.amdhsa_private_segment_fixed_size 0
		.amdhsa_kernarg_size 104
		.amdhsa_user_sgpr_count 2
		.amdhsa_user_sgpr_dispatch_ptr 0
		.amdhsa_user_sgpr_queue_ptr 0
		.amdhsa_user_sgpr_kernarg_segment_ptr 1
		.amdhsa_user_sgpr_dispatch_id 0
		.amdhsa_user_sgpr_kernarg_preload_length 0
		.amdhsa_user_sgpr_kernarg_preload_offset 0
		.amdhsa_user_sgpr_private_segment_size 0
		.amdhsa_uses_dynamic_stack 0
		.amdhsa_enable_private_segment 0
		.amdhsa_system_sgpr_workgroup_id_x 1
		.amdhsa_system_sgpr_workgroup_id_y 0
		.amdhsa_system_sgpr_workgroup_id_z 0
		.amdhsa_system_sgpr_workgroup_info 0
		.amdhsa_system_vgpr_workitem_id 0
		.amdhsa_next_free_vgpr 19
		.amdhsa_next_free_sgpr 64
		.amdhsa_accum_offset 20
		.amdhsa_reserve_vcc 1
		.amdhsa_float_round_mode_32 0
		.amdhsa_float_round_mode_16_64 0
		.amdhsa_float_denorm_mode_32 3
		.amdhsa_float_denorm_mode_16_64 3
		.amdhsa_dx10_clamp 1
		.amdhsa_ieee_mode 1
		.amdhsa_fp16_overflow 0
		.amdhsa_tg_split 0
		.amdhsa_exception_fp_ieee_invalid_op 0
		.amdhsa_exception_fp_denorm_src 0
		.amdhsa_exception_fp_ieee_div_zero 0
		.amdhsa_exception_fp_ieee_overflow 0
		.amdhsa_exception_fp_ieee_underflow 0
		.amdhsa_exception_fp_ieee_inexact 0
		.amdhsa_exception_int_div_zero 0
	.end_amdhsa_kernel
	.section	.text._ZN9rocsparseL22csrmvn_adaptive_kernelIll18rocsparse_bfloat16S1_ffEEvbT_PKS2_PjPKT0_NS_24const_host_device_scalarIT4_EES4_S8_PKT1_PKT2_SB_PT3_21rocsparse_index_base_b,"axG",@progbits,_ZN9rocsparseL22csrmvn_adaptive_kernelIll18rocsparse_bfloat16S1_ffEEvbT_PKS2_PjPKT0_NS_24const_host_device_scalarIT4_EES4_S8_PKT1_PKT2_SB_PT3_21rocsparse_index_base_b,comdat
.Lfunc_end79:
	.size	_ZN9rocsparseL22csrmvn_adaptive_kernelIll18rocsparse_bfloat16S1_ffEEvbT_PKS2_PjPKT0_NS_24const_host_device_scalarIT4_EES4_S8_PKT1_PKT2_SB_PT3_21rocsparse_index_base_b, .Lfunc_end79-_ZN9rocsparseL22csrmvn_adaptive_kernelIll18rocsparse_bfloat16S1_ffEEvbT_PKS2_PjPKT0_NS_24const_host_device_scalarIT4_EES4_S8_PKT1_PKT2_SB_PT3_21rocsparse_index_base_b
                                        ; -- End function
	.set _ZN9rocsparseL22csrmvn_adaptive_kernelIll18rocsparse_bfloat16S1_ffEEvbT_PKS2_PjPKT0_NS_24const_host_device_scalarIT4_EES4_S8_PKT1_PKT2_SB_PT3_21rocsparse_index_base_b.num_vgpr, 19
	.set _ZN9rocsparseL22csrmvn_adaptive_kernelIll18rocsparse_bfloat16S1_ffEEvbT_PKS2_PjPKT0_NS_24const_host_device_scalarIT4_EES4_S8_PKT1_PKT2_SB_PT3_21rocsparse_index_base_b.num_agpr, 0
	.set _ZN9rocsparseL22csrmvn_adaptive_kernelIll18rocsparse_bfloat16S1_ffEEvbT_PKS2_PjPKT0_NS_24const_host_device_scalarIT4_EES4_S8_PKT1_PKT2_SB_PT3_21rocsparse_index_base_b.numbered_sgpr, 64
	.set _ZN9rocsparseL22csrmvn_adaptive_kernelIll18rocsparse_bfloat16S1_ffEEvbT_PKS2_PjPKT0_NS_24const_host_device_scalarIT4_EES4_S8_PKT1_PKT2_SB_PT3_21rocsparse_index_base_b.num_named_barrier, 0
	.set _ZN9rocsparseL22csrmvn_adaptive_kernelIll18rocsparse_bfloat16S1_ffEEvbT_PKS2_PjPKT0_NS_24const_host_device_scalarIT4_EES4_S8_PKT1_PKT2_SB_PT3_21rocsparse_index_base_b.private_seg_size, 0
	.set _ZN9rocsparseL22csrmvn_adaptive_kernelIll18rocsparse_bfloat16S1_ffEEvbT_PKS2_PjPKT0_NS_24const_host_device_scalarIT4_EES4_S8_PKT1_PKT2_SB_PT3_21rocsparse_index_base_b.uses_vcc, 1
	.set _ZN9rocsparseL22csrmvn_adaptive_kernelIll18rocsparse_bfloat16S1_ffEEvbT_PKS2_PjPKT0_NS_24const_host_device_scalarIT4_EES4_S8_PKT1_PKT2_SB_PT3_21rocsparse_index_base_b.uses_flat_scratch, 0
	.set _ZN9rocsparseL22csrmvn_adaptive_kernelIll18rocsparse_bfloat16S1_ffEEvbT_PKS2_PjPKT0_NS_24const_host_device_scalarIT4_EES4_S8_PKT1_PKT2_SB_PT3_21rocsparse_index_base_b.has_dyn_sized_stack, 0
	.set _ZN9rocsparseL22csrmvn_adaptive_kernelIll18rocsparse_bfloat16S1_ffEEvbT_PKS2_PjPKT0_NS_24const_host_device_scalarIT4_EES4_S8_PKT1_PKT2_SB_PT3_21rocsparse_index_base_b.has_recursion, 0
	.set _ZN9rocsparseL22csrmvn_adaptive_kernelIll18rocsparse_bfloat16S1_ffEEvbT_PKS2_PjPKT0_NS_24const_host_device_scalarIT4_EES4_S8_PKT1_PKT2_SB_PT3_21rocsparse_index_base_b.has_indirect_call, 0
	.section	.AMDGPU.csdata,"",@progbits
; Kernel info:
; codeLenInByte = 3896
; TotalNumSgprs: 70
; NumVgprs: 19
; NumAgprs: 0
; TotalNumVgprs: 19
; ScratchSize: 0
; MemoryBound: 0
; FloatMode: 240
; IeeeMode: 1
; LDSByteSize: 4096 bytes/workgroup (compile time only)
; SGPRBlocks: 8
; VGPRBlocks: 2
; NumSGPRsForWavesPerEU: 70
; NumVGPRsForWavesPerEU: 19
; AccumOffset: 20
; Occupancy: 8
; WaveLimiterHint : 1
; COMPUTE_PGM_RSRC2:SCRATCH_EN: 0
; COMPUTE_PGM_RSRC2:USER_SGPR: 2
; COMPUTE_PGM_RSRC2:TRAP_HANDLER: 0
; COMPUTE_PGM_RSRC2:TGID_X_EN: 1
; COMPUTE_PGM_RSRC2:TGID_Y_EN: 0
; COMPUTE_PGM_RSRC2:TGID_Z_EN: 0
; COMPUTE_PGM_RSRC2:TIDIG_COMP_CNT: 0
; COMPUTE_PGM_RSRC3_GFX90A:ACCUM_OFFSET: 4
; COMPUTE_PGM_RSRC3_GFX90A:TG_SPLIT: 0
	.section	.text._ZN9rocsparseL27csrmvn_symm_adaptive_kernelIll18rocsparse_bfloat16S1_ffEEvbT_S2_PKS2_NS_24const_host_device_scalarIT4_EES4_PKT0_PKT1_PKT2_S7_PT3_21rocsparse_index_base_b,"axG",@progbits,_ZN9rocsparseL27csrmvn_symm_adaptive_kernelIll18rocsparse_bfloat16S1_ffEEvbT_S2_PKS2_NS_24const_host_device_scalarIT4_EES4_PKT0_PKT1_PKT2_S7_PT3_21rocsparse_index_base_b,comdat
	.globl	_ZN9rocsparseL27csrmvn_symm_adaptive_kernelIll18rocsparse_bfloat16S1_ffEEvbT_S2_PKS2_NS_24const_host_device_scalarIT4_EES4_PKT0_PKT1_PKT2_S7_PT3_21rocsparse_index_base_b ; -- Begin function _ZN9rocsparseL27csrmvn_symm_adaptive_kernelIll18rocsparse_bfloat16S1_ffEEvbT_S2_PKS2_NS_24const_host_device_scalarIT4_EES4_PKT0_PKT1_PKT2_S7_PT3_21rocsparse_index_base_b
	.p2align	8
	.type	_ZN9rocsparseL27csrmvn_symm_adaptive_kernelIll18rocsparse_bfloat16S1_ffEEvbT_S2_PKS2_NS_24const_host_device_scalarIT4_EES4_PKT0_PKT1_PKT2_S7_PT3_21rocsparse_index_base_b,@function
_ZN9rocsparseL27csrmvn_symm_adaptive_kernelIll18rocsparse_bfloat16S1_ffEEvbT_S2_PKS2_NS_24const_host_device_scalarIT4_EES4_PKT0_PKT1_PKT2_S7_PT3_21rocsparse_index_base_b: ; @_ZN9rocsparseL27csrmvn_symm_adaptive_kernelIll18rocsparse_bfloat16S1_ffEEvbT_S2_PKS2_NS_24const_host_device_scalarIT4_EES4_PKT0_PKT1_PKT2_S7_PT3_21rocsparse_index_base_b
; %bb.0:
	s_load_dwordx2 s[28:29], s[0:1], 0x58
	s_load_dwordx2 s[36:37], s[0:1], 0x20
	;; [unrolled: 1-line block ×3, first 2 shown]
	s_waitcnt lgkmcnt(0)
	s_bitcmp1_b32 s29, 0
	s_cselect_b64 s[8:9], -1, 0
	s_xor_b64 s[6:7], s[8:9], -1
	s_and_b64 vcc, exec, s[8:9]
	s_cbranch_vccnz .LBB80_2
; %bb.1:
	s_load_dword s36, s[36:37], 0x0
.LBB80_2:
	s_andn2_b64 vcc, exec, s[6:7]
	s_cbranch_vccnz .LBB80_4
; %bb.3:
	s_load_dword s4, s[4:5], 0x0
.LBB80_4:
	s_waitcnt lgkmcnt(0)
	v_cmp_neq_f32_e64 s[6:7], s36, 0
	v_cmp_neq_f32_e64 s[4:5], s4, 1.0
	s_or_b64 s[4:5], s[6:7], s[4:5]
	s_andn2_b64 vcc, exec, s[4:5]
	s_cbranch_vccnz .LBB80_146
; %bb.5:
	s_load_dwordx2 s[4:5], s[0:1], 0x18
	s_ashr_i32 s3, s2, 31
	s_lshl_b64 s[2:3], s[2:3], 3
	v_lshlrev_b32_e32 v18, 2, v0
	v_mov_b32_e32 v1, 0
	s_waitcnt lgkmcnt(0)
	s_add_u32 s2, s4, s2
	s_addc_u32 s3, s5, s3
	ds_write2st64_b32 v18, v1, v1 offset1:4
	ds_write2st64_b32 v18, v1, v1 offset0:8 offset1:12
	s_waitcnt lgkmcnt(0)
	s_barrier
	s_load_dwordx4 s[20:23], s[2:3], 0x0
	s_load_dwordx8 s[12:19], s[0:1], 0x28
	s_load_dwordx2 s[24:25], s[0:1], 0x50
	s_mov_b64 s[2:3], -1
	s_waitcnt lgkmcnt(0)
	s_sub_u32 s26, s22, s20
	s_subb_u32 s27, s23, s21
	v_cmp_gt_i64_e64 s[4:5], s[26:27], 2
	s_and_b64 vcc, exec, s[4:5]
	s_cbranch_vccnz .LBB80_36
; %bb.6:
	v_mov_b64_e32 v[2:3], s[20:21]
	v_cmp_le_i64_e32 vcc, s[22:23], v[2:3]
	v_subrev_co_u32_e64 v2, s[2:3], s28, v0
	s_nop 1
	v_subb_co_u32_e64 v3, s[2:3], 0, 0, s[2:3]
	s_cbranch_vccnz .LBB80_26
; %bb.7:
	s_movk_i32 s2, 0x100
	v_cmp_gt_u32_e64 s[2:3], s2, v0
	v_cmp_gt_u32_e64 s[4:5], 64, v0
	;; [unrolled: 1-line block ×4, first 2 shown]
	v_cmp_eq_u32_e64 s[10:11], 0, v0
	s_mov_b64 s[30:31], 0x100
	s_mov_b64 s[34:35], 0x800
	;; [unrolled: 1-line block ×3, first 2 shown]
	v_mov_b32_e32 v1, 0
	v_mov_b64_e32 v[4:5], s[22:23]
	s_mov_b64 s[40:41], s[20:21]
	s_branch .LBB80_9
.LBB80_8:                               ;   in Loop: Header=BB80_9 Depth=1
	s_or_b64 exec, exec, s[42:43]
	s_add_u32 s40, s40, 1
	s_addc_u32 s41, s41, 0
	v_cmp_ge_i64_e32 vcc, s[40:41], v[4:5]
	s_cbranch_vccnz .LBB80_26
.LBB80_9:                               ; =>This Loop Header: Depth=1
                                        ;     Child Loop BB80_11 Depth 2
	s_lshl_b64 s[42:43], s[40:41], 3
	s_add_u32 s42, s12, s42
	s_addc_u32 s43, s13, s43
	s_load_dwordx4 s[44:47], s[42:43], 0x0
	v_mov_b32_e32 v12, 0
	s_waitcnt lgkmcnt(0)
	s_sub_u32 s42, s46, s28
	v_lshl_add_u64 v[6:7], s[44:45], 0, v[2:3]
	s_subb_u32 s43, s47, 0
	v_cmp_gt_i64_e32 vcc, s[42:43], v[6:7]
	s_and_saveexec_b64 s[44:45], vcc
	s_cbranch_execz .LBB80_13
; %bb.10:                               ;   in Loop: Header=BB80_9 Depth=1
	v_lshl_add_u64 v[8:9], v[6:7], 3, s[14:15]
	v_lshl_add_u64 v[10:11], v[6:7], 1, s[16:17]
	v_mov_b32_e32 v12, 0
	s_mov_b64 s[46:47], 0
.LBB80_11:                              ;   Parent Loop BB80_9 Depth=1
                                        ; =>  This Inner Loop Header: Depth=2
	global_load_dwordx2 v[14:15], v[8:9], off
	global_load_ushort v13, v[10:11], off
	v_lshl_add_u64 v[6:7], v[6:7], 0, s[30:31]
	v_lshl_add_u64 v[8:9], v[8:9], 0, s[34:35]
	;; [unrolled: 1-line block ×3, first 2 shown]
	s_waitcnt vmcnt(1)
	v_subrev_co_u32_e32 v14, vcc, s28, v14
	s_nop 1
	v_subbrev_co_u32_e32 v15, vcc, 0, v15, vcc
	v_lshl_add_u64 v[14:15], v[14:15], 1, s[18:19]
	global_load_ushort v14, v[14:15], off
	v_cmp_le_i64_e32 vcc, s[42:43], v[6:7]
	s_waitcnt vmcnt(1)
	v_lshlrev_b32_e32 v13, 16, v13
	s_or_b64 s[46:47], vcc, s[46:47]
	s_waitcnt vmcnt(0)
	v_lshlrev_b32_e32 v14, 16, v14
	v_fmac_f32_e32 v12, v13, v14
	s_andn2_b64 exec, exec, s[46:47]
	s_cbranch_execnz .LBB80_11
; %bb.12:                               ;   in Loop: Header=BB80_9 Depth=1
	s_or_b64 exec, exec, s[46:47]
.LBB80_13:                              ;   in Loop: Header=BB80_9 Depth=1
	s_or_b64 exec, exec, s[44:45]
	ds_write_b32 v18, v12
	s_waitcnt lgkmcnt(0)
	s_barrier
	s_and_saveexec_b64 s[42:43], s[2:3]
	s_cbranch_execz .LBB80_15
; %bb.14:                               ;   in Loop: Header=BB80_9 Depth=1
	ds_read2st64_b32 v[6:7], v18 offset1:4
	ds_read2st64_b32 v[8:9], v18 offset0:8 offset1:12
	s_waitcnt lgkmcnt(0)
	v_add_f32_e32 v7, v7, v8
	v_add_f32_e32 v7, v7, v9
	;; [unrolled: 1-line block ×3, first 2 shown]
	ds_write_b32 v18, v6
.LBB80_15:                              ;   in Loop: Header=BB80_9 Depth=1
	s_or_b64 exec, exec, s[42:43]
	s_waitcnt lgkmcnt(0)
	s_barrier
	s_and_saveexec_b64 s[42:43], s[4:5]
	s_cbranch_execz .LBB80_17
; %bb.16:                               ;   in Loop: Header=BB80_9 Depth=1
	ds_read2st64_b32 v[6:7], v18 offset1:1
	ds_read2st64_b32 v[8:9], v18 offset0:2 offset1:3
	s_waitcnt lgkmcnt(0)
	v_add_f32_e32 v7, v7, v8
	v_add_f32_e32 v7, v7, v9
	;; [unrolled: 1-line block ×3, first 2 shown]
	ds_write_b32 v18, v6
.LBB80_17:                              ;   in Loop: Header=BB80_9 Depth=1
	s_or_b64 exec, exec, s[42:43]
	s_waitcnt lgkmcnt(0)
	s_barrier
	s_and_saveexec_b64 s[42:43], s[6:7]
	s_cbranch_execz .LBB80_19
; %bb.18:                               ;   in Loop: Header=BB80_9 Depth=1
	ds_read2_b32 v[6:7], v18 offset1:16
	ds_read2_b32 v[8:9], v18 offset0:32 offset1:48
	s_waitcnt lgkmcnt(0)
	v_add_f32_e32 v7, v7, v8
	v_add_f32_e32 v7, v7, v9
	;; [unrolled: 1-line block ×3, first 2 shown]
	ds_write_b32 v18, v6
.LBB80_19:                              ;   in Loop: Header=BB80_9 Depth=1
	s_or_b64 exec, exec, s[42:43]
	s_waitcnt lgkmcnt(0)
	s_barrier
	s_and_saveexec_b64 s[42:43], s[8:9]
	s_cbranch_execz .LBB80_21
; %bb.20:                               ;   in Loop: Header=BB80_9 Depth=1
	ds_read2_b32 v[6:7], v18 offset1:4
	ds_read2_b32 v[8:9], v18 offset0:8 offset1:12
	s_waitcnt lgkmcnt(0)
	v_add_f32_e32 v7, v7, v8
	v_add_f32_e32 v7, v7, v9
	;; [unrolled: 1-line block ×3, first 2 shown]
	ds_write_b32 v18, v6
.LBB80_21:                              ;   in Loop: Header=BB80_9 Depth=1
	s_or_b64 exec, exec, s[42:43]
	s_waitcnt lgkmcnt(0)
	s_barrier
	s_and_saveexec_b64 s[42:43], s[10:11]
	s_cbranch_execz .LBB80_23
; %bb.22:                               ;   in Loop: Header=BB80_9 Depth=1
	ds_read2_b32 v[6:7], v1 offset0:1 offset1:2
	ds_read_b32 v8, v1 offset:12
	ds_read_b32 v9, v18
	s_waitcnt lgkmcnt(2)
	v_add_f32_e32 v6, v6, v7
	s_waitcnt lgkmcnt(1)
	v_add_f32_e32 v6, v6, v8
	;; [unrolled: 2-line block ×3, first 2 shown]
	ds_write_b32 v18, v6
.LBB80_23:                              ;   in Loop: Header=BB80_9 Depth=1
	s_or_b64 exec, exec, s[42:43]
	s_waitcnt lgkmcnt(0)
	s_barrier
	s_and_saveexec_b64 s[42:43], s[10:11]
	s_cbranch_execz .LBB80_8
; %bb.24:                               ;   in Loop: Header=BB80_9 Depth=1
	s_mov_b64 s[44:45], exec
	v_mbcnt_lo_u32_b32 v6, s44, 0
	v_mbcnt_hi_u32_b32 v6, s45, v6
	v_cmp_eq_u32_e32 vcc, 0, v6
	s_and_b64 s[46:47], exec, vcc
	s_mov_b64 exec, s[46:47]
	s_cbranch_execz .LBB80_8
; %bb.25:                               ;   in Loop: Header=BB80_9 Depth=1
	ds_read_b32 v6, v1
	s_lshl_b64 s[46:47], s[40:41], 2
	s_add_u32 s46, s24, s46
	s_addc_u32 s47, s25, s47
	s_bcnt1_i32_b64 s29, s[44:45]
	s_waitcnt lgkmcnt(0)
	v_mul_f32_e32 v6, s36, v6
	v_cvt_f32_ubyte0_e32 v7, s29
	v_mul_f32_e32 v6, v6, v7
	global_atomic_add_f32 v1, v6, s[46:47]
	s_branch .LBB80_8
.LBB80_26:
	s_lshl_b64 s[2:3], s[20:21], 3
	s_add_u32 s2, s12, s2
	s_addc_u32 s3, s13, s3
	s_lshl_b64 s[4:5], s[22:23], 3
	s_add_u32 s4, s12, s4
	s_addc_u32 s5, s13, s5
	s_load_dwordx2 s[6:7], s[4:5], 0x0
	s_load_dwordx2 s[8:9], s[2:3], 0x0
	s_waitcnt lgkmcnt(0)
	s_sub_u32 s6, s6, s28
	s_subb_u32 s7, s7, 0
	v_lshl_add_u64 v[2:3], s[8:9], 0, v[2:3]
	v_cmp_gt_i64_e32 vcc, s[6:7], v[2:3]
	s_and_saveexec_b64 s[8:9], vcc
	s_cbranch_execz .LBB80_35
; %bb.27:
	s_add_u32 s10, s22, -1
	s_addc_u32 s11, s23, -1
	s_add_u32 s2, s22, -2
	s_addc_u32 s3, s23, -1
	v_mov_b64_e32 v[4:5], s[10:11]
	s_cmp_lg_u64 s[20:21], s[2:3]
	v_cmp_lt_i64_e32 vcc, s[20:21], v[4:5]
	s_cselect_b64 s[2:3], -1, 0
	s_and_b64 s[2:3], vcc, s[2:3]
	v_cndmask_b32_e64 v1, 0, 1, s[2:3]
	s_mov_b64 s[30:31], 0
	v_cmp_ne_u32_e64 s[2:3], 1, v1
	v_mov_b32_e32 v5, 0
	s_mov_b64 s[34:35], 0x100
	s_branch .LBB80_29
.LBB80_28:                              ;   in Loop: Header=BB80_29 Depth=1
	s_or_b64 exec, exec, s[4:5]
	v_lshl_add_u64 v[2:3], v[2:3], 0, s[34:35]
	v_cmp_le_i64_e32 vcc, s[6:7], v[2:3]
	s_or_b64 s[30:31], vcc, s[30:31]
	s_andn2_b64 exec, exec, s[30:31]
	s_cbranch_execz .LBB80_35
.LBB80_29:                              ; =>This Loop Header: Depth=1
                                        ;     Child Loop BB80_31 Depth 2
	s_and_b64 vcc, exec, s[2:3]
	v_mov_b64_e32 v[6:7], s[20:21]
	v_mov_b64_e32 v[8:9], s[10:11]
	s_cbranch_vccnz .LBB80_33
; %bb.30:                               ;   in Loop: Header=BB80_29 Depth=1
	s_mov_b64 s[38:39], 0
	v_mov_b64_e32 v[6:7], s[20:21]
	v_mov_b64_e32 v[8:9], s[10:11]
.LBB80_31:                              ;   Parent Loop BB80_29 Depth=1
                                        ; =>  This Inner Loop Header: Depth=2
	v_lshl_add_u64 v[10:11], v[8:9], 0, v[6:7]
	v_lshrrev_b32_e32 v4, 31, v11
	v_lshl_add_u64 v[10:11], v[10:11], 0, v[4:5]
	v_ashrrev_i64 v[10:11], 1, v[10:11]
	v_lshl_add_u64 v[12:13], v[10:11], 3, s[12:13]
	global_load_dwordx2 v[12:13], v[12:13], off
	s_waitcnt vmcnt(0)
	v_subrev_co_u32_e32 v12, vcc, s28, v12
	s_nop 1
	v_subbrev_co_u32_e32 v13, vcc, 0, v13, vcc
	v_cmp_lt_i64_e32 vcc, v[2:3], v[12:13]
	s_nop 1
	v_cndmask_b32_e32 v9, v9, v11, vcc
	v_cndmask_b32_e32 v8, v8, v10, vcc
	;; [unrolled: 1-line block ×4, first 2 shown]
	v_lshl_add_u64 v[10:11], v[8:9], 0, -1
	v_cmp_ge_i64_e32 vcc, v[6:7], v[8:9]
	v_cmp_eq_u64_e64 s[4:5], v[6:7], v[10:11]
	s_or_b64 s[4:5], vcc, s[4:5]
	s_and_b64 s[4:5], exec, s[4:5]
	s_or_b64 s[38:39], s[4:5], s[38:39]
	s_andn2_b64 exec, exec, s[38:39]
	s_cbranch_execnz .LBB80_31
; %bb.32:                               ;   in Loop: Header=BB80_29 Depth=1
	s_or_b64 exec, exec, s[38:39]
.LBB80_33:                              ;   in Loop: Header=BB80_29 Depth=1
	v_lshl_add_u64 v[10:11], v[8:9], 3, s[12:13]
	global_load_dwordx2 v[10:11], v[10:11], off
	v_lshl_add_u64 v[12:13], v[2:3], 3, s[14:15]
	global_load_dwordx2 v[12:13], v[12:13], off
	s_waitcnt vmcnt(1)
	v_subrev_co_u32_e32 v10, vcc, s28, v10
	s_nop 1
	v_subbrev_co_u32_e32 v11, vcc, 0, v11, vcc
	v_cmp_lt_i64_e32 vcc, v[2:3], v[10:11]
	s_nop 1
	v_cndmask_b32_e32 v9, v9, v7, vcc
	v_cndmask_b32_e32 v8, v8, v6, vcc
	s_waitcnt vmcnt(0)
	v_subrev_co_u32_e32 v6, vcc, s28, v12
	s_nop 1
	v_subbrev_co_u32_e32 v7, vcc, 0, v13, vcc
	v_cmp_ne_u64_e32 vcc, v[6:7], v[8:9]
	s_and_saveexec_b64 s[4:5], vcc
	s_cbranch_execz .LBB80_28
; %bb.34:                               ;   in Loop: Header=BB80_29 Depth=1
	v_lshl_add_u64 v[10:11], v[2:3], 1, s[16:17]
	global_load_ushort v1, v[10:11], off
	v_lshl_add_u64 v[8:9], v[8:9], 1, s[18:19]
	global_load_ushort v4, v[8:9], off
	v_lshl_add_u64 v[6:7], v[6:7], 2, s[24:25]
	s_waitcnt vmcnt(1)
	v_lshlrev_b32_e32 v1, 16, v1
	v_mul_f32_e32 v1, s36, v1
	s_waitcnt vmcnt(0)
	v_lshlrev_b32_e32 v4, 16, v4
	v_mul_f32_e32 v1, v1, v4
	global_atomic_add_f32 v[6:7], v1, off
	s_branch .LBB80_28
.LBB80_35:
	s_or_b64 exec, exec, s[8:9]
	s_mov_b64 s[2:3], 0
.LBB80_36:
	s_and_b64 vcc, exec, s[2:3]
	s_cbranch_vccz .LBB80_146
; %bb.37:
	s_load_dword s2, s[0:1], 0x6c
	s_mov_b32 s31, 0
	v_mov_b64_e32 v[2:3], s[26:27]
	s_mov_b64 s[34:35], 0
	s_waitcnt lgkmcnt(0)
	s_and_b32 s30, s2, 0xffff
	v_cmp_lt_u64_e32 vcc, s[30:31], v[2:3]
	s_cbranch_vccnz .LBB80_39
; %bb.38:
	v_cvt_f32_u32_e32 v1, s26
	s_sub_i32 s2, 0, s26
	v_rcp_iflag_f32_e32 v1, v1
	s_nop 0
	v_mul_f32_e32 v1, 0x4f7ffffe, v1
	v_cvt_u32_f32_e32 v1, v1
	s_nop 0
	v_readfirstlane_b32 s3, v1
	s_mul_i32 s2, s2, s3
	s_mul_hi_u32 s2, s3, s2
	s_add_i32 s3, s3, s2
	s_mul_hi_u32 s2, s30, s3
	s_mul_i32 s4, s2, s26
	s_sub_i32 s4, s30, s4
	s_add_i32 s3, s2, 1
	s_sub_i32 s5, s4, s26
	s_cmp_ge_u32 s4, s26
	s_cselect_b32 s2, s3, s2
	s_cselect_b32 s4, s5, s4
	s_add_i32 s3, s2, 1
	s_cmp_ge_u32 s4, s26
	s_cselect_b32 s34, s3, s2
.LBB80_39:
	s_load_dwordx4 s[4:7], s[0:1], 0x8
	s_lshl_b64 s[0:1], s[20:21], 3
	s_add_u32 s10, s12, s0
	s_addc_u32 s11, s13, s1
	s_load_dwordx2 s[8:9], s[10:11], 0x0
	v_subrev_co_u32_e32 v2, vcc, s28, v0
	v_mov_b32_e32 v1, 0
	s_nop 0
	v_subb_co_u32_e64 v3, s[0:1], 0, 0, vcc
	s_waitcnt lgkmcnt(0)
	v_lshl_add_u64 v[10:11], s[8:9], 0, v[2:3]
	s_mov_b64 s[0:1], 0x300
	v_lshl_add_u64 v[8:9], v[10:11], 0, s[0:1]
	v_cmp_le_i64_e32 vcc, s[4:5], v[8:9]
	s_and_saveexec_b64 s[0:1], vcc
	s_xor_b64 s[2:3], exec, s[0:1]
	s_cbranch_execnz .LBB80_42
; %bb.40:
	s_andn2_saveexec_b64 s[0:1], s[2:3]
	s_cbranch_execnz .LBB80_53
.LBB80_41:
	s_or_b64 exec, exec, s[0:1]
	v_cmp_gt_i64_e64 s[0:1], s[6:7], v[0:1]
	s_and_saveexec_b64 s[2:3], s[0:1]
	s_cbranch_execnz .LBB80_54
	s_branch .LBB80_61
.LBB80_42:
	s_lshl_b64 s[0:1], s[22:23], 3
	s_add_u32 s0, s12, s0
	s_addc_u32 s1, s13, s1
	s_load_dwordx2 s[40:41], s[0:1], 0x0
	s_waitcnt lgkmcnt(0)
	s_sub_u32 s4, s40, s8
	s_subb_u32 s5, s41, s9
	v_cmp_gt_i64_e64 s[0:1], s[4:5], v[0:1]
	s_and_saveexec_b64 s[38:39], s[0:1]
	s_cbranch_execz .LBB80_52
; %bb.43:
	s_not_b64 s[0:1], s[8:9]
	s_add_u32 s0, s40, s0
	s_addc_u32 s1, s41, s1
	v_mov_b32_e32 v2, s1
	v_sub_co_u32_e64 v4, s[0:1], s0, v0
	s_mov_b64 s[42:43], 0
	s_nop 0
	v_subbrev_co_u32_e64 v5, s[0:1], 0, v2, s[0:1]
	s_mov_b64 s[0:1], 0xff
	s_nop 0
	v_cmp_lt_u64_e64 s[0:1], s[0:1], v[4:5]
	v_lshlrev_b64 v[2:3], 1, v[10:11]
                                        ; implicit-def: $vgpr12_vgpr13
	s_and_saveexec_b64 s[40:41], s[0:1]
	s_xor_b64 s[40:41], exec, s[40:41]
	s_cbranch_execnz .LBB80_46
; %bb.44:
	s_andn2_saveexec_b64 s[0:1], s[40:41]
	s_cbranch_execnz .LBB80_49
.LBB80_45:
	s_or_b64 exec, exec, s[0:1]
	s_and_b64 exec, exec, s[42:43]
	s_cbranch_execnz .LBB80_50
	s_branch .LBB80_52
.LBB80_46:
	v_lshrrev_b64 v[2:3], 8, v[4:5]
	v_lshl_add_u64 v[4:5], v[2:3], 0, 1
	v_lshlrev_b64 v[2:3], 1, v[10:11]
	v_and_b32_e32 v6, -2, v4
	v_mov_b32_e32 v7, v5
	v_lshl_add_u64 v[12:13], s[16:17], 0, v[2:3]
	s_mov_b64 s[0:1], 0x200
	s_mov_b32 s37, s36
	v_lshl_add_u64 v[12:13], v[12:13], 0, s[0:1]
	s_mov_b64 s[44:45], 0x100
	s_mov_b64 s[46:47], 0x400
	v_mov_b64_e32 v[14:15], v[6:7]
	s_mov_b64 s[48:49], 0
.LBB80_47:                              ; =>This Inner Loop Header: Depth=1
	global_load_ushort v16, v[12:13], off
	global_load_ushort v19, v[12:13], off offset:-512
	v_lshl_add_u32 v20, s48, 2, v18
	s_add_u32 s48, s48, 0x200
	s_addc_u32 s49, s49, 0
	v_lshl_add_u32 v21, s44, 2, v18
	v_lshl_add_u64 v[14:15], v[14:15], 0, -2
	s_add_u32 s44, s44, 0x200
	v_cmp_eq_u64_e64 s[0:1], 0, v[14:15]
	s_addc_u32 s45, s45, 0
	v_lshl_add_u64 v[12:13], v[12:13], 0, s[46:47]
	s_or_b64 s[42:43], s[0:1], s[42:43]
	s_waitcnt vmcnt(1)
	v_lshlrev_b32_e32 v17, 16, v16
	s_waitcnt vmcnt(0)
	v_lshlrev_b32_e32 v16, 16, v19
	v_pk_mul_f32 v[16:17], s[36:37], v[16:17]
	ds_write_b32 v20, v16
	ds_write_b32 v21, v17
	s_andn2_b64 exec, exec, s[42:43]
	s_cbranch_execnz .LBB80_47
; %bb.48:
	s_or_b64 exec, exec, s[42:43]
	v_cmp_ne_u64_e64 s[0:1], v[4:5], v[6:7]
	v_lshlrev_b64 v[12:13], 8, v[6:7]
	s_and_b64 s[42:43], s[0:1], exec
	s_andn2_saveexec_b64 s[0:1], s[40:41]
	s_cbranch_execz .LBB80_45
.LBB80_49:
	v_mov_b64_e32 v[12:13], 0
	s_or_b64 s[42:43], s[42:43], exec
	s_or_b64 exec, exec, s[0:1]
	s_and_b64 exec, exec, s[42:43]
	s_cbranch_execz .LBB80_52
.LBB80_50:
	v_lshl_add_u64 v[2:3], v[12:13], 1, v[2:3]
	v_lshlrev_b32_e32 v6, 2, v12
	v_lshl_add_u64 v[2:3], s[16:17], 0, v[2:3]
	v_lshl_add_u64 v[4:5], v[12:13], 0, v[0:1]
	v_lshl_add_u32 v6, v0, 2, v6
	s_mov_b64 s[40:41], 0
	s_mov_b64 s[42:43], 0x200
	;; [unrolled: 1-line block ×3, first 2 shown]
.LBB80_51:                              ; =>This Inner Loop Header: Depth=1
	global_load_ushort v7, v[2:3], off
	v_lshl_add_u64 v[4:5], v[4:5], 0, s[44:45]
	v_cmp_le_i64_e64 s[0:1], s[4:5], v[4:5]
	v_lshl_add_u64 v[2:3], v[2:3], 0, s[42:43]
	s_or_b64 s[40:41], s[0:1], s[40:41]
	s_waitcnt vmcnt(0)
	v_lshlrev_b32_e32 v7, 16, v7
	v_mul_f32_e32 v7, s36, v7
	ds_write_b32 v6, v7
	v_add_u32_e32 v6, 0x400, v6
	s_andn2_b64 exec, exec, s[40:41]
	s_cbranch_execnz .LBB80_51
.LBB80_52:
	s_or_b64 exec, exec, s[38:39]
	s_andn2_saveexec_b64 s[0:1], s[2:3]
	s_cbranch_execz .LBB80_41
.LBB80_53:
	v_lshl_add_u64 v[2:3], v[10:11], 1, s[16:17]
	global_load_ushort v4, v[2:3], off
	global_load_ushort v5, v[2:3], off offset:512
	global_load_ushort v6, v[2:3], off offset:1024
	;; [unrolled: 1-line block ×3, first 2 shown]
	s_waitcnt vmcnt(3)
	v_lshlrev_b32_e32 v2, 16, v4
	s_waitcnt vmcnt(2)
	v_lshlrev_b32_e32 v3, 16, v5
	;; [unrolled: 2-line block ×4, first 2 shown]
	v_mul_f32_e32 v2, s36, v2
	v_mul_f32_e32 v3, s36, v3
	;; [unrolled: 1-line block ×4, first 2 shown]
	ds_write2st64_b32 v18, v2, v3 offset1:4
	ds_write2st64_b32 v18, v4, v5 offset0:8 offset1:12
	s_or_b64 exec, exec, s[0:1]
	v_cmp_gt_i64_e64 s[0:1], s[6:7], v[0:1]
	s_and_saveexec_b64 s[2:3], s[0:1]
	s_cbranch_execz .LBB80_61
.LBB80_54:
	v_mov_b32_e32 v3, -1
	v_not_b32_e32 v2, v0
	v_lshl_add_u64 v[4:5], s[6:7], 0, v[2:3]
	s_mov_b64 s[0:1], 0xff
	v_cmp_lt_u64_e64 s[0:1], s[0:1], v[4:5]
	s_mov_b64 s[16:17], -1
	v_mov_b64_e32 v[2:3], v[0:1]
	s_and_saveexec_b64 s[4:5], s[0:1]
	s_cbranch_execz .LBB80_58
; %bb.55:
	v_lshrrev_b64 v[2:3], 8, v[4:5]
	v_lshl_add_u64 v[12:13], v[2:3], 0, 1
	v_mov_b32_e32 v3, 0
	v_or_b32_e32 v4, 0x100, v0
	v_mov_b32_e32 v5, v3
	v_and_b32_e32 v14, -2, v12
	v_mov_b32_e32 v15, v13
	v_mov_b32_e32 v2, v0
	v_mov_b64_e32 v[6:7], v[4:5]
	s_mov_b64 s[16:17], 0
	v_mov_b32_e32 v19, 0x1000
	s_mov_b64 s[36:37], 0x200
	v_mov_b64_e32 v[16:17], v[14:15]
	v_mov_b64_e32 v[4:5], v[2:3]
.LBB80_56:                              ; =>This Inner Loop Header: Depth=1
	v_lshl_add_u64 v[16:17], v[16:17], 0, -2
	v_cmp_eq_u64_e64 s[0:1], 0, v[16:17]
	v_lshl_add_u32 v2, v4, 2, v19
	v_lshl_add_u32 v20, v6, 2, v19
	v_lshl_add_u64 v[6:7], v[6:7], 0, s[36:37]
	v_lshl_add_u64 v[4:5], v[4:5], 0, s[36:37]
	s_or_b64 s[16:17], s[0:1], s[16:17]
	ds_write_b32 v2, v3
	ds_write_b32 v20, v3
	s_andn2_b64 exec, exec, s[16:17]
	s_cbranch_execnz .LBB80_56
; %bb.57:
	s_or_b64 exec, exec, s[16:17]
	v_lshlrev_b64 v[2:3], 8, v[14:15]
	v_cmp_ne_u64_e64 s[0:1], v[12:13], v[14:15]
	v_or_b32_e32 v2, v2, v0
	s_orn2_b64 s[16:17], s[0:1], exec
.LBB80_58:
	s_or_b64 exec, exec, s[4:5]
	s_and_b64 exec, exec, s[16:17]
	s_cbranch_execz .LBB80_61
; %bb.59:
	v_mov_b32_e32 v4, 0x1000
	v_lshl_add_u32 v4, v2, 2, v4
	s_mov_b64 s[4:5], 0
	v_mov_b32_e32 v5, 0
	s_mov_b64 s[16:17], 0x100
.LBB80_60:                              ; =>This Inner Loop Header: Depth=1
	v_lshl_add_u64 v[2:3], v[2:3], 0, s[16:17]
	v_cmp_le_i64_e64 s[0:1], s[6:7], v[2:3]
	ds_write_b32 v4, v5
	s_or_b64 s[4:5], s[0:1], s[4:5]
	v_add_u32_e32 v4, 0x400, v4
	s_andn2_b64 exec, exec, s[4:5]
	s_cbranch_execnz .LBB80_60
.LBB80_61:
	s_or_b64 exec, exec, s[2:3]
	s_sub_u32 s2, s22, s6
	v_mov_b64_e32 v[2:3], s[6:7]
	s_subb_u32 s3, s23, s7
	v_cmp_ge_i64_e64 s[0:1], s[22:23], v[2:3]
	s_and_b64 s[0:1], s[0:1], exec
	s_cselect_b32 s5, s3, 0
	s_cselect_b32 s4, s2, 0
	s_waitcnt lgkmcnt(0)
	s_barrier
	s_and_saveexec_b64 s[0:1], vcc
	s_xor_b64 s[16:17], exec, s[0:1]
	s_cbranch_execz .LBB80_75
; %bb.62:
	s_lshl_b64 s[0:1], s[22:23], 3
	s_add_u32 s0, s12, s0
	s_addc_u32 s1, s13, s1
	s_load_dwordx2 s[0:1], s[0:1], 0x0
	s_waitcnt lgkmcnt(0)
	s_sub_u32 s36, s0, s8
	s_subb_u32 s37, s1, s9
	v_cmp_gt_i64_e32 vcc, s[36:37], v[0:1]
	s_and_saveexec_b64 s[38:39], vcc
	s_cbranch_execz .LBB80_74
; %bb.63:
	s_add_u32 s40, s22, -1
	s_addc_u32 s41, s23, -1
	s_add_u32 s2, s22, -2
	s_addc_u32 s3, s23, -1
	s_cmp_lg_u64 s[20:21], s[2:3]
	s_cselect_b64 s[2:3], -1, 0
	s_sub_u32 s42, s0, s28
	v_cndmask_b32_e64 v2, 0, 1, s[2:3]
	s_subb_u32 s43, s1, 0
	s_mov_b64 s[44:45], 0
	v_cmp_ne_u32_e64 s[0:1], 1, v2
	v_mov_b32_e32 v3, 0
	v_mov_b32_e32 v14, 0x1000
	s_mov_b64 s[46:47], 0
	s_branch .LBB80_65
.LBB80_64:                              ;   in Loop: Header=BB80_65 Depth=1
	s_or_b64 exec, exec, s[48:49]
	s_add_u32 s46, s46, 0x100
	s_addc_u32 s47, s47, 0
	v_lshl_add_u64 v[4:5], s[46:47], 0, v[0:1]
	v_cmp_le_i64_e32 vcc, s[36:37], v[4:5]
	s_or_b64 s[44:45], vcc, s[44:45]
	s_andn2_b64 exec, exec, s[44:45]
	s_cbranch_execz .LBB80_74
.LBB80_65:                              ; =>This Loop Header: Depth=1
                                        ;     Child Loop BB80_67 Depth 2
	v_lshl_add_u64 v[4:5], s[46:47], 0, v[10:11]
	s_and_b64 vcc, exec, s[0:1]
	v_mov_b64_e32 v[6:7], s[20:21]
	v_mov_b64_e32 v[8:9], s[40:41]
	s_cbranch_vccnz .LBB80_69
; %bb.66:                               ;   in Loop: Header=BB80_65 Depth=1
	s_mov_b64 s[48:49], 0
	v_mov_b64_e32 v[6:7], s[20:21]
	v_mov_b64_e32 v[8:9], s[40:41]
.LBB80_67:                              ;   Parent Loop BB80_65 Depth=1
                                        ; =>  This Inner Loop Header: Depth=2
	v_lshl_add_u64 v[12:13], v[8:9], 0, v[6:7]
	v_lshrrev_b32_e32 v2, 31, v13
	v_lshl_add_u64 v[12:13], v[12:13], 0, v[2:3]
	v_ashrrev_i64 v[12:13], 1, v[12:13]
	v_lshl_add_u64 v[16:17], v[12:13], 3, s[12:13]
	global_load_dwordx2 v[16:17], v[16:17], off
	s_waitcnt vmcnt(0)
	v_subrev_co_u32_e32 v16, vcc, s28, v16
	s_nop 1
	v_subbrev_co_u32_e32 v17, vcc, 0, v17, vcc
	v_cmp_lt_i64_e32 vcc, v[4:5], v[16:17]
	s_nop 1
	v_cndmask_b32_e32 v9, v9, v13, vcc
	v_cndmask_b32_e32 v8, v8, v12, vcc
	;; [unrolled: 1-line block ×4, first 2 shown]
	v_lshl_add_u64 v[12:13], v[8:9], 0, -1
	v_cmp_ge_i64_e32 vcc, v[6:7], v[8:9]
	v_cmp_eq_u64_e64 s[2:3], v[6:7], v[12:13]
	s_or_b64 s[2:3], vcc, s[2:3]
	s_and_b64 s[2:3], exec, s[2:3]
	s_or_b64 s[48:49], s[2:3], s[48:49]
	s_andn2_b64 exec, exec, s[48:49]
	s_cbranch_execnz .LBB80_67
; %bb.68:                               ;   in Loop: Header=BB80_65 Depth=1
	s_or_b64 exec, exec, s[48:49]
.LBB80_69:                              ;   in Loop: Header=BB80_65 Depth=1
	v_lshl_add_u64 v[12:13], v[8:9], 3, s[12:13]
	global_load_dwordx2 v[12:13], v[12:13], off
	v_lshl_add_u64 v[16:17], v[4:5], 3, s[14:15]
	global_load_dwordx2 v[16:17], v[16:17], off
	v_cmp_gt_i64_e64 s[2:3], s[42:43], v[4:5]
	s_waitcnt vmcnt(1)
	v_subrev_co_u32_e32 v20, vcc, s28, v12
	s_nop 1
	v_subbrev_co_u32_e32 v21, vcc, 0, v13, vcc
	s_waitcnt vmcnt(0)
	v_subrev_co_u32_e32 v12, vcc, s28, v16
	s_nop 1
	v_subbrev_co_u32_e32 v13, vcc, 0, v17, vcc
	v_cmp_lt_i64_e32 vcc, v[4:5], v[20:21]
	s_nop 1
	v_cndmask_b32_e32 v7, v9, v7, vcc
	v_cndmask_b32_e32 v6, v8, v6, vcc
	v_cmp_ne_u64_e32 vcc, v[12:13], v[6:7]
	s_and_b64 s[2:3], vcc, s[2:3]
	s_and_saveexec_b64 s[48:49], s[2:3]
	s_cbranch_execz .LBB80_64
; %bb.70:                               ;   in Loop: Header=BB80_65 Depth=1
	v_lshl_add_u64 v[4:5], s[46:47], 0, v[0:1]
	v_cmp_gt_i64_e32 vcc, s[4:5], v[12:13]
	v_cmp_le_i64_e64 s[2:3], s[22:23], v[12:13]
	s_or_b64 s[2:3], vcc, s[2:3]
	v_lshlrev_b32_e32 v2, 2, v4
	v_lshl_add_u64 v[4:5], v[6:7], 1, s[18:19]
	s_and_saveexec_b64 s[50:51], s[2:3]
	s_xor_b64 s[2:3], exec, s[50:51]
	s_cbranch_execz .LBB80_72
; %bb.71:                               ;   in Loop: Header=BB80_65 Depth=1
	global_load_ushort v6, v[4:5], off
	ds_read_b32 v2, v2
	v_lshl_add_u64 v[4:5], v[12:13], 2, s[24:25]
                                        ; implicit-def: $vgpr12
	s_waitcnt vmcnt(0)
	v_lshlrev_b32_e32 v6, 16, v6
	s_waitcnt lgkmcnt(0)
	v_mul_f32_e32 v2, v2, v6
	global_atomic_add_f32 v[4:5], v2, off
                                        ; implicit-def: $vgpr2
                                        ; implicit-def: $vgpr4_vgpr5
.LBB80_72:                              ;   in Loop: Header=BB80_65 Depth=1
	s_andn2_saveexec_b64 s[2:3], s[2:3]
	s_cbranch_execz .LBB80_64
; %bb.73:                               ;   in Loop: Header=BB80_65 Depth=1
	global_load_ushort v4, v[4:5], off
	ds_read_b32 v2, v2
	v_subrev_u32_e32 v5, s4, v12
	v_lshl_add_u32 v5, v5, 2, v14
	s_waitcnt vmcnt(0)
	v_lshlrev_b32_e32 v4, 16, v4
	s_waitcnt lgkmcnt(0)
	v_mul_f32_e32 v2, v2, v4
	ds_add_f32 v5, v2
	s_branch .LBB80_64
.LBB80_74:
	s_or_b64 exec, exec, s[38:39]
                                        ; implicit-def: $vgpr8_vgpr9
                                        ; implicit-def: $vgpr10_vgpr11
.LBB80_75:
	s_andn2_saveexec_b64 s[16:17], s[16:17]
	s_cbranch_execz .LBB80_117
; %bb.76:
	s_add_u32 s36, s22, -1
	s_addc_u32 s37, s23, -1
	s_add_u32 s0, s22, -2
	s_addc_u32 s1, s23, -1
	s_cmp_lg_u64 s[20:21], s[0:1]
	s_cselect_b64 s[2:3], -1, 0
	s_cmp_eq_u64 s[20:21], s[0:1]
	v_mov_b64_e32 v[4:5], s[20:21]
	v_mov_b64_e32 v[6:7], s[36:37]
	s_cbranch_scc1 .LBB80_80
; %bb.77:
	s_mov_b64 s[38:39], 0
	v_mov_b64_e32 v[4:5], s[20:21]
	v_mov_b64_e32 v[6:7], s[36:37]
	v_mov_b32_e32 v3, 0
.LBB80_78:                              ; =>This Inner Loop Header: Depth=1
	v_lshl_add_u64 v[12:13], v[6:7], 0, v[4:5]
	v_lshrrev_b32_e32 v2, 31, v13
	v_lshl_add_u64 v[12:13], v[12:13], 0, v[2:3]
	v_ashrrev_i64 v[12:13], 1, v[12:13]
	v_lshl_add_u64 v[14:15], v[12:13], 3, s[12:13]
	global_load_dwordx2 v[14:15], v[14:15], off
	s_waitcnt vmcnt(0)
	v_subrev_co_u32_e32 v14, vcc, s28, v14
	s_nop 1
	v_subbrev_co_u32_e32 v15, vcc, 0, v15, vcc
	v_cmp_lt_i64_e32 vcc, v[10:11], v[14:15]
	s_nop 1
	v_cndmask_b32_e32 v7, v7, v13, vcc
	v_cndmask_b32_e32 v6, v6, v12, vcc
	;; [unrolled: 1-line block ×4, first 2 shown]
	v_lshl_add_u64 v[12:13], v[6:7], 0, -1
	v_cmp_ge_i64_e32 vcc, v[4:5], v[6:7]
	v_cmp_eq_u64_e64 s[0:1], v[4:5], v[12:13]
	s_or_b64 s[0:1], vcc, s[0:1]
	s_and_b64 s[0:1], exec, s[0:1]
	s_or_b64 s[38:39], s[0:1], s[38:39]
	s_andn2_b64 exec, exec, s[38:39]
	s_cbranch_execnz .LBB80_78
; %bb.79:
	s_or_b64 exec, exec, s[38:39]
.LBB80_80:
	v_lshl_add_u64 v[2:3], v[6:7], 3, s[12:13]
	global_load_dwordx2 v[12:13], v[2:3], off
	v_lshl_add_u64 v[2:3], v[10:11], 3, s[14:15]
	global_load_dwordx2 v[14:15], v[2:3], off
	s_lshl_b64 s[0:1], s[22:23], 3
	s_add_u32 s14, s12, s0
	s_addc_u32 s15, s13, s1
	s_waitcnt vmcnt(1)
	v_subrev_co_u32_e32 v12, vcc, s28, v12
	s_nop 1
	v_subbrev_co_u32_e32 v13, vcc, 0, v13, vcc
	v_cmp_lt_i64_e32 vcc, v[10:11], v[12:13]
	s_nop 1
	v_cndmask_b32_e32 v7, v7, v5, vcc
	v_cndmask_b32_e32 v6, v6, v4, vcc
	s_waitcnt vmcnt(0)
	v_subrev_co_u32_e32 v4, vcc, s28, v14
	s_nop 1
	v_subbrev_co_u32_e32 v5, vcc, 0, v15, vcc
	v_cmp_ne_u64_e32 vcc, v[4:5], v[6:7]
	s_and_saveexec_b64 s[38:39], vcc
	s_cbranch_execz .LBB80_86
; %bb.81:
	s_load_dwordx2 s[0:1], s[14:15], 0x0
	s_waitcnt lgkmcnt(0)
	s_sub_u32 s0, s0, s28
	s_subb_u32 s1, s1, 0
	v_cmp_gt_i64_e32 vcc, s[0:1], v[10:11]
	s_and_b64 exec, exec, vcc
	s_cbranch_execz .LBB80_86
; %bb.82:
	v_cmp_gt_i64_e32 vcc, s[4:5], v[4:5]
	v_cmp_le_i64_e64 s[0:1], s[22:23], v[4:5]
	s_or_b64 s[0:1], vcc, s[0:1]
	v_lshl_add_u64 v[6:7], v[6:7], 1, s[18:19]
	s_and_saveexec_b64 s[40:41], s[0:1]
	s_xor_b64 s[0:1], exec, s[40:41]
	s_cbranch_execz .LBB80_84
; %bb.83:
	global_load_ushort v6, v[6:7], off
	ds_read_b32 v7, v18
	v_lshl_add_u64 v[4:5], v[4:5], 2, s[24:25]
	s_waitcnt vmcnt(0)
	v_lshlrev_b32_e32 v6, 16, v6
	s_waitcnt lgkmcnt(0)
	v_mul_f32_e32 v6, v7, v6
	global_atomic_add_f32 v[4:5], v6, off
                                        ; implicit-def: $vgpr4
                                        ; implicit-def: $vgpr6_vgpr7
.LBB80_84:
	s_andn2_saveexec_b64 s[0:1], s[0:1]
	s_cbranch_execz .LBB80_86
; %bb.85:
	global_load_ushort v5, v[6:7], off
	ds_read_b32 v6, v18
	v_subrev_u32_e32 v4, s4, v4
	v_mov_b32_e32 v7, 0x1000
	v_lshl_add_u32 v4, v4, 2, v7
	s_waitcnt vmcnt(0)
	v_lshlrev_b32_e32 v5, 16, v5
	s_waitcnt lgkmcnt(0)
	v_mul_f32_e32 v5, v6, v5
	ds_add_f32 v4, v5
.LBB80_86:
	s_or_b64 exec, exec, s[38:39]
	s_mov_b64 s[0:1], 0x100
	v_cndmask_b32_e64 v6, 0, 1, s[2:3]
	v_lshl_add_u64 v[4:5], v[10:11], 0, s[0:1]
	v_cmp_ne_u32_e64 s[0:1], 1, v6
	s_andn2_b64 vcc, exec, s[2:3]
	v_mov_b64_e32 v[6:7], s[20:21]
	v_mov_b64_e32 v[12:13], s[36:37]
	s_cbranch_vccnz .LBB80_90
; %bb.87:
	s_mov_b64 s[38:39], 0
	v_mov_b64_e32 v[6:7], s[20:21]
	v_mov_b64_e32 v[12:13], s[36:37]
	v_mov_b32_e32 v15, 0
.LBB80_88:                              ; =>This Inner Loop Header: Depth=1
	v_lshl_add_u64 v[16:17], v[12:13], 0, v[6:7]
	v_lshrrev_b32_e32 v14, 31, v17
	v_lshl_add_u64 v[16:17], v[16:17], 0, v[14:15]
	v_ashrrev_i64 v[16:17], 1, v[16:17]
	v_lshl_add_u64 v[20:21], v[16:17], 3, s[12:13]
	global_load_dwordx2 v[20:21], v[20:21], off
	s_waitcnt vmcnt(0)
	v_subrev_co_u32_e32 v20, vcc, s28, v20
	s_nop 1
	v_subbrev_co_u32_e32 v21, vcc, 0, v21, vcc
	v_cmp_lt_i64_e32 vcc, v[4:5], v[20:21]
	s_nop 1
	v_cndmask_b32_e32 v13, v13, v17, vcc
	v_cndmask_b32_e32 v12, v12, v16, vcc
	;; [unrolled: 1-line block ×4, first 2 shown]
	v_lshl_add_u64 v[16:17], v[12:13], 0, -1
	v_cmp_ge_i64_e32 vcc, v[6:7], v[12:13]
	v_cmp_eq_u64_e64 s[2:3], v[6:7], v[16:17]
	s_or_b64 s[2:3], vcc, s[2:3]
	s_and_b64 s[2:3], exec, s[2:3]
	s_or_b64 s[38:39], s[2:3], s[38:39]
	s_andn2_b64 exec, exec, s[38:39]
	s_cbranch_execnz .LBB80_88
; %bb.89:
	s_or_b64 exec, exec, s[38:39]
.LBB80_90:
	v_lshl_add_u64 v[14:15], v[12:13], 3, s[12:13]
	global_load_dwordx2 v[16:17], v[14:15], off
	global_load_dwordx2 v[20:21], v[2:3], off offset:2048
	s_waitcnt vmcnt(1)
	v_subrev_co_u32_e32 v14, vcc, s28, v16
	s_nop 1
	v_subbrev_co_u32_e32 v15, vcc, 0, v17, vcc
	v_cmp_lt_i64_e32 vcc, v[4:5], v[14:15]
	s_nop 1
	v_cndmask_b32_e32 v13, v13, v7, vcc
	v_cndmask_b32_e32 v12, v12, v6, vcc
	s_waitcnt vmcnt(0)
	v_subrev_co_u32_e32 v6, vcc, s28, v20
	s_nop 1
	v_subbrev_co_u32_e32 v7, vcc, 0, v21, vcc
	v_cmp_ne_u64_e32 vcc, v[6:7], v[12:13]
	s_and_saveexec_b64 s[38:39], vcc
	s_cbranch_execz .LBB80_96
; %bb.91:
	s_load_dwordx2 s[2:3], s[14:15], 0x0
	s_waitcnt lgkmcnt(0)
	s_sub_u32 s2, s2, s28
	s_subb_u32 s3, s3, 0
	v_cmp_gt_i64_e32 vcc, s[2:3], v[4:5]
	s_and_b64 exec, exec, vcc
	s_cbranch_execz .LBB80_96
; %bb.92:
	v_cmp_gt_i64_e32 vcc, s[4:5], v[6:7]
	v_cmp_le_i64_e64 s[2:3], s[22:23], v[6:7]
	s_or_b64 s[2:3], vcc, s[2:3]
	v_lshl_add_u64 v[4:5], v[12:13], 1, s[18:19]
	s_and_saveexec_b64 s[40:41], s[2:3]
	s_xor_b64 s[2:3], exec, s[40:41]
	s_cbranch_execz .LBB80_94
; %bb.93:
	global_load_ushort v12, v[4:5], off
	ds_read_b32 v13, v18 offset:1024
	v_lshl_add_u64 v[4:5], v[6:7], 2, s[24:25]
	s_waitcnt vmcnt(0)
	v_lshlrev_b32_e32 v6, 16, v12
	s_waitcnt lgkmcnt(0)
	v_mul_f32_e32 v6, v13, v6
	global_atomic_add_f32 v[4:5], v6, off
                                        ; implicit-def: $vgpr6
                                        ; implicit-def: $vgpr4_vgpr5
.LBB80_94:
	s_andn2_saveexec_b64 s[2:3], s[2:3]
	s_cbranch_execz .LBB80_96
; %bb.95:
	global_load_ushort v4, v[4:5], off
	ds_read_b32 v5, v18 offset:1024
	v_subrev_u32_e32 v6, s4, v6
	v_mov_b32_e32 v7, 0x1000
	v_lshl_add_u32 v6, v6, 2, v7
	s_waitcnt vmcnt(0)
	v_lshlrev_b32_e32 v4, 16, v4
	s_waitcnt lgkmcnt(0)
	v_mul_f32_e32 v4, v5, v4
	ds_add_f32 v6, v4
.LBB80_96:
	s_or_b64 exec, exec, s[38:39]
	s_mov_b64 s[2:3], 0x200
	v_lshl_add_u64 v[4:5], v[10:11], 0, s[2:3]
	s_and_b64 vcc, exec, s[0:1]
	v_mov_b64_e32 v[6:7], s[20:21]
	v_mov_b64_e32 v[10:11], s[36:37]
	s_cbranch_vccnz .LBB80_100
; %bb.97:
	s_mov_b64 s[38:39], 0
	v_mov_b64_e32 v[6:7], s[20:21]
	v_mov_b64_e32 v[10:11], s[36:37]
	v_mov_b32_e32 v13, 0
.LBB80_98:                              ; =>This Inner Loop Header: Depth=1
	v_lshl_add_u64 v[14:15], v[10:11], 0, v[6:7]
	v_lshrrev_b32_e32 v12, 31, v15
	v_lshl_add_u64 v[14:15], v[14:15], 0, v[12:13]
	v_ashrrev_i64 v[14:15], 1, v[14:15]
	v_lshl_add_u64 v[16:17], v[14:15], 3, s[12:13]
	global_load_dwordx2 v[16:17], v[16:17], off
	s_waitcnt vmcnt(0)
	v_subrev_co_u32_e32 v16, vcc, s28, v16
	s_nop 1
	v_subbrev_co_u32_e32 v17, vcc, 0, v17, vcc
	v_cmp_lt_i64_e32 vcc, v[4:5], v[16:17]
	s_nop 1
	v_cndmask_b32_e32 v11, v11, v15, vcc
	v_cndmask_b32_e32 v10, v10, v14, vcc
	;; [unrolled: 1-line block ×4, first 2 shown]
	v_lshl_add_u64 v[14:15], v[10:11], 0, -1
	v_cmp_ge_i64_e32 vcc, v[6:7], v[10:11]
	v_cmp_eq_u64_e64 s[2:3], v[6:7], v[14:15]
	s_or_b64 s[2:3], vcc, s[2:3]
	s_and_b64 s[2:3], exec, s[2:3]
	s_or_b64 s[38:39], s[2:3], s[38:39]
	s_andn2_b64 exec, exec, s[38:39]
	s_cbranch_execnz .LBB80_98
; %bb.99:
	s_or_b64 exec, exec, s[38:39]
.LBB80_100:
	v_lshl_add_u64 v[12:13], v[10:11], 3, s[12:13]
	global_load_dwordx2 v[12:13], v[12:13], off
	v_add_co_u32_e32 v14, vcc, 0x1000, v2
	s_nop 1
	v_addc_co_u32_e32 v15, vcc, 0, v3, vcc
	global_load_dwordx2 v[14:15], v[14:15], off
	s_waitcnt vmcnt(1)
	v_subrev_co_u32_e32 v12, vcc, s28, v12
	s_nop 1
	v_subbrev_co_u32_e32 v13, vcc, 0, v13, vcc
	v_cmp_lt_i64_e32 vcc, v[4:5], v[12:13]
	s_nop 1
	v_cndmask_b32_e32 v11, v11, v7, vcc
	v_cndmask_b32_e32 v10, v10, v6, vcc
	s_waitcnt vmcnt(0)
	v_subrev_co_u32_e32 v6, vcc, s28, v14
	s_nop 1
	v_subbrev_co_u32_e32 v7, vcc, 0, v15, vcc
	v_cmp_ne_u64_e32 vcc, v[6:7], v[10:11]
	s_and_saveexec_b64 s[38:39], vcc
	s_cbranch_execz .LBB80_106
; %bb.101:
	s_load_dwordx2 s[2:3], s[14:15], 0x0
	s_waitcnt lgkmcnt(0)
	s_sub_u32 s2, s2, s28
	s_subb_u32 s3, s3, 0
	v_cmp_gt_i64_e32 vcc, s[2:3], v[4:5]
	s_and_b64 exec, exec, vcc
	s_cbranch_execz .LBB80_106
; %bb.102:
	v_cmp_gt_i64_e32 vcc, s[4:5], v[6:7]
	v_cmp_le_i64_e64 s[2:3], s[22:23], v[6:7]
	s_or_b64 s[2:3], vcc, s[2:3]
	v_lshl_add_u64 v[4:5], v[10:11], 1, s[18:19]
	s_and_saveexec_b64 s[40:41], s[2:3]
	s_xor_b64 s[2:3], exec, s[40:41]
	s_cbranch_execz .LBB80_104
; %bb.103:
	global_load_ushort v10, v[4:5], off
	ds_read_b32 v11, v18 offset:2048
	v_lshl_add_u64 v[4:5], v[6:7], 2, s[24:25]
	s_waitcnt vmcnt(0)
	v_lshlrev_b32_e32 v6, 16, v10
	s_waitcnt lgkmcnt(0)
	v_mul_f32_e32 v6, v11, v6
	global_atomic_add_f32 v[4:5], v6, off
                                        ; implicit-def: $vgpr6
                                        ; implicit-def: $vgpr4_vgpr5
.LBB80_104:
	s_andn2_saveexec_b64 s[2:3], s[2:3]
	s_cbranch_execz .LBB80_106
; %bb.105:
	global_load_ushort v4, v[4:5], off
	ds_read_b32 v5, v18 offset:2048
	v_subrev_u32_e32 v6, s4, v6
	v_mov_b32_e32 v7, 0x1000
	v_lshl_add_u32 v6, v6, 2, v7
	s_waitcnt vmcnt(0)
	v_lshlrev_b32_e32 v4, 16, v4
	s_waitcnt lgkmcnt(0)
	v_mul_f32_e32 v4, v5, v4
	ds_add_f32 v6, v4
.LBB80_106:
	s_or_b64 exec, exec, s[38:39]
	s_and_b64 vcc, exec, s[0:1]
	v_mov_b64_e32 v[4:5], s[20:21]
	v_mov_b64_e32 v[6:7], s[36:37]
	s_cbranch_vccnz .LBB80_110
; %bb.107:
	s_mov_b64 s[2:3], 0
	v_mov_b64_e32 v[4:5], s[20:21]
	v_mov_b64_e32 v[6:7], s[36:37]
	v_mov_b32_e32 v11, 0
.LBB80_108:                             ; =>This Inner Loop Header: Depth=1
	v_lshl_add_u64 v[12:13], v[6:7], 0, v[4:5]
	v_lshrrev_b32_e32 v10, 31, v13
	v_lshl_add_u64 v[12:13], v[12:13], 0, v[10:11]
	v_ashrrev_i64 v[12:13], 1, v[12:13]
	v_lshl_add_u64 v[14:15], v[12:13], 3, s[12:13]
	global_load_dwordx2 v[14:15], v[14:15], off
	s_waitcnt vmcnt(0)
	v_subrev_co_u32_e32 v14, vcc, s28, v14
	s_nop 1
	v_subbrev_co_u32_e32 v15, vcc, 0, v15, vcc
	v_cmp_lt_i64_e32 vcc, v[8:9], v[14:15]
	s_nop 1
	v_cndmask_b32_e32 v7, v7, v13, vcc
	v_cndmask_b32_e32 v6, v6, v12, vcc
	;; [unrolled: 1-line block ×4, first 2 shown]
	v_lshl_add_u64 v[12:13], v[6:7], 0, -1
	v_cmp_ge_i64_e32 vcc, v[4:5], v[6:7]
	v_cmp_eq_u64_e64 s[0:1], v[4:5], v[12:13]
	s_or_b64 s[0:1], vcc, s[0:1]
	s_and_b64 s[0:1], exec, s[0:1]
	s_or_b64 s[2:3], s[0:1], s[2:3]
	s_andn2_b64 exec, exec, s[2:3]
	s_cbranch_execnz .LBB80_108
; %bb.109:
	s_or_b64 exec, exec, s[2:3]
.LBB80_110:
	v_lshl_add_u64 v[10:11], v[6:7], 3, s[12:13]
	global_load_dwordx2 v[10:11], v[10:11], off
	v_add_co_u32_e32 v2, vcc, 0x1000, v2
	s_nop 1
	v_addc_co_u32_e32 v3, vcc, 0, v3, vcc
	global_load_dwordx2 v[2:3], v[2:3], off offset:2048
	s_waitcnt vmcnt(1)
	v_subrev_co_u32_e32 v10, vcc, s28, v10
	s_nop 1
	v_subbrev_co_u32_e32 v11, vcc, 0, v11, vcc
	v_cmp_lt_i64_e32 vcc, v[8:9], v[10:11]
	s_nop 1
	v_cndmask_b32_e32 v5, v7, v5, vcc
	v_cndmask_b32_e32 v4, v6, v4, vcc
	s_waitcnt vmcnt(0)
	v_subrev_co_u32_e32 v2, vcc, s28, v2
	s_nop 1
	v_subbrev_co_u32_e32 v3, vcc, 0, v3, vcc
	v_cmp_ne_u64_e32 vcc, v[2:3], v[4:5]
	s_and_saveexec_b64 s[2:3], vcc
	s_cbranch_execz .LBB80_116
; %bb.111:
	s_load_dwordx2 s[0:1], s[14:15], 0x0
	s_waitcnt lgkmcnt(0)
	s_sub_u32 s0, s0, s28
	s_subb_u32 s1, s1, 0
	v_cmp_gt_i64_e32 vcc, s[0:1], v[8:9]
	s_and_b64 exec, exec, vcc
	s_cbranch_execz .LBB80_116
; %bb.112:
	v_cmp_gt_i64_e32 vcc, s[4:5], v[2:3]
	v_cmp_le_i64_e64 s[0:1], s[22:23], v[2:3]
	s_or_b64 s[0:1], vcc, s[0:1]
	v_lshl_add_u64 v[4:5], v[4:5], 1, s[18:19]
	s_and_saveexec_b64 s[14:15], s[0:1]
	s_xor_b64 s[0:1], exec, s[14:15]
	s_cbranch_execz .LBB80_114
; %bb.113:
	global_load_ushort v4, v[4:5], off
	ds_read_b32 v5, v18 offset:3072
	v_lshl_add_u64 v[2:3], v[2:3], 2, s[24:25]
	s_waitcnt vmcnt(0)
	v_lshlrev_b32_e32 v4, 16, v4
	s_waitcnt lgkmcnt(0)
	v_mul_f32_e32 v4, v5, v4
	global_atomic_add_f32 v[2:3], v4, off
                                        ; implicit-def: $vgpr2
                                        ; implicit-def: $vgpr4_vgpr5
.LBB80_114:
	s_andn2_saveexec_b64 s[0:1], s[0:1]
	s_cbranch_execz .LBB80_116
; %bb.115:
	global_load_ushort v3, v[4:5], off
	ds_read_b32 v4, v18 offset:3072
	v_subrev_u32_e32 v2, s4, v2
	v_mov_b32_e32 v5, 0x1000
	v_lshl_add_u32 v2, v2, 2, v5
	s_waitcnt vmcnt(0)
	v_lshlrev_b32_e32 v3, 16, v3
	s_waitcnt lgkmcnt(0)
	v_mul_f32_e32 v3, v4, v3
	ds_add_f32 v2, v3
.LBB80_116:
	s_or_b64 exec, exec, s[2:3]
.LBB80_117:
	s_or_b64 exec, exec, s[16:17]
	v_mov_b64_e32 v[2:3], s[6:7]
	v_cmp_lt_i64_e32 vcc, s[22:23], v[2:3]
	s_and_b64 s[0:1], vcc, exec
	s_cselect_b32 s16, s22, s6
	s_cselect_b32 s0, s23, s7
	s_sub_u32 s2, s16, s26
	s_subb_u32 s3, s0, s27
	v_cmp_gt_i64_e32 vcc, s[2:3], v[0:1]
	s_waitcnt lgkmcnt(0)
	s_barrier
	s_and_saveexec_b64 s[0:1], vcc
	s_cbranch_execz .LBB80_120
; %bb.118:
	v_mov_b64_e32 v[2:3], s[6:7]
	v_cmp_gt_i64_e32 vcc, s[22:23], v[2:3]
	s_and_b64 s[4:5], vcc, exec
	s_cselect_b32 s5, s23, s7
	s_cselect_b32 s4, s22, s6
	v_lshlrev_b32_e32 v2, 2, v0
	v_mov_b32_e32 v3, 0
	v_lshl_add_u64 v[2:3], s[4:5], 2, v[2:3]
	s_lshl_b64 s[4:5], s[6:7], 2
	v_mov_b32_e32 v4, s5
	v_subrev_co_u32_e32 v2, vcc, s4, v2
	s_mov_b64 s[4:5], 0
	s_nop 0
	v_subb_co_u32_e32 v3, vcc, v3, v4, vcc
	v_mov_b32_e32 v4, 0x1000
	v_lshl_add_u64 v[2:3], s[24:25], 0, v[2:3]
	v_lshl_add_u32 v6, v0, 2, v4
	s_mov_b64 s[6:7], 0x100
	s_mov_b64 s[14:15], 0x400
	v_mov_b64_e32 v[4:5], v[0:1]
.LBB80_119:                             ; =>This Inner Loop Header: Depth=1
	ds_read_b32 v7, v6
	v_lshl_add_u64 v[4:5], v[4:5], 0, s[6:7]
	v_cmp_le_i64_e32 vcc, s[2:3], v[4:5]
	v_add_u32_e32 v6, 0x400, v6
	s_or_b64 s[4:5], vcc, s[4:5]
	s_waitcnt lgkmcnt(0)
	global_atomic_add_f32 v[2:3], v7, off
	v_lshl_add_u64 v[2:3], v[2:3], 0, s[14:15]
	s_andn2_b64 exec, exec, s[4:5]
	s_cbranch_execnz .LBB80_119
.LBB80_120:
	s_or_b64 exec, exec, s[0:1]
	s_add_i32 s0, s34, -1
	s_ashr_i32 s1, s0, 1
	s_or_b32 s0, s1, s0
	s_ashr_i32 s1, s0, 2
	s_or_b32 s0, s1, s0
	;; [unrolled: 2-line block ×5, first 2 shown]
	s_add_i32 s0, s0, 1
	s_ashr_i32 s3, s0, 1
	v_lshl_add_u64 v[6:7], s[20:21], 0, v[0:1]
	s_cmp_gt_i32 s3, 1
	s_mov_b64 s[0:1], -1
	s_barrier
	s_cbranch_scc1 .LBB80_129
; %bb.121:
	v_cmp_gt_i64_e32 vcc, s[22:23], v[6:7]
	s_and_saveexec_b64 s[0:1], vcc
	s_cbranch_execz .LBB80_128
; %bb.122:
	s_sub_i32 s4, s16, s22
	s_lshl_b32 s4, s4, 2
	s_add_i32 s16, s4, 0x1000
	s_lshl_b32 s4, s8, 2
	s_sub_i32 s17, 0, s4
	s_mov_b64 s[4:5], 0
	v_mov_b64_e32 v[8:9], v[6:7]
	s_branch .LBB80_124
.LBB80_123:                             ;   in Loop: Header=BB80_124 Depth=1
	s_or_b64 exec, exec, s[6:7]
	v_lshl_add_u32 v2, v8, 2, s16
	ds_read_b32 v2, v2
	s_waitcnt lgkmcnt(0)
	v_add_f32_e32 v4, v12, v2
	v_lshl_add_u64 v[2:3], v[8:9], 2, s[24:25]
	global_atomic_add_f32 v[2:3], v4, off
	v_lshl_add_u64 v[8:9], v[8:9], 0, s[30:31]
	v_cmp_le_i64_e32 vcc, s[22:23], v[8:9]
	s_or_b64 s[4:5], vcc, s[4:5]
	s_andn2_b64 exec, exec, s[4:5]
	s_cbranch_execz .LBB80_128
.LBB80_124:                             ; =>This Loop Header: Depth=1
                                        ;     Child Loop BB80_126 Depth 2
	v_lshl_add_u64 v[2:3], v[8:9], 3, s[12:13]
	global_load_dwordx4 v[2:5], v[2:3], off
	v_mov_b32_e32 v12, 0
	s_waitcnt vmcnt(0)
	v_cmp_lt_i64_e32 vcc, v[2:3], v[4:5]
	s_and_saveexec_b64 s[6:7], vcc
	s_cbranch_execz .LBB80_123
; %bb.125:                              ;   in Loop: Header=BB80_124 Depth=1
	v_mov_b32_e32 v10, s9
	v_subrev_co_u32_e32 v4, vcc, s8, v4
	v_mov_b32_e32 v11, s9
	s_nop 0
	v_subb_co_u32_e32 v5, vcc, v5, v10, vcc
	v_subrev_co_u32_e32 v10, vcc, s8, v2
	v_lshl_add_u32 v2, v2, 2, s17
	s_nop 0
	v_subb_co_u32_e32 v11, vcc, v3, v11, vcc
	v_mov_b32_e32 v12, 0
	s_mov_b64 s[14:15], 0
.LBB80_126:                             ;   Parent Loop BB80_124 Depth=1
                                        ; =>  This Inner Loop Header: Depth=2
	ds_read_b32 v3, v2
	v_lshl_add_u64 v[10:11], v[10:11], 0, 1
	v_cmp_ge_i64_e32 vcc, v[10:11], v[4:5]
	v_add_u32_e32 v2, 4, v2
	s_or_b64 s[14:15], vcc, s[14:15]
	s_waitcnt lgkmcnt(0)
	v_add_f32_e32 v12, v12, v3
	s_andn2_b64 exec, exec, s[14:15]
	s_cbranch_execnz .LBB80_126
; %bb.127:                              ;   in Loop: Header=BB80_124 Depth=1
	s_or_b64 exec, exec, s[14:15]
	s_branch .LBB80_123
.LBB80_128:
	s_or_b64 exec, exec, s[0:1]
	s_mov_b64 s[0:1], 0
.LBB80_129:
	s_andn2_b64 vcc, exec, s[0:1]
	s_cbranch_vccnz .LBB80_146
; %bb.130:
	v_cvt_f32_u32_e32 v2, s3
	s_sub_i32 s12, 0, s3
	v_mov_b32_e32 v5, 0
	v_mov_b32_e32 v13, s9
	v_rcp_iflag_f32_e32 v2, v2
	s_nop 0
	v_mul_f32_e32 v2, 0x4f7ffffe, v2
	v_cvt_u32_f32_e32 v2, v2
	v_mul_lo_u32 v3, s12, v2
	v_mul_hi_u32 v3, v2, v3
	v_add_u32_e32 v2, v2, v3
	v_mul_hi_u32 v2, v0, v2
	v_mul_lo_u32 v3, v2, s3
	v_sub_u32_e32 v3, v0, v3
	v_add_u32_e32 v4, 1, v2
	v_cmp_le_u32_e32 vcc, s3, v3
	s_nop 1
	v_cndmask_b32_e32 v2, v2, v4, vcc
	v_subrev_u32_e32 v4, s3, v3
	v_cndmask_b32_e32 v3, v3, v4, vcc
	v_add_u32_e32 v4, 1, v2
	v_cmp_le_u32_e32 vcc, s3, v3
	s_nop 1
	v_cndmask_b32_e32 v4, v2, v4, vcc
	v_lshl_add_u64 v[2:3], v[4:5], 3, s[10:11]
	global_load_dwordx4 v[8:11], v[2:3], off
	v_mov_b32_e32 v3, s9
	s_waitcnt vmcnt(0)
	v_subrev_co_u32_e32 v2, vcc, s8, v8
	s_nop 1
	v_subb_co_u32_e32 v3, vcc, v9, v3, vcc
	v_subrev_co_u32_e32 v12, vcc, s8, v10
	v_mov_b32_e32 v10, v5
	s_nop 0
	v_subb_co_u32_e32 v13, vcc, v11, v13, vcc
	v_sub_co_u32_e32 v8, vcc, v12, v2
	s_nop 1
	v_subb_co_u32_e32 v9, vcc, v13, v3, vcc
	v_mov_b32_e32 v11, v9
	v_cmp_ne_u64_e32 vcc, 0, v[10:11]
                                        ; implicit-def: $vgpr10_vgpr11
	s_and_saveexec_b64 s[0:1], vcc
	s_xor_b64 s[4:5], exec, s[0:1]
	s_cbranch_execz .LBB80_132
; %bb.131:
	s_add_u32 s0, s3, 0
	s_addc_u32 s1, 0, 0
	s_xor_b64 s[6:7], s[0:1], 0
	v_cvt_f32_u32_e32 v10, s6
	v_cvt_f32_u32_e32 v11, s7
	s_sub_u32 s8, 0, s6
	s_subb_u32 s9, 0, s7
	v_ashrrev_i32_e32 v14, 31, v9
	v_fmamk_f32 v10, v11, 0x4f800000, v10
	v_rcp_f32_e32 v10, v10
	v_mov_b32_e32 v15, v14
	v_lshl_add_u64 v[8:9], v[8:9], 0, v[14:15]
	v_xor_b32_e32 v19, v8, v14
	v_mul_f32_e32 v10, 0x5f7ffffc, v10
	v_mul_f32_e32 v11, 0x2f800000, v10
	v_trunc_f32_e32 v11, v11
	v_fmamk_f32 v10, v11, 0xcf800000, v10
	v_cvt_u32_f32_e32 v11, v11
	v_cvt_u32_f32_e32 v10, v10
	v_xor_b32_e32 v15, v9, v14
	v_readfirstlane_b32 s10, v11
	v_readfirstlane_b32 s0, v10
	s_mul_i32 s1, s8, s10
	s_mul_hi_u32 s13, s8, s0
	s_mul_i32 s11, s9, s0
	s_add_i32 s1, s13, s1
	s_mul_i32 s14, s8, s0
	s_add_i32 s1, s1, s11
	s_mul_i32 s13, s0, s1
	s_mul_hi_u32 s15, s0, s14
	s_mul_hi_u32 s11, s0, s1
	s_add_u32 s13, s15, s13
	s_addc_u32 s11, 0, s11
	s_mul_hi_u32 s16, s10, s14
	s_mul_i32 s14, s10, s14
	s_add_u32 s13, s13, s14
	s_mul_hi_u32 s15, s10, s1
	s_addc_u32 s11, s11, s16
	s_addc_u32 s13, s15, 0
	s_mul_i32 s1, s10, s1
	s_add_u32 s1, s11, s1
	s_addc_u32 s11, 0, s13
	s_add_u32 s13, s0, s1
	s_cselect_b64 s[0:1], -1, 0
	s_cmp_lg_u64 s[0:1], 0
	s_addc_u32 s10, s10, s11
	s_mul_i32 s0, s8, s10
	s_mul_hi_u32 s1, s8, s13
	s_add_i32 s0, s1, s0
	s_mul_i32 s9, s9, s13
	s_add_i32 s0, s0, s9
	s_mul_i32 s8, s8, s13
	s_mul_hi_u32 s9, s10, s8
	s_mul_i32 s11, s10, s8
	s_mul_i32 s15, s13, s0
	s_mul_hi_u32 s8, s13, s8
	s_mul_hi_u32 s14, s13, s0
	s_add_u32 s8, s8, s15
	s_addc_u32 s14, 0, s14
	s_add_u32 s8, s8, s11
	s_mul_hi_u32 s1, s10, s0
	s_addc_u32 s8, s14, s9
	s_addc_u32 s1, s1, 0
	s_mul_i32 s0, s10, s0
	s_add_u32 s0, s8, s0
	s_addc_u32 s8, 0, s1
	s_add_u32 s9, s13, s0
	s_cselect_b64 s[0:1], -1, 0
	s_cmp_lg_u64 s[0:1], 0
	s_addc_u32 s8, s10, s8
	v_mad_u64_u32 v[8:9], s[0:1], v19, s8, 0
	v_mul_hi_u32 v10, v19, s9
	v_mov_b32_e32 v11, v5
	v_lshl_add_u64 v[8:9], v[10:11], 0, v[8:9]
	v_mad_u64_u32 v[16:17], s[0:1], v15, s9, 0
	v_add_co_u32_e32 v8, vcc, v8, v16
	v_mad_u64_u32 v[10:11], s[0:1], v15, s8, 0
	s_nop 0
	v_addc_co_u32_e32 v8, vcc, v9, v17, vcc
	v_mov_b32_e32 v9, v5
	s_nop 0
	v_addc_co_u32_e32 v11, vcc, 0, v11, vcc
	v_lshl_add_u64 v[8:9], v[8:9], 0, v[10:11]
	v_mul_lo_u32 v16, s7, v8
	v_mul_lo_u32 v17, s6, v9
	v_mad_u64_u32 v[10:11], s[0:1], s6, v8, 0
	v_add3_u32 v20, v11, v17, v16
	v_sub_u32_e32 v11, v15, v20
	v_mov_b32_e32 v16, s7
	v_sub_co_u32_e32 v19, vcc, v19, v10
	s_nop 1
	v_subb_co_u32_e64 v10, s[0:1], v11, v16, vcc
	v_subrev_co_u32_e64 v11, s[0:1], s6, v19
	v_subb_co_u32_e32 v15, vcc, v15, v20, vcc
	s_nop 0
	v_subbrev_co_u32_e64 v10, s[0:1], 0, v10, s[0:1]
	v_cmp_le_u32_e64 s[0:1], s7, v10
	v_cmp_le_u32_e32 vcc, s7, v15
	s_nop 0
	v_cndmask_b32_e64 v16, 0, -1, s[0:1]
	v_cmp_le_u32_e64 s[0:1], s6, v11
	s_nop 1
	v_cndmask_b32_e64 v11, 0, -1, s[0:1]
	v_cmp_eq_u32_e64 s[0:1], s7, v10
	s_nop 1
	v_cndmask_b32_e64 v21, v16, v11, s[0:1]
	v_lshl_add_u64 v[10:11], v[8:9], 0, 2
	v_lshl_add_u64 v[16:17], v[8:9], 0, 1
	v_cmp_ne_u32_e64 s[0:1], 0, v21
	s_nop 1
	v_cndmask_b32_e64 v11, v17, v11, s[0:1]
	v_cndmask_b32_e64 v17, 0, -1, vcc
	v_cmp_le_u32_e32 vcc, s6, v19
	v_cndmask_b32_e64 v10, v16, v10, s[0:1]
	s_nop 0
	v_cndmask_b32_e64 v19, 0, -1, vcc
	v_cmp_eq_u32_e32 vcc, s7, v15
	s_nop 1
	v_cndmask_b32_e32 v15, v17, v19, vcc
	v_cmp_ne_u32_e32 vcc, 0, v15
	s_nop 1
	v_cndmask_b32_e32 v8, v8, v10, vcc
	v_cndmask_b32_e32 v9, v9, v11, vcc
	v_xor_b32_e32 v8, v8, v14
	v_xor_b32_e32 v9, v9, v14
	v_sub_co_u32_e32 v10, vcc, v8, v14
                                        ; implicit-def: $vgpr8
	s_nop 1
	v_subb_co_u32_e32 v11, vcc, v9, v14, vcc
.LBB80_132:
	s_andn2_saveexec_b64 s[0:1], s[4:5]
	s_cbranch_execz .LBB80_134
; %bb.133:
	v_cvt_f32_u32_e32 v9, s3
	v_rcp_iflag_f32_e32 v9, v9
	s_nop 0
	v_mul_f32_e32 v9, 0x4f7ffffe, v9
	v_cvt_u32_f32_e32 v9, v9
	v_mul_lo_u32 v10, s12, v9
	v_mul_hi_u32 v10, v9, v10
	v_add_u32_e32 v9, v9, v10
	v_mul_hi_u32 v9, v8, v9
	v_mul_lo_u32 v10, v9, s3
	v_sub_u32_e32 v8, v8, v10
	v_add_u32_e32 v11, 1, v9
	v_subrev_u32_e32 v10, s3, v8
	v_cmp_le_u32_e32 vcc, s3, v8
	s_nop 1
	v_cndmask_b32_e32 v8, v8, v10, vcc
	v_cndmask_b32_e32 v9, v9, v11, vcc
	v_add_u32_e32 v10, 1, v9
	v_cmp_le_u32_e32 vcc, s3, v8
	v_mov_b32_e32 v11, 0
	s_nop 0
	v_cndmask_b32_e32 v10, v9, v10, vcc
.LBB80_134:
	s_or_b64 exec, exec, s[0:1]
	v_cmp_gt_i64_e32 vcc, s[26:27], v[4:5]
	v_mov_b32_e32 v14, 0
	s_and_saveexec_b64 s[0:1], vcc
	s_cbranch_execz .LBB80_142
; %bb.135:
	s_add_i32 s4, s3, -1
	v_and_b32_e32 v4, s4, v0
	s_mov_b64 s[4:5], 0
	v_cmp_lt_i64_e32 vcc, 0, v[10:11]
	v_mov_b32_e32 v14, 0
	v_lshlrev_b32_e32 v15, 2, v4
	s_and_saveexec_b64 s[6:7], vcc
	s_cbranch_execz .LBB80_139
; %bb.136:
	v_lshl_add_u32 v5, v2, 2, v15
	s_lshl_b32 s8, s3, 2
	v_mov_b32_e32 v14, 0
	v_mov_b64_e32 v[8:9], v[10:11]
.LBB80_137:                             ; =>This Inner Loop Header: Depth=1
	ds_read_b32 v16, v5
	v_lshl_add_u64 v[8:9], v[8:9], 0, -1
	v_cmp_eq_u64_e32 vcc, 0, v[8:9]
	v_add_u32_e32 v5, s8, v5
	s_or_b64 s[4:5], vcc, s[4:5]
	s_waitcnt lgkmcnt(0)
	v_add_f32_e32 v14, v14, v16
	s_andn2_b64 exec, exec, s[4:5]
	s_cbranch_execnz .LBB80_137
; %bb.138:
	s_or_b64 exec, exec, s[4:5]
.LBB80_139:
	s_or_b64 exec, exec, s[6:7]
	v_mad_u64_u32 v[2:3], s[4:5], v10, s3, v[2:3]
	v_mov_b32_e32 v8, v3
	v_mad_u64_u32 v[8:9], s[4:5], v11, s3, v[8:9]
	v_sub_co_u32_e32 v10, vcc, v12, v2
	v_mov_b32_e32 v5, 0
	s_nop 0
	v_subb_co_u32_e32 v11, vcc, v13, v8, vcc
	v_cmp_gt_i64_e32 vcc, v[10:11], v[4:5]
	s_and_saveexec_b64 s[4:5], vcc
	s_cbranch_execz .LBB80_141
; %bb.140:
	v_lshl_add_u32 v2, v2, 2, v15
	ds_read_b32 v2, v2
	s_waitcnt lgkmcnt(0)
	v_add_f32_e32 v14, v14, v2
.LBB80_141:
	s_or_b64 exec, exec, s[4:5]
.LBB80_142:
	s_or_b64 exec, exec, s[0:1]
	v_cmp_gt_i64_e32 vcc, s[26:27], v[0:1]
	s_barrier
	ds_write_b32 v18, v14
	s_waitcnt lgkmcnt(0)
	s_barrier
	s_and_saveexec_b64 s[0:1], vcc
	s_cbranch_execz .LBB80_146
; %bb.143:
	v_mul_lo_u32 v1, s3, v0
	v_lshlrev_b32_e32 v2, 2, v1
	v_mov_b32_e32 v1, 0
.LBB80_144:                             ; =>This Inner Loop Header: Depth=1
	ds_read_b32 v3, v2
	s_add_i32 s3, s3, -1
	v_add_u32_e32 v2, 4, v2
	s_cmp_eq_u32 s3, 0
	s_waitcnt lgkmcnt(0)
	v_add_f32_e32 v1, v1, v3
	s_cbranch_scc0 .LBB80_144
; %bb.145:
	s_lshl_b32 s0, s2, 2
	s_addk_i32 s0, 0x1000
	v_lshl_add_u32 v0, v0, 2, s0
	ds_read_b32 v0, v0
	s_waitcnt lgkmcnt(0)
	v_add_f32_e32 v2, v1, v0
	v_lshl_add_u64 v[0:1], v[6:7], 2, s[24:25]
	global_atomic_add_f32 v[0:1], v2, off
.LBB80_146:
	s_endpgm
	.section	.rodata,"a",@progbits
	.p2align	6, 0x0
	.amdhsa_kernel _ZN9rocsparseL27csrmvn_symm_adaptive_kernelIll18rocsparse_bfloat16S1_ffEEvbT_S2_PKS2_NS_24const_host_device_scalarIT4_EES4_PKT0_PKT1_PKT2_S7_PT3_21rocsparse_index_base_b
		.amdhsa_group_segment_fixed_size 4096
		.amdhsa_private_segment_fixed_size 0
		.amdhsa_kernarg_size 352
		.amdhsa_user_sgpr_count 2
		.amdhsa_user_sgpr_dispatch_ptr 0
		.amdhsa_user_sgpr_queue_ptr 0
		.amdhsa_user_sgpr_kernarg_segment_ptr 1
		.amdhsa_user_sgpr_dispatch_id 0
		.amdhsa_user_sgpr_kernarg_preload_length 0
		.amdhsa_user_sgpr_kernarg_preload_offset 0
		.amdhsa_user_sgpr_private_segment_size 0
		.amdhsa_uses_dynamic_stack 0
		.amdhsa_enable_private_segment 0
		.amdhsa_system_sgpr_workgroup_id_x 1
		.amdhsa_system_sgpr_workgroup_id_y 0
		.amdhsa_system_sgpr_workgroup_id_z 0
		.amdhsa_system_sgpr_workgroup_info 0
		.amdhsa_system_vgpr_workitem_id 0
		.amdhsa_next_free_vgpr 22
		.amdhsa_next_free_sgpr 52
		.amdhsa_accum_offset 24
		.amdhsa_reserve_vcc 1
		.amdhsa_float_round_mode_32 0
		.amdhsa_float_round_mode_16_64 0
		.amdhsa_float_denorm_mode_32 3
		.amdhsa_float_denorm_mode_16_64 3
		.amdhsa_dx10_clamp 1
		.amdhsa_ieee_mode 1
		.amdhsa_fp16_overflow 0
		.amdhsa_tg_split 0
		.amdhsa_exception_fp_ieee_invalid_op 0
		.amdhsa_exception_fp_denorm_src 0
		.amdhsa_exception_fp_ieee_div_zero 0
		.amdhsa_exception_fp_ieee_overflow 0
		.amdhsa_exception_fp_ieee_underflow 0
		.amdhsa_exception_fp_ieee_inexact 0
		.amdhsa_exception_int_div_zero 0
	.end_amdhsa_kernel
	.section	.text._ZN9rocsparseL27csrmvn_symm_adaptive_kernelIll18rocsparse_bfloat16S1_ffEEvbT_S2_PKS2_NS_24const_host_device_scalarIT4_EES4_PKT0_PKT1_PKT2_S7_PT3_21rocsparse_index_base_b,"axG",@progbits,_ZN9rocsparseL27csrmvn_symm_adaptive_kernelIll18rocsparse_bfloat16S1_ffEEvbT_S2_PKS2_NS_24const_host_device_scalarIT4_EES4_PKT0_PKT1_PKT2_S7_PT3_21rocsparse_index_base_b,comdat
.Lfunc_end80:
	.size	_ZN9rocsparseL27csrmvn_symm_adaptive_kernelIll18rocsparse_bfloat16S1_ffEEvbT_S2_PKS2_NS_24const_host_device_scalarIT4_EES4_PKT0_PKT1_PKT2_S7_PT3_21rocsparse_index_base_b, .Lfunc_end80-_ZN9rocsparseL27csrmvn_symm_adaptive_kernelIll18rocsparse_bfloat16S1_ffEEvbT_S2_PKS2_NS_24const_host_device_scalarIT4_EES4_PKT0_PKT1_PKT2_S7_PT3_21rocsparse_index_base_b
                                        ; -- End function
	.set _ZN9rocsparseL27csrmvn_symm_adaptive_kernelIll18rocsparse_bfloat16S1_ffEEvbT_S2_PKS2_NS_24const_host_device_scalarIT4_EES4_PKT0_PKT1_PKT2_S7_PT3_21rocsparse_index_base_b.num_vgpr, 22
	.set _ZN9rocsparseL27csrmvn_symm_adaptive_kernelIll18rocsparse_bfloat16S1_ffEEvbT_S2_PKS2_NS_24const_host_device_scalarIT4_EES4_PKT0_PKT1_PKT2_S7_PT3_21rocsparse_index_base_b.num_agpr, 0
	.set _ZN9rocsparseL27csrmvn_symm_adaptive_kernelIll18rocsparse_bfloat16S1_ffEEvbT_S2_PKS2_NS_24const_host_device_scalarIT4_EES4_PKT0_PKT1_PKT2_S7_PT3_21rocsparse_index_base_b.numbered_sgpr, 52
	.set _ZN9rocsparseL27csrmvn_symm_adaptive_kernelIll18rocsparse_bfloat16S1_ffEEvbT_S2_PKS2_NS_24const_host_device_scalarIT4_EES4_PKT0_PKT1_PKT2_S7_PT3_21rocsparse_index_base_b.num_named_barrier, 0
	.set _ZN9rocsparseL27csrmvn_symm_adaptive_kernelIll18rocsparse_bfloat16S1_ffEEvbT_S2_PKS2_NS_24const_host_device_scalarIT4_EES4_PKT0_PKT1_PKT2_S7_PT3_21rocsparse_index_base_b.private_seg_size, 0
	.set _ZN9rocsparseL27csrmvn_symm_adaptive_kernelIll18rocsparse_bfloat16S1_ffEEvbT_S2_PKS2_NS_24const_host_device_scalarIT4_EES4_PKT0_PKT1_PKT2_S7_PT3_21rocsparse_index_base_b.uses_vcc, 1
	.set _ZN9rocsparseL27csrmvn_symm_adaptive_kernelIll18rocsparse_bfloat16S1_ffEEvbT_S2_PKS2_NS_24const_host_device_scalarIT4_EES4_PKT0_PKT1_PKT2_S7_PT3_21rocsparse_index_base_b.uses_flat_scratch, 0
	.set _ZN9rocsparseL27csrmvn_symm_adaptive_kernelIll18rocsparse_bfloat16S1_ffEEvbT_S2_PKS2_NS_24const_host_device_scalarIT4_EES4_PKT0_PKT1_PKT2_S7_PT3_21rocsparse_index_base_b.has_dyn_sized_stack, 0
	.set _ZN9rocsparseL27csrmvn_symm_adaptive_kernelIll18rocsparse_bfloat16S1_ffEEvbT_S2_PKS2_NS_24const_host_device_scalarIT4_EES4_PKT0_PKT1_PKT2_S7_PT3_21rocsparse_index_base_b.has_recursion, 0
	.set _ZN9rocsparseL27csrmvn_symm_adaptive_kernelIll18rocsparse_bfloat16S1_ffEEvbT_S2_PKS2_NS_24const_host_device_scalarIT4_EES4_PKT0_PKT1_PKT2_S7_PT3_21rocsparse_index_base_b.has_indirect_call, 0
	.section	.AMDGPU.csdata,"",@progbits
; Kernel info:
; codeLenInByte = 7104
; TotalNumSgprs: 58
; NumVgprs: 22
; NumAgprs: 0
; TotalNumVgprs: 22
; ScratchSize: 0
; MemoryBound: 0
; FloatMode: 240
; IeeeMode: 1
; LDSByteSize: 4096 bytes/workgroup (compile time only)
; SGPRBlocks: 7
; VGPRBlocks: 2
; NumSGPRsForWavesPerEU: 58
; NumVGPRsForWavesPerEU: 22
; AccumOffset: 24
; Occupancy: 8
; WaveLimiterHint : 1
; COMPUTE_PGM_RSRC2:SCRATCH_EN: 0
; COMPUTE_PGM_RSRC2:USER_SGPR: 2
; COMPUTE_PGM_RSRC2:TRAP_HANDLER: 0
; COMPUTE_PGM_RSRC2:TGID_X_EN: 1
; COMPUTE_PGM_RSRC2:TGID_Y_EN: 0
; COMPUTE_PGM_RSRC2:TGID_Z_EN: 0
; COMPUTE_PGM_RSRC2:TIDIG_COMP_CNT: 0
; COMPUTE_PGM_RSRC3_GFX90A:ACCUM_OFFSET: 5
; COMPUTE_PGM_RSRC3_GFX90A:TG_SPLIT: 0
	.section	.text._ZL33csrmvn_symm_large_adaptive_kernelIll18rocsparse_bfloat16S0_ffEvbT_PKS1_N9rocsparse24const_host_device_scalarIT4_EES3_PKT0_PKT1_PKT2_S7_PT3_21rocsparse_index_base_b,"axG",@progbits,_ZL33csrmvn_symm_large_adaptive_kernelIll18rocsparse_bfloat16S0_ffEvbT_PKS1_N9rocsparse24const_host_device_scalarIT4_EES3_PKT0_PKT1_PKT2_S7_PT3_21rocsparse_index_base_b,comdat
	.globl	_ZL33csrmvn_symm_large_adaptive_kernelIll18rocsparse_bfloat16S0_ffEvbT_PKS1_N9rocsparse24const_host_device_scalarIT4_EES3_PKT0_PKT1_PKT2_S7_PT3_21rocsparse_index_base_b ; -- Begin function _ZL33csrmvn_symm_large_adaptive_kernelIll18rocsparse_bfloat16S0_ffEvbT_PKS1_N9rocsparse24const_host_device_scalarIT4_EES3_PKT0_PKT1_PKT2_S7_PT3_21rocsparse_index_base_b
	.p2align	8
	.type	_ZL33csrmvn_symm_large_adaptive_kernelIll18rocsparse_bfloat16S0_ffEvbT_PKS1_N9rocsparse24const_host_device_scalarIT4_EES3_PKT0_PKT1_PKT2_S7_PT3_21rocsparse_index_base_b,@function
_ZL33csrmvn_symm_large_adaptive_kernelIll18rocsparse_bfloat16S0_ffEvbT_PKS1_N9rocsparse24const_host_device_scalarIT4_EES3_PKT0_PKT1_PKT2_S7_PT3_21rocsparse_index_base_b: ; @_ZL33csrmvn_symm_large_adaptive_kernelIll18rocsparse_bfloat16S0_ffEvbT_PKS1_N9rocsparse24const_host_device_scalarIT4_EES3_PKT0_PKT1_PKT2_S7_PT3_21rocsparse_index_base_b
; %bb.0:
	s_load_dwordx2 s[10:11], s[0:1], 0x50
	s_load_dwordx2 s[24:25], s[0:1], 0x18
	;; [unrolled: 1-line block ×3, first 2 shown]
	s_waitcnt lgkmcnt(0)
	s_bitcmp1_b32 s11, 0
	s_cselect_b64 s[8:9], -1, 0
	s_xor_b64 s[6:7], s[8:9], -1
	s_and_b64 vcc, exec, s[8:9]
	s_cbranch_vccnz .LBB81_2
; %bb.1:
	s_load_dword s24, s[24:25], 0x0
.LBB81_2:
	s_andn2_b64 vcc, exec, s[6:7]
	s_cbranch_vccnz .LBB81_4
; %bb.3:
	s_load_dword s4, s[4:5], 0x0
.LBB81_4:
	s_waitcnt lgkmcnt(0)
	v_cmp_neq_f32_e64 s[6:7], s24, 0
	v_cmp_neq_f32_e64 s[4:5], s4, 1.0
	s_or_b64 s[4:5], s[6:7], s[4:5]
	s_andn2_b64 vcc, exec, s[4:5]
	s_cbranch_vccnz .LBB81_34
; %bb.5:
	s_load_dwordx2 s[4:5], s[0:1], 0x10
	s_ashr_i32 s3, s2, 31
	s_lshl_b64 s[2:3], s[2:3], 3
	v_lshlrev_b32_e32 v10, 2, v0
	v_mov_b32_e32 v11, 0
	s_waitcnt lgkmcnt(0)
	s_add_u32 s2, s4, s2
	s_addc_u32 s3, s5, s3
	ds_write2st64_b32 v10, v11, v11 offset1:4
	ds_write2st64_b32 v10, v11, v11 offset0:8 offset1:12
	s_waitcnt lgkmcnt(0)
	s_barrier
	s_load_dwordx4 s[20:23], s[2:3], 0x0
	s_load_dwordx8 s[12:19], s[0:1], 0x20
	s_load_dwordx2 s[26:27], s[0:1], 0x48
	s_waitcnt lgkmcnt(0)
	v_mov_b64_e32 v[2:3], s[22:23]
	v_cmp_ge_i64_e32 vcc, s[20:21], v[2:3]
	v_subrev_co_u32_e64 v2, s[0:1], s10, v0
	s_nop 1
	v_subb_co_u32_e64 v3, s[0:1], 0, 0, s[0:1]
	s_cbranch_vccnz .LBB81_25
; %bb.6:
	s_movk_i32 s0, 0x100
	v_cmp_gt_u32_e64 s[0:1], s0, v0
	v_cmp_gt_u32_e64 s[2:3], 64, v0
	;; [unrolled: 1-line block ×4, first 2 shown]
	v_cmp_eq_u32_e64 s[8:9], 0, v0
	s_mov_b64 s[28:29], 0x100
	s_mov_b64 s[30:31], 0x800
	;; [unrolled: 1-line block ×3, first 2 shown]
	v_mov_b64_e32 v[0:1], s[22:23]
	s_mov_b64 s[36:37], s[20:21]
	s_branch .LBB81_8
.LBB81_7:                               ;   in Loop: Header=BB81_8 Depth=1
	s_or_b64 exec, exec, s[38:39]
	s_add_u32 s36, s36, 1
	s_addc_u32 s37, s37, 0
	v_cmp_ge_i64_e32 vcc, s[36:37], v[0:1]
	s_cbranch_vccnz .LBB81_25
.LBB81_8:                               ; =>This Loop Header: Depth=1
                                        ;     Child Loop BB81_10 Depth 2
	s_lshl_b64 s[38:39], s[36:37], 3
	s_add_u32 s38, s12, s38
	s_addc_u32 s39, s13, s39
	s_load_dwordx4 s[40:43], s[38:39], 0x0
	v_mov_b32_e32 v12, 0
	s_waitcnt lgkmcnt(0)
	s_sub_u32 s38, s42, s10
	v_lshl_add_u64 v[4:5], s[40:41], 0, v[2:3]
	s_subb_u32 s39, s43, 0
	v_cmp_gt_i64_e32 vcc, s[38:39], v[4:5]
	s_and_saveexec_b64 s[40:41], vcc
	s_cbranch_execz .LBB81_12
; %bb.9:                                ;   in Loop: Header=BB81_8 Depth=1
	v_lshl_add_u64 v[6:7], v[4:5], 3, s[14:15]
	v_lshl_add_u64 v[8:9], v[4:5], 1, s[16:17]
	v_mov_b32_e32 v12, 0
	s_mov_b64 s[42:43], 0
.LBB81_10:                              ;   Parent Loop BB81_8 Depth=1
                                        ; =>  This Inner Loop Header: Depth=2
	global_load_dwordx2 v[14:15], v[6:7], off
	global_load_ushort v13, v[8:9], off
	v_lshl_add_u64 v[4:5], v[4:5], 0, s[28:29]
	v_lshl_add_u64 v[6:7], v[6:7], 0, s[30:31]
	;; [unrolled: 1-line block ×3, first 2 shown]
	s_waitcnt vmcnt(1)
	v_subrev_co_u32_e32 v14, vcc, s10, v14
	s_nop 1
	v_subbrev_co_u32_e32 v15, vcc, 0, v15, vcc
	v_lshl_add_u64 v[14:15], v[14:15], 1, s[18:19]
	global_load_ushort v14, v[14:15], off
	v_cmp_le_i64_e32 vcc, s[38:39], v[4:5]
	s_waitcnt vmcnt(1)
	v_lshlrev_b32_e32 v13, 16, v13
	s_or_b64 s[42:43], vcc, s[42:43]
	s_waitcnt vmcnt(0)
	v_lshlrev_b32_e32 v14, 16, v14
	v_fmac_f32_e32 v12, v13, v14
	s_andn2_b64 exec, exec, s[42:43]
	s_cbranch_execnz .LBB81_10
; %bb.11:                               ;   in Loop: Header=BB81_8 Depth=1
	s_or_b64 exec, exec, s[42:43]
.LBB81_12:                              ;   in Loop: Header=BB81_8 Depth=1
	s_or_b64 exec, exec, s[40:41]
	ds_write_b32 v10, v12
	s_waitcnt lgkmcnt(0)
	s_barrier
	s_and_saveexec_b64 s[38:39], s[0:1]
	s_cbranch_execz .LBB81_14
; %bb.13:                               ;   in Loop: Header=BB81_8 Depth=1
	ds_read2st64_b32 v[4:5], v10 offset1:4
	ds_read2st64_b32 v[6:7], v10 offset0:8 offset1:12
	s_waitcnt lgkmcnt(0)
	v_add_f32_e32 v5, v5, v6
	v_add_f32_e32 v5, v5, v7
	;; [unrolled: 1-line block ×3, first 2 shown]
	ds_write_b32 v10, v4
.LBB81_14:                              ;   in Loop: Header=BB81_8 Depth=1
	s_or_b64 exec, exec, s[38:39]
	s_waitcnt lgkmcnt(0)
	s_barrier
	s_and_saveexec_b64 s[38:39], s[2:3]
	s_cbranch_execz .LBB81_16
; %bb.15:                               ;   in Loop: Header=BB81_8 Depth=1
	ds_read2st64_b32 v[4:5], v10 offset1:1
	ds_read2st64_b32 v[6:7], v10 offset0:2 offset1:3
	s_waitcnt lgkmcnt(0)
	v_add_f32_e32 v5, v5, v6
	v_add_f32_e32 v5, v5, v7
	;; [unrolled: 1-line block ×3, first 2 shown]
	ds_write_b32 v10, v4
.LBB81_16:                              ;   in Loop: Header=BB81_8 Depth=1
	s_or_b64 exec, exec, s[38:39]
	s_waitcnt lgkmcnt(0)
	s_barrier
	s_and_saveexec_b64 s[38:39], s[4:5]
	s_cbranch_execz .LBB81_18
; %bb.17:                               ;   in Loop: Header=BB81_8 Depth=1
	ds_read2_b32 v[4:5], v10 offset1:16
	ds_read2_b32 v[6:7], v10 offset0:32 offset1:48
	s_waitcnt lgkmcnt(0)
	v_add_f32_e32 v5, v5, v6
	v_add_f32_e32 v5, v5, v7
	;; [unrolled: 1-line block ×3, first 2 shown]
	ds_write_b32 v10, v4
.LBB81_18:                              ;   in Loop: Header=BB81_8 Depth=1
	s_or_b64 exec, exec, s[38:39]
	s_waitcnt lgkmcnt(0)
	s_barrier
	s_and_saveexec_b64 s[38:39], s[6:7]
	s_cbranch_execz .LBB81_20
; %bb.19:                               ;   in Loop: Header=BB81_8 Depth=1
	ds_read2_b32 v[4:5], v10 offset1:4
	ds_read2_b32 v[6:7], v10 offset0:8 offset1:12
	s_waitcnt lgkmcnt(0)
	v_add_f32_e32 v5, v5, v6
	v_add_f32_e32 v5, v5, v7
	;; [unrolled: 1-line block ×3, first 2 shown]
	ds_write_b32 v10, v4
.LBB81_20:                              ;   in Loop: Header=BB81_8 Depth=1
	s_or_b64 exec, exec, s[38:39]
	s_waitcnt lgkmcnt(0)
	s_barrier
	s_and_saveexec_b64 s[38:39], s[8:9]
	s_cbranch_execz .LBB81_22
; %bb.21:                               ;   in Loop: Header=BB81_8 Depth=1
	ds_read2_b32 v[4:5], v11 offset0:1 offset1:2
	ds_read_b32 v6, v11 offset:12
	ds_read_b32 v7, v10
	s_waitcnt lgkmcnt(2)
	v_add_f32_e32 v4, v4, v5
	s_waitcnt lgkmcnt(1)
	v_add_f32_e32 v4, v4, v6
	;; [unrolled: 2-line block ×3, first 2 shown]
	ds_write_b32 v10, v4
.LBB81_22:                              ;   in Loop: Header=BB81_8 Depth=1
	s_or_b64 exec, exec, s[38:39]
	s_waitcnt lgkmcnt(0)
	s_barrier
	s_and_saveexec_b64 s[38:39], s[8:9]
	s_cbranch_execz .LBB81_7
; %bb.23:                               ;   in Loop: Header=BB81_8 Depth=1
	s_mov_b64 s[40:41], exec
	v_mbcnt_lo_u32_b32 v4, s40, 0
	v_mbcnt_hi_u32_b32 v4, s41, v4
	v_cmp_eq_u32_e32 vcc, 0, v4
	s_and_b64 s[42:43], exec, vcc
	s_mov_b64 exec, s[42:43]
	s_cbranch_execz .LBB81_7
; %bb.24:                               ;   in Loop: Header=BB81_8 Depth=1
	ds_read_b32 v4, v11
	s_lshl_b64 s[42:43], s[36:37], 2
	s_add_u32 s42, s26, s42
	s_addc_u32 s43, s27, s43
	s_bcnt1_i32_b64 s11, s[40:41]
	s_waitcnt lgkmcnt(0)
	v_mul_f32_e32 v4, s24, v4
	v_cvt_f32_ubyte0_e32 v5, s11
	v_mul_f32_e32 v4, v4, v5
	global_atomic_add_f32 v11, v4, s[42:43]
	s_branch .LBB81_7
.LBB81_25:
	s_lshl_b64 s[0:1], s[20:21], 3
	s_add_u32 s0, s12, s0
	s_addc_u32 s1, s13, s1
	s_lshl_b64 s[2:3], s[22:23], 3
	s_add_u32 s2, s12, s2
	s_addc_u32 s3, s13, s3
	s_load_dwordx2 s[4:5], s[2:3], 0x0
	s_load_dwordx2 s[6:7], s[0:1], 0x0
	s_waitcnt lgkmcnt(0)
	s_sub_u32 s4, s4, s10
	s_subb_u32 s5, s5, 0
	v_lshl_add_u64 v[0:1], s[6:7], 0, v[2:3]
	v_cmp_gt_i64_e32 vcc, s[4:5], v[0:1]
	s_and_saveexec_b64 s[0:1], vcc
	s_cbranch_execz .LBB81_34
; %bb.26:
	s_add_u32 s6, s22, -1
	s_addc_u32 s7, s23, -1
	s_add_u32 s0, s22, -2
	s_addc_u32 s1, s23, -1
	v_mov_b64_e32 v[2:3], s[6:7]
	s_cmp_lg_u64 s[20:21], s[0:1]
	v_cmp_lt_i64_e32 vcc, s[20:21], v[2:3]
	s_cselect_b64 s[0:1], -1, 0
	s_and_b64 s[0:1], vcc, s[0:1]
	v_cndmask_b32_e64 v2, 0, 1, s[0:1]
	s_mov_b64 s[8:9], 0
	v_cmp_ne_u32_e64 s[0:1], 1, v2
	v_mov_b32_e32 v3, 0
	s_mov_b64 s[22:23], 0x100
	s_branch .LBB81_28
.LBB81_27:                              ;   in Loop: Header=BB81_28 Depth=1
	s_or_b64 exec, exec, s[2:3]
	v_lshl_add_u64 v[0:1], v[0:1], 0, s[22:23]
	v_cmp_le_i64_e32 vcc, s[4:5], v[0:1]
	s_or_b64 s[8:9], vcc, s[8:9]
	s_andn2_b64 exec, exec, s[8:9]
	s_cbranch_execz .LBB81_34
.LBB81_28:                              ; =>This Loop Header: Depth=1
                                        ;     Child Loop BB81_30 Depth 2
	s_and_b64 vcc, exec, s[0:1]
	v_mov_b64_e32 v[4:5], s[20:21]
	v_mov_b64_e32 v[6:7], s[6:7]
	s_cbranch_vccnz .LBB81_32
; %bb.29:                               ;   in Loop: Header=BB81_28 Depth=1
	s_mov_b64 s[28:29], 0
	v_mov_b64_e32 v[4:5], s[20:21]
	v_mov_b64_e32 v[6:7], s[6:7]
.LBB81_30:                              ;   Parent Loop BB81_28 Depth=1
                                        ; =>  This Inner Loop Header: Depth=2
	v_lshl_add_u64 v[8:9], v[6:7], 0, v[4:5]
	v_lshrrev_b32_e32 v2, 31, v9
	v_lshl_add_u64 v[8:9], v[8:9], 0, v[2:3]
	v_ashrrev_i64 v[8:9], 1, v[8:9]
	v_lshl_add_u64 v[10:11], v[8:9], 3, s[12:13]
	global_load_dwordx2 v[10:11], v[10:11], off
	s_waitcnt vmcnt(0)
	v_subrev_co_u32_e32 v10, vcc, s10, v10
	s_nop 1
	v_subbrev_co_u32_e32 v11, vcc, 0, v11, vcc
	v_cmp_lt_i64_e32 vcc, v[0:1], v[10:11]
	s_nop 1
	v_cndmask_b32_e32 v7, v7, v9, vcc
	v_cndmask_b32_e32 v6, v6, v8, vcc
	;; [unrolled: 1-line block ×4, first 2 shown]
	v_lshl_add_u64 v[8:9], v[6:7], 0, -1
	v_cmp_ge_i64_e32 vcc, v[4:5], v[6:7]
	v_cmp_eq_u64_e64 s[2:3], v[4:5], v[8:9]
	s_or_b64 s[2:3], vcc, s[2:3]
	s_and_b64 s[2:3], exec, s[2:3]
	s_or_b64 s[28:29], s[2:3], s[28:29]
	s_andn2_b64 exec, exec, s[28:29]
	s_cbranch_execnz .LBB81_30
; %bb.31:                               ;   in Loop: Header=BB81_28 Depth=1
	s_or_b64 exec, exec, s[28:29]
.LBB81_32:                              ;   in Loop: Header=BB81_28 Depth=1
	v_lshl_add_u64 v[8:9], v[6:7], 3, s[12:13]
	global_load_dwordx2 v[8:9], v[8:9], off
	v_lshl_add_u64 v[10:11], v[0:1], 3, s[14:15]
	global_load_dwordx2 v[10:11], v[10:11], off
	s_waitcnt vmcnt(1)
	v_subrev_co_u32_e32 v8, vcc, s10, v8
	s_nop 1
	v_subbrev_co_u32_e32 v9, vcc, 0, v9, vcc
	v_cmp_lt_i64_e32 vcc, v[0:1], v[8:9]
	s_nop 1
	v_cndmask_b32_e32 v7, v7, v5, vcc
	v_cndmask_b32_e32 v6, v6, v4, vcc
	s_waitcnt vmcnt(0)
	v_subrev_co_u32_e32 v4, vcc, s10, v10
	s_nop 1
	v_subbrev_co_u32_e32 v5, vcc, 0, v11, vcc
	v_cmp_ne_u64_e32 vcc, v[4:5], v[6:7]
	s_and_saveexec_b64 s[2:3], vcc
	s_cbranch_execz .LBB81_27
; %bb.33:                               ;   in Loop: Header=BB81_28 Depth=1
	v_lshl_add_u64 v[8:9], v[0:1], 1, s[16:17]
	global_load_ushort v2, v[8:9], off
	v_lshl_add_u64 v[6:7], v[6:7], 1, s[18:19]
	global_load_ushort v6, v[6:7], off
	v_lshl_add_u64 v[4:5], v[4:5], 2, s[26:27]
	s_waitcnt vmcnt(1)
	v_lshlrev_b32_e32 v2, 16, v2
	v_mul_f32_e32 v2, s24, v2
	s_waitcnt vmcnt(0)
	v_lshlrev_b32_e32 v6, 16, v6
	v_mul_f32_e32 v2, v2, v6
	global_atomic_add_f32 v[4:5], v2, off
	s_branch .LBB81_27
.LBB81_34:
	s_endpgm
	.section	.rodata,"a",@progbits
	.p2align	6, 0x0
	.amdhsa_kernel _ZL33csrmvn_symm_large_adaptive_kernelIll18rocsparse_bfloat16S0_ffEvbT_PKS1_N9rocsparse24const_host_device_scalarIT4_EES3_PKT0_PKT1_PKT2_S7_PT3_21rocsparse_index_base_b
		.amdhsa_group_segment_fixed_size 4096
		.amdhsa_private_segment_fixed_size 0
		.amdhsa_kernarg_size 88
		.amdhsa_user_sgpr_count 2
		.amdhsa_user_sgpr_dispatch_ptr 0
		.amdhsa_user_sgpr_queue_ptr 0
		.amdhsa_user_sgpr_kernarg_segment_ptr 1
		.amdhsa_user_sgpr_dispatch_id 0
		.amdhsa_user_sgpr_kernarg_preload_length 0
		.amdhsa_user_sgpr_kernarg_preload_offset 0
		.amdhsa_user_sgpr_private_segment_size 0
		.amdhsa_uses_dynamic_stack 0
		.amdhsa_enable_private_segment 0
		.amdhsa_system_sgpr_workgroup_id_x 1
		.amdhsa_system_sgpr_workgroup_id_y 0
		.amdhsa_system_sgpr_workgroup_id_z 0
		.amdhsa_system_sgpr_workgroup_info 0
		.amdhsa_system_vgpr_workitem_id 0
		.amdhsa_next_free_vgpr 16
		.amdhsa_next_free_sgpr 44
		.amdhsa_accum_offset 16
		.amdhsa_reserve_vcc 1
		.amdhsa_float_round_mode_32 0
		.amdhsa_float_round_mode_16_64 0
		.amdhsa_float_denorm_mode_32 3
		.amdhsa_float_denorm_mode_16_64 3
		.amdhsa_dx10_clamp 1
		.amdhsa_ieee_mode 1
		.amdhsa_fp16_overflow 0
		.amdhsa_tg_split 0
		.amdhsa_exception_fp_ieee_invalid_op 0
		.amdhsa_exception_fp_denorm_src 0
		.amdhsa_exception_fp_ieee_div_zero 0
		.amdhsa_exception_fp_ieee_overflow 0
		.amdhsa_exception_fp_ieee_underflow 0
		.amdhsa_exception_fp_ieee_inexact 0
		.amdhsa_exception_int_div_zero 0
	.end_amdhsa_kernel
	.section	.text._ZL33csrmvn_symm_large_adaptive_kernelIll18rocsparse_bfloat16S0_ffEvbT_PKS1_N9rocsparse24const_host_device_scalarIT4_EES3_PKT0_PKT1_PKT2_S7_PT3_21rocsparse_index_base_b,"axG",@progbits,_ZL33csrmvn_symm_large_adaptive_kernelIll18rocsparse_bfloat16S0_ffEvbT_PKS1_N9rocsparse24const_host_device_scalarIT4_EES3_PKT0_PKT1_PKT2_S7_PT3_21rocsparse_index_base_b,comdat
.Lfunc_end81:
	.size	_ZL33csrmvn_symm_large_adaptive_kernelIll18rocsparse_bfloat16S0_ffEvbT_PKS1_N9rocsparse24const_host_device_scalarIT4_EES3_PKT0_PKT1_PKT2_S7_PT3_21rocsparse_index_base_b, .Lfunc_end81-_ZL33csrmvn_symm_large_adaptive_kernelIll18rocsparse_bfloat16S0_ffEvbT_PKS1_N9rocsparse24const_host_device_scalarIT4_EES3_PKT0_PKT1_PKT2_S7_PT3_21rocsparse_index_base_b
                                        ; -- End function
	.set _ZL33csrmvn_symm_large_adaptive_kernelIll18rocsparse_bfloat16S0_ffEvbT_PKS1_N9rocsparse24const_host_device_scalarIT4_EES3_PKT0_PKT1_PKT2_S7_PT3_21rocsparse_index_base_b.num_vgpr, 16
	.set _ZL33csrmvn_symm_large_adaptive_kernelIll18rocsparse_bfloat16S0_ffEvbT_PKS1_N9rocsparse24const_host_device_scalarIT4_EES3_PKT0_PKT1_PKT2_S7_PT3_21rocsparse_index_base_b.num_agpr, 0
	.set _ZL33csrmvn_symm_large_adaptive_kernelIll18rocsparse_bfloat16S0_ffEvbT_PKS1_N9rocsparse24const_host_device_scalarIT4_EES3_PKT0_PKT1_PKT2_S7_PT3_21rocsparse_index_base_b.numbered_sgpr, 44
	.set _ZL33csrmvn_symm_large_adaptive_kernelIll18rocsparse_bfloat16S0_ffEvbT_PKS1_N9rocsparse24const_host_device_scalarIT4_EES3_PKT0_PKT1_PKT2_S7_PT3_21rocsparse_index_base_b.num_named_barrier, 0
	.set _ZL33csrmvn_symm_large_adaptive_kernelIll18rocsparse_bfloat16S0_ffEvbT_PKS1_N9rocsparse24const_host_device_scalarIT4_EES3_PKT0_PKT1_PKT2_S7_PT3_21rocsparse_index_base_b.private_seg_size, 0
	.set _ZL33csrmvn_symm_large_adaptive_kernelIll18rocsparse_bfloat16S0_ffEvbT_PKS1_N9rocsparse24const_host_device_scalarIT4_EES3_PKT0_PKT1_PKT2_S7_PT3_21rocsparse_index_base_b.uses_vcc, 1
	.set _ZL33csrmvn_symm_large_adaptive_kernelIll18rocsparse_bfloat16S0_ffEvbT_PKS1_N9rocsparse24const_host_device_scalarIT4_EES3_PKT0_PKT1_PKT2_S7_PT3_21rocsparse_index_base_b.uses_flat_scratch, 0
	.set _ZL33csrmvn_symm_large_adaptive_kernelIll18rocsparse_bfloat16S0_ffEvbT_PKS1_N9rocsparse24const_host_device_scalarIT4_EES3_PKT0_PKT1_PKT2_S7_PT3_21rocsparse_index_base_b.has_dyn_sized_stack, 0
	.set _ZL33csrmvn_symm_large_adaptive_kernelIll18rocsparse_bfloat16S0_ffEvbT_PKS1_N9rocsparse24const_host_device_scalarIT4_EES3_PKT0_PKT1_PKT2_S7_PT3_21rocsparse_index_base_b.has_recursion, 0
	.set _ZL33csrmvn_symm_large_adaptive_kernelIll18rocsparse_bfloat16S0_ffEvbT_PKS1_N9rocsparse24const_host_device_scalarIT4_EES3_PKT0_PKT1_PKT2_S7_PT3_21rocsparse_index_base_b.has_indirect_call, 0
	.section	.AMDGPU.csdata,"",@progbits
; Kernel info:
; codeLenInByte = 1448
; TotalNumSgprs: 50
; NumVgprs: 16
; NumAgprs: 0
; TotalNumVgprs: 16
; ScratchSize: 0
; MemoryBound: 0
; FloatMode: 240
; IeeeMode: 1
; LDSByteSize: 4096 bytes/workgroup (compile time only)
; SGPRBlocks: 6
; VGPRBlocks: 1
; NumSGPRsForWavesPerEU: 50
; NumVGPRsForWavesPerEU: 16
; AccumOffset: 16
; Occupancy: 8
; WaveLimiterHint : 1
; COMPUTE_PGM_RSRC2:SCRATCH_EN: 0
; COMPUTE_PGM_RSRC2:USER_SGPR: 2
; COMPUTE_PGM_RSRC2:TRAP_HANDLER: 0
; COMPUTE_PGM_RSRC2:TGID_X_EN: 1
; COMPUTE_PGM_RSRC2:TGID_Y_EN: 0
; COMPUTE_PGM_RSRC2:TGID_Z_EN: 0
; COMPUTE_PGM_RSRC2:TIDIG_COMP_CNT: 0
; COMPUTE_PGM_RSRC3_GFX90A:ACCUM_OFFSET: 3
; COMPUTE_PGM_RSRC3_GFX90A:TG_SPLIT: 0
	.section	.text._ZN9rocsparseL22csrmvn_adaptive_kernelIiif21rocsparse_complex_numIfES2_S2_EEvbT_PKS3_PjPKT0_NS_24const_host_device_scalarIT4_EES5_S9_PKT1_PKT2_SC_PT3_21rocsparse_index_base_b,"axG",@progbits,_ZN9rocsparseL22csrmvn_adaptive_kernelIiif21rocsparse_complex_numIfES2_S2_EEvbT_PKS3_PjPKT0_NS_24const_host_device_scalarIT4_EES5_S9_PKT1_PKT2_SC_PT3_21rocsparse_index_base_b,comdat
	.globl	_ZN9rocsparseL22csrmvn_adaptive_kernelIiif21rocsparse_complex_numIfES2_S2_EEvbT_PKS3_PjPKT0_NS_24const_host_device_scalarIT4_EES5_S9_PKT1_PKT2_SC_PT3_21rocsparse_index_base_b ; -- Begin function _ZN9rocsparseL22csrmvn_adaptive_kernelIiif21rocsparse_complex_numIfES2_S2_EEvbT_PKS3_PjPKT0_NS_24const_host_device_scalarIT4_EES5_S9_PKT1_PKT2_SC_PT3_21rocsparse_index_base_b
	.p2align	8
	.type	_ZN9rocsparseL22csrmvn_adaptive_kernelIiif21rocsparse_complex_numIfES2_S2_EEvbT_PKS3_PjPKT0_NS_24const_host_device_scalarIT4_EES5_S9_PKT1_PKT2_SC_PT3_21rocsparse_index_base_b,@function
_ZN9rocsparseL22csrmvn_adaptive_kernelIiif21rocsparse_complex_numIfES2_S2_EEvbT_PKS3_PjPKT0_NS_24const_host_device_scalarIT4_EES5_S9_PKT1_PKT2_SC_PT3_21rocsparse_index_base_b: ; @_ZN9rocsparseL22csrmvn_adaptive_kernelIiif21rocsparse_complex_numIfES2_S2_EEvbT_PKS3_PjPKT0_NS_24const_host_device_scalarIT4_EES5_S9_PKT1_PKT2_SC_PT3_21rocsparse_index_base_b
; %bb.0:
	s_load_dwordx2 s[4:5], s[0:1], 0x20
	s_load_dwordx2 s[38:39], s[0:1], 0x58
	s_add_u32 s3, s0, 32
	s_addc_u32 s8, s1, 0
	s_load_dwordx2 s[6:7], s[0:1], 0x48
	s_add_u32 s9, s0, 0x48
	s_addc_u32 s10, s1, 0
	s_waitcnt lgkmcnt(0)
	s_bitcmp1_b32 s39, 0
	s_cselect_b32 s5, s8, s5
	s_cselect_b32 s3, s3, s4
	v_mov_b32_e32 v2, s3
	v_mov_b32_e32 v3, s5
	s_cselect_b32 s3, s10, s7
	s_cselect_b32 s4, s9, s6
	flat_load_dwordx2 v[4:5], v[2:3]
	v_mov_b32_e32 v2, s4
	v_mov_b32_e32 v3, s3
	flat_load_dwordx2 v[2:3], v[2:3]
	s_waitcnt vmcnt(0) lgkmcnt(0)
	v_cmp_neq_f32_e32 vcc, 0, v4
	v_cmp_neq_f32_e64 s[6:7], 0, v5
	s_or_b64 s[6:7], vcc, s[6:7]
	v_cmp_neq_f32_e64 s[8:9], 1.0, v2
	v_cmp_neq_f32_e64 s[4:5], 0, v3
	s_or_b64 s[8:9], s[8:9], s[4:5]
	s_or_b64 s[6:7], s[6:7], s[8:9]
	s_and_saveexec_b64 s[8:9], s[6:7]
	s_cbranch_execz .LBB82_119
; %bb.1:
	s_load_dwordx2 s[6:7], s[0:1], 0x8
	s_load_dwordx2 s[8:9], s[0:1], 0x18
	s_ashr_i32 s3, s2, 31
	s_lshl_b64 s[42:43], s[2:3], 2
	s_waitcnt lgkmcnt(0)
	s_add_u32 s6, s6, s42
	s_addc_u32 s7, s7, s43
	s_load_dwordx2 s[34:35], s[6:7], 0x0
	s_load_dwordx2 s[22:23], s[0:1], 0x50
	s_load_dwordx8 s[24:31], s[0:1], 0x28
	s_waitcnt lgkmcnt(0)
	s_sub_i32 s3, s35, s34
	s_add_u32 s6, s8, s42
	s_mov_b32 s40, s34
	s_addc_u32 s7, s9, s43
	s_ashr_i32 s41, s34, 31
	s_load_dword s33, s[6:7], 0x0
	s_lshl_b64 s[6:7], s[40:41], 2
	s_add_u32 s36, s24, s6
	s_addc_u32 s37, s25, s7
	s_load_dword s39, s[36:37], 0x0
	s_cmp_lt_i32 s3, 2
	s_mov_b64 s[6:7], -1
	s_cbranch_scc0 .LBB82_68
; %bb.2:
	s_cmp_lg_u32 s3, 1
	s_cselect_b64 s[6:7], -1, 0
	s_waitcnt lgkmcnt(0)
	s_cmp_lg_u32 s33, 0
	s_cselect_b64 s[8:9], -1, 0
	s_or_b64 s[6:7], s[6:7], s[8:9]
	s_mov_b32 s20, 0
	s_mov_b64 s[44:45], -1
	s_and_b64 vcc, exec, s[6:7]
	v_cmp_gt_u32_e64 s[6:7], 64, v0
	v_cmp_gt_u32_e64 s[8:9], 32, v0
	;; [unrolled: 1-line block ×6, first 2 shown]
	v_cmp_eq_u32_e64 s[18:19], 0, v0
	s_cbranch_vccnz .LBB82_30
; %bb.3:
	s_brev_b32 s21, 1
	v_pk_mul_f32 v[6:7], v[4:5], s[20:21]
	s_movk_i32 s3, 0x80
	v_cmp_neq_f32_e64 s[20:21], 0, v2
	v_subrev_u32_e32 v1, s38, v0
	v_pk_mov_b32 v[6:7], v[6:7], v[6:7] op_sel:[1,0]
	v_lshlrev_b32_e32 v18, 3, v0
	v_cmp_gt_u32_e32 vcc, s3, v0
	s_or_b64 s[44:45], s[20:21], s[4:5]
	v_xor_b32_e32 v8, 0x80000000, v3
	v_mov_b32_e32 v9, v2
	s_mov_b64 s[46:47], 0x400
	v_mov_b32_e32 v19, 0
	s_mov_b32 s48, s34
	s_branch .LBB82_6
.LBB82_4:                               ;   in Loop: Header=BB82_6 Depth=1
	s_or_b64 exec, exec, s[50:51]
	s_lshl_b64 s[50:51], s[48:49], 3
	s_add_u32 s50, s22, s50
	s_addc_u32 s51, s23, s51
	s_waitcnt lgkmcnt(0)
	global_store_dwordx2 v19, v[10:11], s[50:51]
.LBB82_5:                               ;   in Loop: Header=BB82_6 Depth=1
	s_or_b64 exec, exec, s[20:21]
	s_add_i32 s48, s48, 1
	s_cmp_ge_i32 s48, s35
	s_cbranch_scc1 .LBB82_29
.LBB82_6:                               ; =>This Loop Header: Depth=1
                                        ;     Child Loop BB82_8 Depth 2
	s_ashr_i32 s49, s48, 31
	s_lshl_b64 s[20:21], s[48:49], 2
	s_add_u32 s20, s24, s20
	s_addc_u32 s21, s25, s21
	s_load_dwordx2 s[50:51], s[20:21], 0x0
	v_mov_b32_e32 v11, 0
	v_mov_b32_e32 v10, 0
	s_waitcnt lgkmcnt(0)
	s_sub_i32 s3, s51, s38
	v_add_u32_e32 v12, s50, v1
	v_cmp_gt_i32_e64 s[20:21], s3, v12
	s_and_saveexec_b64 s[50:51], s[20:21]
	s_cbranch_execz .LBB82_10
; %bb.7:                                ;   in Loop: Header=BB82_6 Depth=1
	v_ashrrev_i32_e32 v13, 31, v12
	v_lshlrev_b64 v[10:11], 2, v[12:13]
	v_lshl_add_u64 v[14:15], s[28:29], 0, v[10:11]
	v_lshl_add_u64 v[16:17], s[26:27], 0, v[10:11]
	v_mov_b32_e32 v10, 0
	s_mov_b64 s[52:53], 0
	v_mov_b32_e32 v11, v10
.LBB82_8:                               ;   Parent Loop BB82_6 Depth=1
                                        ; =>  This Inner Loop Header: Depth=2
	global_load_dword v13, v[16:17], off
	global_load_dword v20, v[14:15], off
	v_add_u32_e32 v12, 0x100, v12
	v_cmp_le_i32_e64 s[20:21], s3, v12
	v_lshl_add_u64 v[14:15], v[14:15], 0, s[46:47]
	v_lshl_add_u64 v[16:17], v[16:17], 0, s[46:47]
	s_or_b64 s[52:53], s[20:21], s[52:53]
	s_waitcnt vmcnt(1)
	v_subrev_u32_e32 v22, s38, v13
	v_ashrrev_i32_e32 v23, 31, v22
	v_lshl_add_u64 v[22:23], v[22:23], 3, s[30:31]
	global_load_dwordx2 v[22:23], v[22:23], off
	s_waitcnt vmcnt(1)
	v_pk_fma_f32 v[20:21], v[4:5], v[20:21], v[6:7] op_sel_hi:[1,0,1]
	s_nop 0
	v_xor_b32_e32 v24, 0x80000000, v21
	v_mov_b32_e32 v25, v20
	s_waitcnt vmcnt(0)
	v_pk_fma_f32 v[10:11], v[20:21], v[22:23], v[10:11] op_sel_hi:[1,0,1]
	s_nop 0
	v_pk_fma_f32 v[10:11], v[24:25], v[22:23], v[10:11] op_sel:[0,1,0]
	s_andn2_b64 exec, exec, s[52:53]
	s_cbranch_execnz .LBB82_8
; %bb.9:                                ;   in Loop: Header=BB82_6 Depth=1
	s_or_b64 exec, exec, s[52:53]
.LBB82_10:                              ;   in Loop: Header=BB82_6 Depth=1
	s_or_b64 exec, exec, s[50:51]
	ds_write_b64 v18, v[10:11]
	s_waitcnt lgkmcnt(0)
	s_barrier
	s_and_saveexec_b64 s[20:21], vcc
	s_cbranch_execz .LBB82_12
; %bb.11:                               ;   in Loop: Header=BB82_6 Depth=1
	ds_read2st64_b64 v[10:13], v18 offset1:2
	s_waitcnt lgkmcnt(0)
	v_pk_add_f32 v[10:11], v[12:13], v[10:11]
	ds_write_b64 v18, v[10:11]
.LBB82_12:                              ;   in Loop: Header=BB82_6 Depth=1
	s_or_b64 exec, exec, s[20:21]
	s_waitcnt lgkmcnt(0)
	s_barrier
	s_and_saveexec_b64 s[20:21], s[6:7]
	s_cbranch_execz .LBB82_14
; %bb.13:                               ;   in Loop: Header=BB82_6 Depth=1
	ds_read2st64_b64 v[10:13], v18 offset1:1
	s_waitcnt lgkmcnt(0)
	v_pk_add_f32 v[10:11], v[12:13], v[10:11]
	ds_write_b64 v18, v[10:11]
.LBB82_14:                              ;   in Loop: Header=BB82_6 Depth=1
	s_or_b64 exec, exec, s[20:21]
	s_waitcnt lgkmcnt(0)
	s_barrier
	s_and_saveexec_b64 s[20:21], s[8:9]
	s_cbranch_execz .LBB82_16
; %bb.15:                               ;   in Loop: Header=BB82_6 Depth=1
	ds_read2_b64 v[10:13], v18 offset1:32
	s_waitcnt lgkmcnt(0)
	v_pk_add_f32 v[10:11], v[12:13], v[10:11]
	ds_write_b64 v18, v[10:11]
.LBB82_16:                              ;   in Loop: Header=BB82_6 Depth=1
	s_or_b64 exec, exec, s[20:21]
	s_waitcnt lgkmcnt(0)
	s_barrier
	s_and_saveexec_b64 s[20:21], s[10:11]
	s_cbranch_execz .LBB82_18
; %bb.17:                               ;   in Loop: Header=BB82_6 Depth=1
	ds_read2_b64 v[10:13], v18 offset1:16
	s_waitcnt lgkmcnt(0)
	v_pk_add_f32 v[10:11], v[12:13], v[10:11]
	ds_write_b64 v18, v[10:11]
.LBB82_18:                              ;   in Loop: Header=BB82_6 Depth=1
	;; [unrolled: 11-line block ×6, first 2 shown]
	s_or_b64 exec, exec, s[20:21]
	s_waitcnt lgkmcnt(0)
	s_barrier
	s_and_saveexec_b64 s[20:21], s[18:19]
	s_cbranch_execz .LBB82_5
; %bb.27:                               ;   in Loop: Header=BB82_6 Depth=1
	ds_read_b64 v[10:11], v19
	s_and_saveexec_b64 s[50:51], s[44:45]
	s_cbranch_execz .LBB82_4
; %bb.28:                               ;   in Loop: Header=BB82_6 Depth=1
	s_lshl_b64 s[52:53], s[48:49], 3
	s_add_u32 s52, s22, s52
	s_addc_u32 s53, s23, s53
	global_load_dwordx2 v[12:13], v19, s[52:53]
	s_waitcnt vmcnt(0) lgkmcnt(0)
	v_pk_fma_f32 v[10:11], v[2:3], v[12:13], v[10:11] op_sel_hi:[1,0,1]
	s_nop 0
	v_pk_fma_f32 v[10:11], v[8:9], v[12:13], v[10:11] op_sel:[0,1,0]
	s_branch .LBB82_4
.LBB82_29:
	s_mov_b64 s[44:45], 0
.LBB82_30:
	s_and_b64 vcc, exec, s[44:45]
	s_cbranch_vccz .LBB82_67
; %bb.31:
	s_load_dwordx2 s[6:7], s[0:1], 0x10
	s_sub_i32 s8, s2, s33
	v_mov_b32_e32 v6, 0
	v_or_b32_e32 v7, s33, v0
	v_cmp_eq_u32_e32 vcc, 0, v7
	s_waitcnt lgkmcnt(0)
	s_add_u32 s2, s6, s42
	s_addc_u32 s3, s7, s43
	global_load_dword v1, v6, s[2:3]
	v_mov_b32_e32 v7, v6
	s_and_saveexec_b64 s[10:11], vcc
	s_cbranch_execz .LBB82_35
; %bb.32:
	s_lshl_b64 s[14:15], s[40:41], 3
	s_add_u32 s14, s22, s14
	s_addc_u32 s15, s23, s15
	global_load_dwordx2 v[6:7], v6, s[14:15]
	s_mov_b64 s[12:13], exec
	v_mbcnt_lo_u32_b32 v12, s12, 0
	v_add_f32_e32 v11, -1.0, v2
	v_xor_b32_e32 v10, 0x80000000, v3
	v_mbcnt_hi_u32_b32 v12, s13, v12
	v_mov_b32_e32 v9, v3
	v_mov_b32_e32 v8, v11
	v_cmp_eq_u32_e32 vcc, 0, v12
	s_waitcnt vmcnt(0) expcnt(0) lgkmcnt(0)
	v_pk_mul_f32 v[10:11], v[6:7], v[10:11] op_sel:[1,0]
	s_and_saveexec_b64 s[14:15], vcc
	s_cbranch_execz .LBB82_34
; %bb.33:
	s_ashr_i32 s9, s8, 31
	s_lshl_b64 s[16:17], s[8:9], 2
	s_add_u32 s16, s6, s16
	s_addc_u32 s17, s7, s17
	s_bcnt1_i32_b64 s9, s[12:13]
	s_and_b32 s9, s9, 1
	v_mov_b32_e32 v12, 0
	v_mov_b32_e32 v13, s9
	global_atomic_xor v12, v13, s[16:17]
.LBB82_34:
	s_or_b64 exec, exec, s[14:15]
	v_pk_fma_f32 v[6:7], v[8:9], v[6:7], v[10:11] op_sel_hi:[1,0,1]
.LBB82_35:
	s_or_b64 exec, exec, s[10:11]
	s_load_dword s10, s[36:37], 0x4
	s_mul_i32 s9, s33, 0xc00
	s_sub_i32 s11, s39, s38
	s_add_i32 s9, s11, s9
	v_add_u32_e32 v8, s9, v0
	s_waitcnt lgkmcnt(0)
	s_sub_i32 s12, s10, s38
	v_cmp_gt_i32_e32 vcc, s12, v8
	s_and_saveexec_b64 s[10:11], vcc
	s_cbranch_execz .LBB82_39
; %bb.36:
	s_addk_i32 s9, 0xc00
	s_min_i32 s9, s9, s12
	s_mov_b32 s12, 0
	s_brev_b32 s13, 1
	v_ashrrev_i32_e32 v9, 31, v8
	v_pk_mul_f32 v[10:11], v[4:5], s[12:13]
	v_lshlrev_b64 v[14:15], 2, v[8:9]
	v_pk_mov_b32 v[10:11], v[10:11], v[10:11] op_sel:[1,0]
	v_lshl_add_u64 v[12:13], s[28:29], 0, v[14:15]
	v_lshl_add_u64 v[14:15], s[26:27], 0, v[14:15]
	s_mov_b64 s[12:13], 0
	s_mov_b64 s[14:15], 0x400
.LBB82_37:                              ; =>This Inner Loop Header: Depth=1
	global_load_dword v9, v[14:15], off
	global_load_dword v16, v[12:13], off
	v_add_u32_e32 v8, 0x100, v8
	v_cmp_le_i32_e32 vcc, s9, v8
	v_lshl_add_u64 v[12:13], v[12:13], 0, s[14:15]
	v_lshl_add_u64 v[14:15], v[14:15], 0, s[14:15]
	s_or_b64 s[12:13], vcc, s[12:13]
	s_waitcnt vmcnt(1)
	v_subrev_u32_e32 v18, s38, v9
	v_ashrrev_i32_e32 v19, 31, v18
	v_lshl_add_u64 v[18:19], v[18:19], 3, s[30:31]
	global_load_dwordx2 v[18:19], v[18:19], off
	s_waitcnt vmcnt(1)
	v_pk_fma_f32 v[16:17], v[4:5], v[16:17], v[10:11] op_sel_hi:[1,0,1]
	s_nop 0
	v_xor_b32_e32 v20, 0x80000000, v17
	v_mov_b32_e32 v21, v16
	s_waitcnt vmcnt(0)
	v_pk_fma_f32 v[6:7], v[16:17], v[18:19], v[6:7] op_sel_hi:[1,0,1]
	s_nop 0
	v_pk_fma_f32 v[6:7], v[20:21], v[18:19], v[6:7] op_sel:[0,1,0]
	s_andn2_b64 exec, exec, s[12:13]
	s_cbranch_execnz .LBB82_37
; %bb.38:
	s_or_b64 exec, exec, s[12:13]
.LBB82_39:
	s_or_b64 exec, exec, s[10:11]
	s_movk_i32 s9, 0x80
	v_lshlrev_b32_e32 v8, 3, v0
	v_cmp_gt_u32_e32 vcc, s9, v0
	ds_write_b64 v8, v[6:7]
	s_waitcnt lgkmcnt(0)
	s_barrier
	s_and_saveexec_b64 s[10:11], vcc
	s_cbranch_execz .LBB82_41
; %bb.40:
	ds_read2st64_b64 v[10:13], v8 offset1:2
	s_waitcnt lgkmcnt(0)
	v_pk_add_f32 v[6:7], v[12:13], v[10:11]
	ds_write_b64 v8, v[6:7]
.LBB82_41:
	s_or_b64 exec, exec, s[10:11]
	v_cmp_gt_u32_e32 vcc, 64, v0
	s_waitcnt lgkmcnt(0)
	s_barrier
	s_and_saveexec_b64 s[10:11], vcc
	s_cbranch_execz .LBB82_43
; %bb.42:
	ds_read2st64_b64 v[10:13], v8 offset1:1
	s_waitcnt lgkmcnt(0)
	v_pk_add_f32 v[6:7], v[12:13], v[10:11]
	ds_write_b64 v8, v[6:7]
.LBB82_43:
	s_or_b64 exec, exec, s[10:11]
	v_cmp_gt_u32_e32 vcc, 32, v0
	s_waitcnt lgkmcnt(0)
	s_barrier
	s_and_saveexec_b64 s[10:11], vcc
	s_cbranch_execz .LBB82_45
; %bb.44:
	ds_read2_b64 v[10:13], v8 offset1:32
	s_waitcnt lgkmcnt(0)
	v_pk_add_f32 v[6:7], v[12:13], v[10:11]
	ds_write_b64 v8, v[6:7]
.LBB82_45:
	s_or_b64 exec, exec, s[10:11]
	v_cmp_gt_u32_e32 vcc, 16, v0
	s_waitcnt lgkmcnt(0)
	s_barrier
	s_and_saveexec_b64 s[10:11], vcc
	s_cbranch_execz .LBB82_47
; %bb.46:
	ds_read2_b64 v[10:13], v8 offset1:16
	s_waitcnt lgkmcnt(0)
	v_pk_add_f32 v[6:7], v[12:13], v[10:11]
	ds_write_b64 v8, v[6:7]
.LBB82_47:
	;; [unrolled: 12-line block ×5, first 2 shown]
	s_or_b64 exec, exec, s[10:11]
	v_cmp_eq_u32_e32 vcc, 0, v0
	s_waitcnt lgkmcnt(0)
	s_barrier
	s_and_saveexec_b64 s[10:11], vcc
	s_cbranch_execz .LBB82_55
; %bb.54:
	v_mov_b32_e32 v10, 0
	ds_read2_b64 v[6:9], v10 offset1:1
	s_waitcnt lgkmcnt(0)
	v_pk_add_f32 v[6:7], v[8:9], v[6:7]
	ds_write_b64 v10, v[6:7]
.LBB82_55:
	s_or_b64 exec, exec, s[10:11]
	s_waitcnt lgkmcnt(0)
	s_barrier
	s_and_saveexec_b64 s[10:11], vcc
	s_cbranch_execz .LBB82_66
; %bb.56:
	s_cmp_eq_u32 s33, 0
	s_cbranch_scc1 .LBB82_62
; %bb.57:
	s_ashr_i32 s9, s8, 31
	s_lshl_b64 s[8:9], s[8:9], 2
	s_add_u32 s6, s6, s8
	s_addc_u32 s7, s7, s9
	v_mov_b32_e32 v6, 0
	s_branch .LBB82_59
.LBB82_58:                              ;   in Loop: Header=BB82_59 Depth=1
	s_or_b64 exec, exec, s[8:9]
	s_waitcnt vmcnt(0)
	v_readfirstlane_b32 s8, v7
	s_nop 1
	v_cmp_eq_u32_e32 vcc, s8, v1
	s_cbranch_vccz .LBB82_61
.LBB82_59:                              ; =>This Inner Loop Header: Depth=1
	v_mbcnt_lo_u32_b32 v7, exec_lo, 0
	v_mbcnt_hi_u32_b32 v7, exec_hi, v7
	v_cmp_eq_u32_e32 vcc, 0, v7
                                        ; implicit-def: $vgpr7
	s_and_saveexec_b64 s[8:9], vcc
	s_cbranch_execz .LBB82_58
; %bb.60:                               ;   in Loop: Header=BB82_59 Depth=1
	global_load_dword v7, v6, s[6:7] sc1
	s_branch .LBB82_58
.LBB82_61:
	v_mov_b32_e32 v1, 0
	global_load_ushort v6, v1, s[2:3]
	s_waitcnt vmcnt(0)
	v_xor_b32_e32 v6, 1, v6
	global_store_short v1, v6, s[2:3]
.LBB82_62:
	s_waitcnt vmcnt(0)
	v_mov_b32_e32 v1, 0
	ds_read_b64 v[6:7], v1
	s_mov_b64 s[6:7], exec
	s_lshl_b64 s[2:3], s[40:41], 3
	v_mbcnt_lo_u32_b32 v8, s6, 0
	s_add_u32 s2, s22, s2
	v_mbcnt_hi_u32_b32 v8, s7, v8
	s_addc_u32 s3, s23, s3
	v_cmp_eq_u32_e32 vcc, 0, v8
	s_and_saveexec_b64 s[8:9], vcc
	s_cbranch_execz .LBB82_64
; %bb.63:
	s_bcnt1_i32_b64 s6, s[6:7]
	v_cvt_f32_ubyte0_e32 v8, s6
	s_waitcnt lgkmcnt(0)
	v_mul_f32_e32 v6, v6, v8
	global_atomic_add_f32 v1, v6, s[2:3]
.LBB82_64:
	s_or_b64 exec, exec, s[8:9]
	s_mov_b64 s[6:7], exec
	v_mbcnt_lo_u32_b32 v1, s6, 0
	v_mbcnt_hi_u32_b32 v1, s7, v1
	v_cmp_eq_u32_e32 vcc, 0, v1
	s_and_b64 s[8:9], exec, vcc
	s_mov_b64 exec, s[8:9]
	s_cbranch_execz .LBB82_66
; %bb.65:
	s_bcnt1_i32_b64 s6, s[6:7]
	v_cvt_f32_ubyte0_e32 v1, s6
	s_waitcnt lgkmcnt(0)
	v_mul_f32_e32 v1, v7, v1
	v_mov_b32_e32 v6, 0
	global_atomic_add_f32 v6, v1, s[2:3] offset:4
.LBB82_66:
	s_or_b64 exec, exec, s[10:11]
.LBB82_67:
	s_mov_b64 s[6:7], 0
.LBB82_68:
	s_andn2_b64 vcc, exec, s[6:7]
	s_cbranch_vccnz .LBB82_119
; %bb.69:
	s_load_dword s0, s[0:1], 0x4
	s_waitcnt vmcnt(0)
	v_subrev_u32_e32 v1, s38, v0
	s_waitcnt lgkmcnt(0)
	v_add_u32_e32 v6, s39, v1
	v_add_u32_e32 v1, 0x300, v6
	v_cmp_le_i32_e32 vcc, s0, v1
	s_and_saveexec_b64 s[0:1], vcc
	s_xor_b64 s[0:1], exec, s[0:1]
	s_cbranch_execz .LBB82_81
; %bb.70:
	s_ashr_i32 s3, s35, 31
	s_mov_b32 s2, s35
	s_lshl_b64 s[2:3], s[2:3], 2
	s_add_u32 s2, s24, s2
	s_addc_u32 s3, s25, s3
	s_load_dword s2, s[2:3], 0x0
	s_waitcnt lgkmcnt(0)
	s_sub_i32 s14, s2, s38
	v_cmp_gt_i32_e32 vcc, s14, v6
	s_and_saveexec_b64 s[2:3], vcc
	s_cbranch_execz .LBB82_80
; %bb.71:
	v_add_u32_e32 v1, s39, v0
	v_subrev_u32_e32 v1, s38, v1
	v_add_u32_e32 v1, 0x100, v1
	s_mov_b32 s6, 0
	v_max_i32_e32 v1, s14, v1
	v_not_b32_e32 v7, v0
	s_brev_b32 s7, 1
	v_add3_u32 v1, s38, v1, v7
	v_pk_mul_f32 v[8:9], v[4:5], s[6:7]
	v_subrev_u32_e32 v7, s39, v1
	s_movk_i32 s6, 0xd00
	s_movk_i32 s8, 0xcff
	v_cmp_gt_u32_e64 s[6:7], s6, v7
	v_cmp_lt_u32_e32 vcc, s8, v7
	v_mov_b32_e32 v1, 0
	s_and_saveexec_b64 s[8:9], vcc
	s_cbranch_execz .LBB82_77
; %bb.72:
	v_and_b32_e32 v1, 0xffffff00, v7
	v_add_u32_e32 v1, v6, v1
	v_cmp_ge_i32_e32 vcc, v1, v6
	s_mov_b64 s[12:13], -1
	v_mov_b32_e32 v1, 0
	s_and_saveexec_b64 s[10:11], vcc
	s_cbranch_execz .LBB82_76
; %bb.73:
	v_lshrrev_b32_e32 v1, 8, v7
	v_add_u32_e32 v7, 1, v1
	v_and_b32_e32 v18, 0x1fffffe, v7
	v_lshlrev_b32_e32 v19, 3, v0
	v_mov_b32_e32 v10, v9
	v_mov_b32_e32 v11, v9
	;; [unrolled: 1-line block ×9, first 2 shown]
	s_mov_b32 s15, s38
	s_movk_i32 s16, 0x100
	s_mov_b32 s17, 0
	s_mov_b64 s[12:13], 0
	v_mov_b32_e32 v20, v18
.LBB82_74:                              ; =>This Inner Loop Header: Depth=1
	v_add_u32_e32 v22, s17, v6
	v_add_u32_e32 v24, s16, v1
	v_ashrrev_i32_e32 v23, 31, v22
	v_ashrrev_i32_e32 v25, 31, v24
	v_lshlrev_b64 v[22:23], 2, v[22:23]
	v_lshlrev_b64 v[24:25], 2, v[24:25]
	v_lshl_add_u64 v[26:27], s[26:27], 0, v[22:23]
	v_lshl_add_u64 v[28:29], s[26:27], 0, v[24:25]
	global_load_dword v21, v[26:27], off
	global_load_dword v30, v[28:29], off
	v_lshl_add_u64 v[22:23], s[28:29], 0, v[22:23]
	v_lshl_add_u64 v[24:25], s[28:29], 0, v[24:25]
	global_load_dword v26, v[22:23], off
	global_load_dword v27, v[24:25], off
	v_add_u32_e32 v20, -2, v20
	s_addk_i32 s17, 0x200
	s_addk_i32 s16, 0x200
	v_cmp_eq_u32_e32 vcc, 0, v20
	s_or_b64 s[12:13], vcc, s[12:13]
	s_waitcnt vmcnt(3)
	v_subrev_u32_e32 v22, s38, v21
	s_waitcnt vmcnt(2)
	v_subrev_u32_e32 v24, s15, v30
	v_ashrrev_i32_e32 v23, 31, v22
	v_ashrrev_i32_e32 v25, 31, v24
	v_lshl_add_u64 v[22:23], v[22:23], 3, s[30:31]
	v_lshl_add_u64 v[24:25], v[24:25], 3, s[30:31]
	global_load_dwordx2 v[30:31], v[22:23], off
	global_load_dwordx2 v[28:29], v[24:25], off
	s_waitcnt vmcnt(2)
	v_pk_fma_f32 v[22:23], v[14:15], v[26:27], v[10:11]
	v_pk_fma_f32 v[24:25], v[16:17], v[26:27], v[12:13]
	s_waitcnt vmcnt(1)
	v_mov_b32_e32 v26, v30
	s_waitcnt vmcnt(0)
	v_mov_b32_e32 v27, v28
	v_mov_b32_e32 v28, v31
	v_pk_mul_f32 v[30:31], v[28:29], v[24:25] neg_lo:[0,1] neg_hi:[0,1]
	v_pk_mul_f32 v[28:29], v[22:23], v[28:29]
	v_pk_fma_f32 v[22:23], v[22:23], v[26:27], v[30:31]
	v_pk_fma_f32 v[24:25], v[24:25], v[26:27], v[28:29]
	v_mov_b32_e32 v26, v22
	v_mov_b32_e32 v27, v24
	;; [unrolled: 1-line block ×3, first 2 shown]
	ds_write2st64_b64 v19, v[26:27], v[24:25] offset1:4
	v_add_u32_e32 v19, 0x1000, v19
	s_andn2_b64 exec, exec, s[12:13]
	s_cbranch_execnz .LBB82_74
; %bb.75:
	s_or_b64 exec, exec, s[12:13]
	v_cmp_ne_u32_e32 vcc, v7, v18
	v_lshlrev_b32_e32 v1, 8, v18
	s_orn2_b64 s[12:13], vcc, exec
.LBB82_76:
	s_or_b64 exec, exec, s[10:11]
	s_andn2_b64 s[6:7], s[6:7], exec
	s_and_b64 s[10:11], s[12:13], exec
	s_or_b64 s[6:7], s[6:7], s[10:11]
.LBB82_77:
	s_or_b64 exec, exec, s[8:9]
	s_and_b64 exec, exec, s[6:7]
	s_cbranch_execz .LBB82_80
; %bb.78:
	v_pk_mov_b32 v[6:7], v[8:9], v[8:9] op_sel:[1,0]
	v_add3_u32 v8, v0, v1, s39
	v_lshlrev_b32_e32 v1, 3, v1
	v_subrev_u32_e32 v8, s38, v8
	v_lshl_add_u32 v1, v0, 3, v1
	s_mov_b64 s[6:7], 0
.LBB82_79:                              ; =>This Inner Loop Header: Depth=1
	v_ashrrev_i32_e32 v9, 31, v8
	v_lshlrev_b64 v[10:11], 2, v[8:9]
	v_lshl_add_u64 v[12:13], s[26:27], 0, v[10:11]
	global_load_dword v9, v[12:13], off
	v_lshl_add_u64 v[10:11], s[28:29], 0, v[10:11]
	global_load_dword v10, v[10:11], off
	v_add_u32_e32 v8, 0x100, v8
	v_cmp_le_i32_e32 vcc, s14, v8
	s_or_b64 s[6:7], vcc, s[6:7]
	s_waitcnt vmcnt(1)
	v_subrev_u32_e32 v12, s38, v9
	v_ashrrev_i32_e32 v13, 31, v12
	v_lshl_add_u64 v[12:13], v[12:13], 3, s[30:31]
	global_load_dwordx2 v[12:13], v[12:13], off
	s_waitcnt vmcnt(1)
	v_pk_fma_f32 v[10:11], v[4:5], v[10:11], v[6:7] op_sel_hi:[1,0,1]
	s_nop 0
	v_xor_b32_e32 v14, 0x80000000, v11
	v_mov_b32_e32 v15, v10
	s_waitcnt vmcnt(0)
	v_pk_mul_f32 v[14:15], v[12:13], v[14:15] op_sel:[1,0]
	s_nop 0
	v_pk_fma_f32 v[10:11], v[10:11], v[12:13], v[14:15] op_sel_hi:[1,0,1]
	ds_write_b64 v1, v[10:11]
	v_add_u32_e32 v1, 0x800, v1
	s_andn2_b64 exec, exec, s[6:7]
	s_cbranch_execnz .LBB82_79
.LBB82_80:
	s_or_b64 exec, exec, s[2:3]
                                        ; implicit-def: $vgpr4_vgpr5
                                        ; implicit-def: $vgpr6
.LBB82_81:
	s_or_saveexec_b64 s[0:1], s[0:1]
	v_lshlrev_b32_e32 v12, 3, v0
	s_xor_b64 exec, exec, s[0:1]
	s_cbranch_execz .LBB82_83
; %bb.82:
	v_ashrrev_i32_e32 v7, 31, v6
	v_lshlrev_b64 v[6:7], 2, v[6:7]
	v_lshl_add_u64 v[8:9], s[26:27], 0, v[6:7]
	global_load_dword v1, v[8:9], off
	global_load_dword v11, v[8:9], off offset:1024
	global_load_dword v13, v[8:9], off offset:2048
	;; [unrolled: 1-line block ×3, first 2 shown]
	v_lshl_add_u64 v[6:7], s[28:29], 0, v[6:7]
	global_load_dword v8, v[6:7], off
	global_load_dword v10, v[6:7], off offset:1024
	global_load_dword v14, v[6:7], off offset:2048
	;; [unrolled: 1-line block ×3, first 2 shown]
	s_mov_b32 s2, 0
	s_brev_b32 s3, 1
	s_waitcnt vmcnt(7)
	v_subrev_u32_e32 v6, s38, v1
	s_waitcnt vmcnt(6)
	v_subrev_u32_e32 v18, s38, v11
	;; [unrolled: 2-line block ×4, first 2 shown]
	v_ashrrev_i32_e32 v7, 31, v6
	v_ashrrev_i32_e32 v19, 31, v18
	;; [unrolled: 1-line block ×4, first 2 shown]
	v_lshl_add_u64 v[6:7], v[6:7], 3, s[30:31]
	v_lshl_add_u64 v[18:19], v[18:19], 3, s[30:31]
	;; [unrolled: 1-line block ×4, first 2 shown]
	global_load_dwordx2 v[24:25], v[6:7], off
	global_load_dwordx2 v[26:27], v[18:19], off
	global_load_dwordx2 v[28:29], v[20:21], off
	global_load_dwordx2 v[30:31], v[22:23], off
	v_pk_mul_f32 v[6:7], v[4:5], s[2:3]
	s_waitcnt vmcnt(7)
	v_pk_fma_f32 v[8:9], v[4:5], v[8:9], v[6:7] op_sel:[0,0,1] op_sel_hi:[1,0,0]
	s_waitcnt vmcnt(6)
	v_pk_fma_f32 v[10:11], v[4:5], v[10:11], v[6:7] op_sel:[0,0,1] op_sel_hi:[1,0,0]
	;; [unrolled: 2-line block ×4, first 2 shown]
	v_xor_b32_e32 v6, 0x80000000, v9
	v_mov_b32_e32 v7, v8
	v_xor_b32_e32 v16, 0x80000000, v11
	v_mov_b32_e32 v17, v10
	v_xor_b32_e32 v18, 0x80000000, v15
	v_mov_b32_e32 v19, v14
	v_xor_b32_e32 v20, 0x80000000, v5
	v_mov_b32_e32 v21, v4
	s_waitcnt vmcnt(3)
	v_pk_mul_f32 v[6:7], v[24:25], v[6:7] op_sel:[1,0]
	s_waitcnt vmcnt(2)
	v_pk_mul_f32 v[16:17], v[26:27], v[16:17] op_sel:[1,0]
	;; [unrolled: 2-line block ×4, first 2 shown]
	v_pk_fma_f32 v[6:7], v[8:9], v[24:25], v[6:7] op_sel_hi:[1,0,1]
	v_pk_fma_f32 v[8:9], v[10:11], v[26:27], v[16:17] op_sel_hi:[1,0,1]
	;; [unrolled: 1-line block ×4, first 2 shown]
	ds_write2st64_b64 v12, v[6:7], v[8:9] offset1:4
	ds_write2st64_b64 v12, v[10:11], v[4:5] offset0:8 offset1:12
.LBB82_83:
	s_or_b64 exec, exec, s[0:1]
	s_cmp_lt_i32 s33, 2
	s_mov_b64 s[0:1], -1
	s_waitcnt lgkmcnt(0)
	s_barrier
	s_cbranch_scc0 .LBB82_94
; %bb.84:
	v_add_u32_e32 v4, s34, v0
	v_cmp_gt_i32_e32 vcc, s35, v4
	s_and_saveexec_b64 s[0:1], vcc
	s_cbranch_execz .LBB82_93
; %bb.85:
	v_cmp_neq_f32_e32 vcc, 0, v2
	s_lshl_b32 s6, s39, 3
	s_or_b64 s[2:3], vcc, s[4:5]
	v_xor_b32_e32 v6, 0x80000000, v3
	v_mov_b32_e32 v7, v2
	s_sub_i32 s12, 0, s6
	s_mov_b64 s[6:7], 0
	v_mov_b32_e32 v14, 0
	s_branch .LBB82_87
.LBB82_86:                              ;   in Loop: Header=BB82_87 Depth=1
	s_or_b64 exec, exec, s[8:9]
	v_add_u32_e32 v4, 0x100, v4
	v_cmp_le_i32_e32 vcc, s35, v4
	s_or_b64 s[6:7], vcc, s[6:7]
	global_store_dwordx2 v[10:11], v[8:9], off
	s_andn2_b64 exec, exec, s[6:7]
	s_cbranch_execz .LBB82_93
.LBB82_87:                              ; =>This Loop Header: Depth=1
                                        ;     Child Loop BB82_89 Depth 2
	v_ashrrev_i32_e32 v5, 31, v4
	v_lshl_add_u64 v[8:9], v[4:5], 2, s[24:25]
	global_load_dwordx2 v[10:11], v[8:9], off
	v_mov_b32_e32 v15, v14
	v_mov_b64_e32 v[8:9], v[14:15]
	s_waitcnt vmcnt(0)
	v_cmp_lt_i32_e32 vcc, v10, v11
	s_and_saveexec_b64 s[8:9], vcc
	s_cbranch_execz .LBB82_91
; %bb.88:                               ;   in Loop: Header=BB82_87 Depth=1
	v_mov_b32_e32 v8, 0
	v_subrev_u32_e32 v1, s39, v11
	v_subrev_u32_e32 v11, s39, v10
	v_lshl_add_u32 v10, v10, 3, s12
	s_mov_b64 s[10:11], 0
	v_mov_b32_e32 v9, v8
.LBB82_89:                              ;   Parent Loop BB82_87 Depth=1
                                        ; =>  This Inner Loop Header: Depth=2
	ds_read_b64 v[16:17], v10
	v_add_u32_e32 v11, 1, v11
	v_cmp_ge_i32_e32 vcc, v11, v1
	v_add_u32_e32 v10, 8, v10
	s_or_b64 s[10:11], vcc, s[10:11]
	s_waitcnt lgkmcnt(0)
	v_pk_add_f32 v[8:9], v[8:9], v[16:17]
	s_andn2_b64 exec, exec, s[10:11]
	s_cbranch_execnz .LBB82_89
; %bb.90:                               ;   in Loop: Header=BB82_87 Depth=1
	s_or_b64 exec, exec, s[10:11]
.LBB82_91:                              ;   in Loop: Header=BB82_87 Depth=1
	s_or_b64 exec, exec, s[8:9]
	v_lshl_add_u64 v[10:11], v[4:5], 3, s[22:23]
	s_and_saveexec_b64 s[8:9], s[2:3]
	s_cbranch_execz .LBB82_86
; %bb.92:                               ;   in Loop: Header=BB82_87 Depth=1
	global_load_dwordx2 v[16:17], v[10:11], off
	s_waitcnt vmcnt(0)
	v_pk_fma_f32 v[8:9], v[2:3], v[16:17], v[8:9] op_sel_hi:[1,0,1]
	s_nop 0
	v_pk_fma_f32 v[8:9], v[6:7], v[16:17], v[8:9] op_sel:[0,1,0]
	s_branch .LBB82_86
.LBB82_93:
	s_or_b64 exec, exec, s[0:1]
	s_mov_b64 s[0:1], 0
.LBB82_94:
	s_andn2_b64 vcc, exec, s[0:1]
	s_cbranch_vccnz .LBB82_119
; %bb.95:
	s_flbit_i32_b32 s0, s33
	s_xor_b32 s0, s0, 31
	v_lshrrev_b32_e32 v6, s0, v0
	s_add_i32 s0, s33, -1
	v_add_u32_e32 v4, s34, v6
	v_and_b32_e32 v5, s0, v0
	v_mov_b32_e32 v0, 0
	v_cmp_le_i32_e32 vcc, s35, v4
	v_cmp_gt_i32_e64 s[0:1], s35, v4
	v_mov_b32_e32 v1, v0
	s_and_saveexec_b64 s[2:3], s[0:1]
	s_cbranch_execz .LBB82_101
; %bb.96:
	v_lshlrev_b32_e32 v1, 2, v6
	global_load_dwordx2 v[8:9], v1, s[36:37]
	v_subrev_u32_e32 v1, s39, v5
	s_waitcnt vmcnt(0)
	v_subrev_u32_e32 v6, s39, v9
	v_add_u32_e32 v7, v8, v1
	v_cmp_lt_i32_e64 s[0:1], v7, v6
	v_mov_b32_e32 v1, v0
	s_and_saveexec_b64 s[6:7], s[0:1]
	s_cbranch_execz .LBB82_100
; %bb.97:
	v_mov_b32_e32 v0, 0
	v_lshlrev_b32_e32 v8, 3, v7
	s_lshl_b32 s10, s33, 3
	s_mov_b64 s[8:9], 0
	v_mov_b32_e32 v1, v0
.LBB82_98:                              ; =>This Inner Loop Header: Depth=1
	ds_read_b64 v[10:11], v8
	v_add_u32_e32 v7, s33, v7
	v_cmp_ge_i32_e64 s[0:1], v7, v6
	v_add_u32_e32 v8, s10, v8
	s_or_b64 s[8:9], s[0:1], s[8:9]
	s_waitcnt lgkmcnt(0)
	v_pk_add_f32 v[0:1], v[0:1], v[10:11]
	s_andn2_b64 exec, exec, s[8:9]
	s_cbranch_execnz .LBB82_98
; %bb.99:
	s_or_b64 exec, exec, s[8:9]
.LBB82_100:
	s_or_b64 exec, exec, s[6:7]
.LBB82_101:
	s_or_b64 exec, exec, s[2:3]
	s_cmpk_lt_u32 s33, 0x81
	s_barrier
	ds_write_b64 v12, v[0:1]
	s_waitcnt lgkmcnt(0)
	s_barrier
	s_cbranch_scc1 .LBB82_103
; %bb.102:
	ds_read_b64 v[6:7], v12 offset:1024
	s_waitcnt lgkmcnt(0)
	s_barrier
	v_pk_add_f32 v[0:1], v[0:1], v[6:7]
	ds_write_b64 v12, v[0:1]
.LBB82_103:
	s_cmpk_lt_u32 s33, 0x41
	s_waitcnt lgkmcnt(0)
	s_barrier
	s_cbranch_scc1 .LBB82_105
; %bb.104:
	ds_read_b64 v[6:7], v12 offset:512
	s_waitcnt lgkmcnt(0)
	s_barrier
	v_pk_add_f32 v[0:1], v[0:1], v[6:7]
	ds_write_b64 v12, v[0:1]
.LBB82_105:
	s_cmp_lt_u32 s33, 33
	s_waitcnt lgkmcnt(0)
	s_barrier
	s_cbranch_scc1 .LBB82_107
; %bb.106:
	ds_read_b64 v[6:7], v12 offset:256
	s_waitcnt lgkmcnt(0)
	s_barrier
	v_pk_add_f32 v[0:1], v[0:1], v[6:7]
	ds_write_b64 v12, v[0:1]
.LBB82_107:
	s_cmp_lt_u32 s33, 17
	s_waitcnt lgkmcnt(0)
	s_barrier
	s_cbranch_scc1 .LBB82_109
; %bb.108:
	ds_read_b64 v[6:7], v12 offset:128
	s_waitcnt lgkmcnt(0)
	s_barrier
	v_pk_add_f32 v[0:1], v[0:1], v[6:7]
	ds_write_b64 v12, v[0:1]
.LBB82_109:
	s_cmp_lt_u32 s33, 9
	s_waitcnt lgkmcnt(0)
	s_barrier
	s_cbranch_scc1 .LBB82_111
; %bb.110:
	ds_read_b64 v[6:7], v12 offset:64
	s_waitcnt lgkmcnt(0)
	s_barrier
	v_pk_add_f32 v[0:1], v[0:1], v[6:7]
	ds_write_b64 v12, v[0:1]
.LBB82_111:
	s_cmp_lt_u32 s33, 5
	s_waitcnt lgkmcnt(0)
	s_barrier
	s_cbranch_scc1 .LBB82_113
; %bb.112:
	ds_read_b64 v[6:7], v12 offset:32
	s_waitcnt lgkmcnt(0)
	s_barrier
	v_pk_add_f32 v[0:1], v[0:1], v[6:7]
	ds_write_b64 v12, v[0:1]
.LBB82_113:
	s_cmp_eq_u32 s33, 2
	s_waitcnt lgkmcnt(0)
	s_barrier
	s_cbranch_scc1 .LBB82_115
; %bb.114:
	ds_read_b64 v[6:7], v12 offset:16
	s_waitcnt lgkmcnt(0)
	s_barrier
	v_pk_add_f32 v[0:1], v[0:1], v[6:7]
	ds_write_b64 v12, v[0:1]
.LBB82_115:
	s_waitcnt lgkmcnt(0)
	s_barrier
	ds_read_b64 v[6:7], v12 offset:8
	v_cmp_eq_u32_e64 s[0:1], 0, v5
	s_xor_b64 s[2:3], vcc, -1
	s_and_b64 s[0:1], s[0:1], s[2:3]
	s_waitcnt lgkmcnt(0)
	v_pk_add_f32 v[0:1], v[0:1], v[6:7]
	s_barrier
	ds_write_b64 v12, v[0:1]
	s_and_b64 exec, exec, s[0:1]
	s_cbranch_execz .LBB82_119
; %bb.116:
	v_ashrrev_i32_e32 v5, 31, v4
	v_cmp_neq_f32_e32 vcc, 0, v2
	s_or_b64 s[2:3], vcc, s[4:5]
	v_lshl_add_u64 v[4:5], v[4:5], 3, s[22:23]
	s_and_saveexec_b64 s[0:1], s[2:3]
	s_cbranch_execz .LBB82_118
; %bb.117:
	global_load_dwordx2 v[6:7], v[4:5], off
	v_xor_b32_e32 v8, 0x80000000, v3
	v_mov_b32_e32 v9, v2
	s_waitcnt vmcnt(0)
	v_pk_fma_f32 v[0:1], v[2:3], v[6:7], v[0:1] op_sel_hi:[1,0,1]
	s_nop 0
	v_pk_fma_f32 v[0:1], v[8:9], v[6:7], v[0:1] op_sel:[0,1,0]
.LBB82_118:
	s_or_b64 exec, exec, s[0:1]
	global_store_dwordx2 v[4:5], v[0:1], off
.LBB82_119:
	s_endpgm
	.section	.rodata,"a",@progbits
	.p2align	6, 0x0
	.amdhsa_kernel _ZN9rocsparseL22csrmvn_adaptive_kernelIiif21rocsparse_complex_numIfES2_S2_EEvbT_PKS3_PjPKT0_NS_24const_host_device_scalarIT4_EES5_S9_PKT1_PKT2_SC_PT3_21rocsparse_index_base_b
		.amdhsa_group_segment_fixed_size 8192
		.amdhsa_private_segment_fixed_size 0
		.amdhsa_kernarg_size 96
		.amdhsa_user_sgpr_count 2
		.amdhsa_user_sgpr_dispatch_ptr 0
		.amdhsa_user_sgpr_queue_ptr 0
		.amdhsa_user_sgpr_kernarg_segment_ptr 1
		.amdhsa_user_sgpr_dispatch_id 0
		.amdhsa_user_sgpr_kernarg_preload_length 0
		.amdhsa_user_sgpr_kernarg_preload_offset 0
		.amdhsa_user_sgpr_private_segment_size 0
		.amdhsa_uses_dynamic_stack 0
		.amdhsa_enable_private_segment 0
		.amdhsa_system_sgpr_workgroup_id_x 1
		.amdhsa_system_sgpr_workgroup_id_y 0
		.amdhsa_system_sgpr_workgroup_id_z 0
		.amdhsa_system_sgpr_workgroup_info 0
		.amdhsa_system_vgpr_workitem_id 0
		.amdhsa_next_free_vgpr 32
		.amdhsa_next_free_sgpr 54
		.amdhsa_accum_offset 32
		.amdhsa_reserve_vcc 1
		.amdhsa_float_round_mode_32 0
		.amdhsa_float_round_mode_16_64 0
		.amdhsa_float_denorm_mode_32 3
		.amdhsa_float_denorm_mode_16_64 3
		.amdhsa_dx10_clamp 1
		.amdhsa_ieee_mode 1
		.amdhsa_fp16_overflow 0
		.amdhsa_tg_split 0
		.amdhsa_exception_fp_ieee_invalid_op 0
		.amdhsa_exception_fp_denorm_src 0
		.amdhsa_exception_fp_ieee_div_zero 0
		.amdhsa_exception_fp_ieee_overflow 0
		.amdhsa_exception_fp_ieee_underflow 0
		.amdhsa_exception_fp_ieee_inexact 0
		.amdhsa_exception_int_div_zero 0
	.end_amdhsa_kernel
	.section	.text._ZN9rocsparseL22csrmvn_adaptive_kernelIiif21rocsparse_complex_numIfES2_S2_EEvbT_PKS3_PjPKT0_NS_24const_host_device_scalarIT4_EES5_S9_PKT1_PKT2_SC_PT3_21rocsparse_index_base_b,"axG",@progbits,_ZN9rocsparseL22csrmvn_adaptive_kernelIiif21rocsparse_complex_numIfES2_S2_EEvbT_PKS3_PjPKT0_NS_24const_host_device_scalarIT4_EES5_S9_PKT1_PKT2_SC_PT3_21rocsparse_index_base_b,comdat
.Lfunc_end82:
	.size	_ZN9rocsparseL22csrmvn_adaptive_kernelIiif21rocsparse_complex_numIfES2_S2_EEvbT_PKS3_PjPKT0_NS_24const_host_device_scalarIT4_EES5_S9_PKT1_PKT2_SC_PT3_21rocsparse_index_base_b, .Lfunc_end82-_ZN9rocsparseL22csrmvn_adaptive_kernelIiif21rocsparse_complex_numIfES2_S2_EEvbT_PKS3_PjPKT0_NS_24const_host_device_scalarIT4_EES5_S9_PKT1_PKT2_SC_PT3_21rocsparse_index_base_b
                                        ; -- End function
	.set _ZN9rocsparseL22csrmvn_adaptive_kernelIiif21rocsparse_complex_numIfES2_S2_EEvbT_PKS3_PjPKT0_NS_24const_host_device_scalarIT4_EES5_S9_PKT1_PKT2_SC_PT3_21rocsparse_index_base_b.num_vgpr, 32
	.set _ZN9rocsparseL22csrmvn_adaptive_kernelIiif21rocsparse_complex_numIfES2_S2_EEvbT_PKS3_PjPKT0_NS_24const_host_device_scalarIT4_EES5_S9_PKT1_PKT2_SC_PT3_21rocsparse_index_base_b.num_agpr, 0
	.set _ZN9rocsparseL22csrmvn_adaptive_kernelIiif21rocsparse_complex_numIfES2_S2_EEvbT_PKS3_PjPKT0_NS_24const_host_device_scalarIT4_EES5_S9_PKT1_PKT2_SC_PT3_21rocsparse_index_base_b.numbered_sgpr, 54
	.set _ZN9rocsparseL22csrmvn_adaptive_kernelIiif21rocsparse_complex_numIfES2_S2_EEvbT_PKS3_PjPKT0_NS_24const_host_device_scalarIT4_EES5_S9_PKT1_PKT2_SC_PT3_21rocsparse_index_base_b.num_named_barrier, 0
	.set _ZN9rocsparseL22csrmvn_adaptive_kernelIiif21rocsparse_complex_numIfES2_S2_EEvbT_PKS3_PjPKT0_NS_24const_host_device_scalarIT4_EES5_S9_PKT1_PKT2_SC_PT3_21rocsparse_index_base_b.private_seg_size, 0
	.set _ZN9rocsparseL22csrmvn_adaptive_kernelIiif21rocsparse_complex_numIfES2_S2_EEvbT_PKS3_PjPKT0_NS_24const_host_device_scalarIT4_EES5_S9_PKT1_PKT2_SC_PT3_21rocsparse_index_base_b.uses_vcc, 1
	.set _ZN9rocsparseL22csrmvn_adaptive_kernelIiif21rocsparse_complex_numIfES2_S2_EEvbT_PKS3_PjPKT0_NS_24const_host_device_scalarIT4_EES5_S9_PKT1_PKT2_SC_PT3_21rocsparse_index_base_b.uses_flat_scratch, 0
	.set _ZN9rocsparseL22csrmvn_adaptive_kernelIiif21rocsparse_complex_numIfES2_S2_EEvbT_PKS3_PjPKT0_NS_24const_host_device_scalarIT4_EES5_S9_PKT1_PKT2_SC_PT3_21rocsparse_index_base_b.has_dyn_sized_stack, 0
	.set _ZN9rocsparseL22csrmvn_adaptive_kernelIiif21rocsparse_complex_numIfES2_S2_EEvbT_PKS3_PjPKT0_NS_24const_host_device_scalarIT4_EES5_S9_PKT1_PKT2_SC_PT3_21rocsparse_index_base_b.has_recursion, 0
	.set _ZN9rocsparseL22csrmvn_adaptive_kernelIiif21rocsparse_complex_numIfES2_S2_EEvbT_PKS3_PjPKT0_NS_24const_host_device_scalarIT4_EES5_S9_PKT1_PKT2_SC_PT3_21rocsparse_index_base_b.has_indirect_call, 0
	.section	.AMDGPU.csdata,"",@progbits
; Kernel info:
; codeLenInByte = 4664
; TotalNumSgprs: 60
; NumVgprs: 32
; NumAgprs: 0
; TotalNumVgprs: 32
; ScratchSize: 0
; MemoryBound: 0
; FloatMode: 240
; IeeeMode: 1
; LDSByteSize: 8192 bytes/workgroup (compile time only)
; SGPRBlocks: 7
; VGPRBlocks: 3
; NumSGPRsForWavesPerEU: 60
; NumVGPRsForWavesPerEU: 32
; AccumOffset: 32
; Occupancy: 8
; WaveLimiterHint : 1
; COMPUTE_PGM_RSRC2:SCRATCH_EN: 0
; COMPUTE_PGM_RSRC2:USER_SGPR: 2
; COMPUTE_PGM_RSRC2:TRAP_HANDLER: 0
; COMPUTE_PGM_RSRC2:TGID_X_EN: 1
; COMPUTE_PGM_RSRC2:TGID_Y_EN: 0
; COMPUTE_PGM_RSRC2:TGID_Z_EN: 0
; COMPUTE_PGM_RSRC2:TIDIG_COMP_CNT: 0
; COMPUTE_PGM_RSRC3_GFX90A:ACCUM_OFFSET: 7
; COMPUTE_PGM_RSRC3_GFX90A:TG_SPLIT: 0
	.section	.text._ZN9rocsparseL27csrmvn_symm_adaptive_kernelIiif21rocsparse_complex_numIfES2_S2_EEvbT_S3_PKS3_NS_24const_host_device_scalarIT4_EES5_PKT0_PKT1_PKT2_S8_PT3_21rocsparse_index_base_b,"axG",@progbits,_ZN9rocsparseL27csrmvn_symm_adaptive_kernelIiif21rocsparse_complex_numIfES2_S2_EEvbT_S3_PKS3_NS_24const_host_device_scalarIT4_EES5_PKT0_PKT1_PKT2_S8_PT3_21rocsparse_index_base_b,comdat
	.globl	_ZN9rocsparseL27csrmvn_symm_adaptive_kernelIiif21rocsparse_complex_numIfES2_S2_EEvbT_S3_PKS3_NS_24const_host_device_scalarIT4_EES5_PKT0_PKT1_PKT2_S8_PT3_21rocsparse_index_base_b ; -- Begin function _ZN9rocsparseL27csrmvn_symm_adaptive_kernelIiif21rocsparse_complex_numIfES2_S2_EEvbT_S3_PKS3_NS_24const_host_device_scalarIT4_EES5_PKT0_PKT1_PKT2_S8_PT3_21rocsparse_index_base_b
	.p2align	8
	.type	_ZN9rocsparseL27csrmvn_symm_adaptive_kernelIiif21rocsparse_complex_numIfES2_S2_EEvbT_S3_PKS3_NS_24const_host_device_scalarIT4_EES5_PKT0_PKT1_PKT2_S8_PT3_21rocsparse_index_base_b,@function
_ZN9rocsparseL27csrmvn_symm_adaptive_kernelIiif21rocsparse_complex_numIfES2_S2_EEvbT_S3_PKS3_NS_24const_host_device_scalarIT4_EES5_PKT0_PKT1_PKT2_S8_PT3_21rocsparse_index_base_b: ; @_ZN9rocsparseL27csrmvn_symm_adaptive_kernelIiif21rocsparse_complex_numIfES2_S2_EEvbT_S3_PKS3_NS_24const_host_device_scalarIT4_EES5_PKT0_PKT1_PKT2_S8_PT3_21rocsparse_index_base_b
; %bb.0:
	s_load_dwordx2 s[22:23], s[0:1], 0x50
	s_load_dwordx2 s[4:5], s[0:1], 0x18
	s_add_u32 s3, s0, 24
	s_addc_u32 s10, s1, 0
	s_waitcnt lgkmcnt(0)
	s_bitcmp1_b32 s23, 0
	s_cselect_b64 s[8:9], -1, 0
	s_and_b64 s[6:7], s[8:9], exec
	s_cselect_b32 s5, s10, s5
	s_cselect_b32 s3, s3, s4
	v_mov_b32_e32 v2, s3
	v_mov_b32_e32 v3, s5
	flat_load_dwordx2 v[4:5], v[2:3]
	s_waitcnt vmcnt(0) lgkmcnt(0)
	v_cmp_eq_f32_e32 vcc, 0, v4
	v_cmp_eq_f32_e64 s[4:5], 0, v5
	s_and_b64 s[10:11], vcc, s[4:5]
	s_mov_b64 s[4:5], -1
	s_and_saveexec_b64 s[6:7], s[10:11]
	s_cbranch_execz .LBB83_2
; %bb.1:
	s_load_dwordx2 s[4:5], s[0:1], 0x40
	s_add_u32 s3, s0, 64
	s_addc_u32 s10, s1, 0
	s_and_b64 s[8:9], s[8:9], exec
	s_waitcnt lgkmcnt(0)
	s_cselect_b32 s5, s10, s5
	s_cselect_b32 s3, s3, s4
	v_mov_b32_e32 v2, s3
	v_mov_b32_e32 v3, s5
	flat_load_dwordx2 v[2:3], v[2:3]
	s_waitcnt vmcnt(0) lgkmcnt(0)
	v_cmp_neq_f32_e32 vcc, 1.0, v2
	v_cmp_neq_f32_e64 s[4:5], 0, v3
	s_or_b64 s[4:5], vcc, s[4:5]
	s_orn2_b64 s[4:5], s[4:5], exec
.LBB83_2:
	s_or_b64 exec, exec, s[6:7]
	s_and_saveexec_b64 s[6:7], s[4:5]
	s_cbranch_execz .LBB83_140
; %bb.3:
	s_load_dwordx2 s[4:5], s[0:1], 0x10
	s_ashr_i32 s3, s2, 31
	s_mov_b32 s6, 0
	s_lshl_b64 s[2:3], s[2:3], 2
	s_mov_b32 s7, s6
	s_waitcnt lgkmcnt(0)
	s_add_u32 s2, s4, s2
	v_lshlrev_b32_e32 v16, 3, v0
	v_mov_b64_e32 v[2:3], s[6:7]
	s_addc_u32 s3, s5, s3
	ds_write2st64_b64 v16, v[2:3], v[2:3] offset1:4
	ds_write2st64_b64 v16, v[2:3], v[2:3] offset0:8 offset1:12
	s_waitcnt lgkmcnt(0)
	s_barrier
	s_load_dwordx2 s[20:21], s[2:3], 0x0
	s_load_dwordx8 s[12:19], s[0:1], 0x20
	s_load_dwordx2 s[10:11], s[0:1], 0x48
	s_mov_b64 s[2:3], -1
	v_subrev_u32_e32 v1, s22, v0
	s_waitcnt lgkmcnt(0)
	s_sub_i32 s23, s21, s20
	s_cmp_gt_i32 s23, 2
	s_cbranch_scc1 .LBB83_38
; %bb.4:
	s_cmp_le_i32 s21, s20
	s_cbranch_scc1 .LBB83_28
; %bb.5:
	v_cmp_gt_u32_e32 vcc, 64, v0
	v_cmp_gt_u32_e64 s[2:3], 16, v0
	v_cmp_gt_u32_e64 s[4:5], 4, v0
	v_cmp_eq_u32_e64 s[6:7], 0, v0
	v_mov_b32_e32 v3, 0
	v_bfrev_b32_e32 v6, 1
	s_mov_b64 s[24:25], 0x400
	s_mov_b32 s26, s20
	s_branch .LBB83_7
.LBB83_6:                               ;   in Loop: Header=BB83_7 Depth=1
	s_or_b64 exec, exec, s[28:29]
	s_add_i32 s26, s26, 1
	s_cmp_ge_i32 s26, s21
	s_cbranch_scc1 .LBB83_28
.LBB83_7:                               ; =>This Loop Header: Depth=1
                                        ;     Child Loop BB83_9 Depth 2
                                        ;     Child Loop BB83_21 Depth 2
	;; [unrolled: 1-line block ×3, first 2 shown]
	s_ashr_i32 s27, s26, 31
	s_lshl_b64 s[8:9], s[26:27], 2
	s_add_u32 s8, s12, s8
	s_addc_u32 s9, s13, s9
	s_load_dwordx2 s[28:29], s[8:9], 0x0
	v_mov_b32_e32 v9, v3
	v_mov_b32_e32 v8, v3
	s_waitcnt lgkmcnt(0)
	v_add_u32_e32 v10, s28, v1
	s_sub_i32 s33, s29, s22
	v_cmp_gt_i32_e64 s[8:9], s33, v10
	s_and_saveexec_b64 s[28:29], s[8:9]
	s_cbranch_execz .LBB83_11
; %bb.8:                                ;   in Loop: Header=BB83_7 Depth=1
	v_ashrrev_i32_e32 v11, 31, v10
	v_lshlrev_b64 v[8:9], 2, v[10:11]
	v_lshl_add_u64 v[12:13], s[14:15], 0, v[8:9]
	v_lshl_add_u64 v[14:15], s[16:17], 0, v[8:9]
	v_mov_b32_e32 v8, 0
	s_mov_b64 s[30:31], 0
	v_mov_b32_e32 v9, v8
.LBB83_9:                               ;   Parent Loop BB83_7 Depth=1
                                        ; =>  This Inner Loop Header: Depth=2
	global_load_dword v7, v[12:13], off
	global_load_dword v2, v[14:15], off
	v_add_u32_e32 v10, 0x100, v10
	v_cmp_le_i32_e64 s[8:9], s33, v10
	v_lshl_add_u64 v[12:13], v[12:13], 0, s[24:25]
	v_lshl_add_u64 v[14:15], v[14:15], 0, s[24:25]
	s_or_b64 s[30:31], s[8:9], s[30:31]
	s_waitcnt vmcnt(1)
	v_subrev_u32_e32 v18, s22, v7
	v_ashrrev_i32_e32 v19, 31, v18
	v_lshl_add_u64 v[18:19], v[18:19], 3, s[18:19]
	global_load_dwordx2 v[18:19], v[18:19], off
	s_waitcnt vmcnt(1)
	v_mov_b32_e32 v7, v2
	s_waitcnt vmcnt(0)
	v_pk_fma_f32 v[8:9], v[18:19], v[2:3], v[8:9] op_sel_hi:[0,1,1]
	v_pk_fma_f32 v[8:9], v[18:19], v[6:7], v[8:9] op_sel:[1,0,0]
	s_andn2_b64 exec, exec, s[30:31]
	s_cbranch_execnz .LBB83_9
; %bb.10:                               ;   in Loop: Header=BB83_7 Depth=1
	s_or_b64 exec, exec, s[30:31]
.LBB83_11:                              ;   in Loop: Header=BB83_7 Depth=1
	s_or_b64 exec, exec, s[28:29]
	ds_write_b64 v16, v[8:9]
	s_waitcnt lgkmcnt(0)
	s_barrier
	ds_read2st64_b64 v[8:11], v16 offset1:4
	ds_read2st64_b64 v[12:15], v16 offset0:8 offset1:12
	s_waitcnt lgkmcnt(0)
	v_pk_add_f32 v[10:11], v[12:13], v[10:11]
	s_nop 0
	v_pk_add_f32 v[10:11], v[14:15], v[10:11]
	s_nop 0
	v_pk_add_f32 v[8:9], v[10:11], v[8:9]
	ds_write_b64 v16, v[8:9]
	s_waitcnt lgkmcnt(0)
	s_barrier
	s_and_saveexec_b64 s[8:9], vcc
	s_cbranch_execz .LBB83_13
; %bb.12:                               ;   in Loop: Header=BB83_7 Depth=1
	ds_read2st64_b64 v[8:11], v16 offset1:1
	ds_read2st64_b64 v[12:15], v16 offset0:2 offset1:3
	s_waitcnt lgkmcnt(0)
	v_pk_add_f32 v[10:11], v[12:13], v[10:11]
	s_nop 0
	v_pk_add_f32 v[10:11], v[14:15], v[10:11]
	s_nop 0
	v_pk_add_f32 v[8:9], v[10:11], v[8:9]
	ds_write_b64 v16, v[8:9]
.LBB83_13:                              ;   in Loop: Header=BB83_7 Depth=1
	s_or_b64 exec, exec, s[8:9]
	s_waitcnt lgkmcnt(0)
	s_barrier
	s_and_saveexec_b64 s[8:9], s[2:3]
	s_cbranch_execz .LBB83_15
; %bb.14:                               ;   in Loop: Header=BB83_7 Depth=1
	ds_read2_b64 v[8:11], v16 offset1:16
	ds_read2_b64 v[12:15], v16 offset0:32 offset1:48
	s_waitcnt lgkmcnt(0)
	v_pk_add_f32 v[10:11], v[12:13], v[10:11]
	s_nop 0
	v_pk_add_f32 v[10:11], v[14:15], v[10:11]
	s_nop 0
	v_pk_add_f32 v[8:9], v[10:11], v[8:9]
	ds_write_b64 v16, v[8:9]
.LBB83_15:                              ;   in Loop: Header=BB83_7 Depth=1
	s_or_b64 exec, exec, s[8:9]
	s_waitcnt lgkmcnt(0)
	s_barrier
	s_and_saveexec_b64 s[8:9], s[4:5]
	s_cbranch_execz .LBB83_17
; %bb.16:                               ;   in Loop: Header=BB83_7 Depth=1
	ds_read2_b64 v[8:11], v16 offset1:4
	ds_read2_b64 v[12:15], v16 offset0:8 offset1:12
	s_waitcnt lgkmcnt(0)
	v_pk_add_f32 v[10:11], v[12:13], v[10:11]
	s_nop 0
	v_pk_add_f32 v[10:11], v[14:15], v[10:11]
	s_nop 0
	v_pk_add_f32 v[8:9], v[10:11], v[8:9]
	ds_write_b64 v16, v[8:9]
.LBB83_17:                              ;   in Loop: Header=BB83_7 Depth=1
	s_or_b64 exec, exec, s[8:9]
	s_waitcnt lgkmcnt(0)
	s_barrier
	s_and_saveexec_b64 s[8:9], s[6:7]
	s_cbranch_execz .LBB83_19
; %bb.18:                               ;   in Loop: Header=BB83_7 Depth=1
	ds_read_b128 v[8:11], v3 offset:16
	ds_read_b64 v[12:13], v3 offset:8
	ds_read_b64 v[14:15], v16
	s_waitcnt lgkmcnt(1)
	v_pk_add_f32 v[8:9], v[8:9], v[12:13]
	s_nop 0
	v_pk_add_f32 v[8:9], v[10:11], v[8:9]
	s_waitcnt lgkmcnt(0)
	v_pk_add_f32 v[8:9], v[8:9], v[14:15]
	ds_write_b64 v16, v[8:9]
.LBB83_19:                              ;   in Loop: Header=BB83_7 Depth=1
	s_or_b64 exec, exec, s[8:9]
	s_waitcnt lgkmcnt(0)
	s_barrier
	s_and_saveexec_b64 s[28:29], s[6:7]
	s_cbranch_execz .LBB83_6
; %bb.20:                               ;   in Loop: Header=BB83_7 Depth=1
	ds_read_b64 v[8:9], v3
	s_mov_b64 s[8:9], exec
	v_bfrev_b32_e32 v2, 1
	s_waitcnt lgkmcnt(0)
	v_mul_f32_e64 v7, v9, -v5
	v_fmac_f32_e32 v7, v4, v8
.LBB83_21:                              ;   Parent Loop BB83_7 Depth=1
                                        ; =>  This Inner Loop Header: Depth=2
	s_ff1_i32_b64 s30, s[8:9]
	v_readlane_b32 s33, v7, s30
	s_lshl_b64 s[30:31], 1, s30
	s_andn2_b64 s[8:9], s[8:9], s[30:31]
	s_cmp_lg_u64 s[8:9], 0
	v_add_f32_e32 v2, s33, v2
	s_cbranch_scc1 .LBB83_21
; %bb.22:                               ;   in Loop: Header=BB83_7 Depth=1
	s_lshl_b64 s[8:9], s[26:27], 3
	v_mbcnt_lo_u32_b32 v7, exec_lo, 0
	s_add_u32 s30, s10, s8
	v_mbcnt_hi_u32_b32 v7, exec_hi, v7
	s_addc_u32 s31, s11, s9
	v_cmp_eq_u32_e64 s[8:9], 0, v7
	s_and_saveexec_b64 s[34:35], s[8:9]
	s_xor_b64 s[8:9], exec, s[34:35]
	s_cbranch_execz .LBB83_24
; %bb.23:                               ;   in Loop: Header=BB83_7 Depth=1
	global_atomic_add_f32 v3, v2, s[30:31]
.LBB83_24:                              ;   in Loop: Header=BB83_7 Depth=1
	s_or_b64 exec, exec, s[8:9]
	v_mul_f32_e32 v7, v4, v9
	s_mov_b64 s[8:9], exec
	v_fmac_f32_e32 v7, v5, v8
	v_bfrev_b32_e32 v2, 1
.LBB83_25:                              ;   Parent Loop BB83_7 Depth=1
                                        ; =>  This Inner Loop Header: Depth=2
	s_ff1_i32_b64 s27, s[8:9]
	s_lshl_b64 s[34:35], 1, s27
	v_readlane_b32 s33, v7, s27
	s_andn2_b64 s[8:9], s[8:9], s[34:35]
	s_cmp_lg_u64 s[8:9], 0
	v_add_f32_e32 v2, s33, v2
	s_cbranch_scc1 .LBB83_25
; %bb.26:                               ;   in Loop: Header=BB83_7 Depth=1
	v_mbcnt_lo_u32_b32 v7, exec_lo, 0
	v_mbcnt_hi_u32_b32 v7, exec_hi, v7
	v_cmp_eq_u32_e64 s[8:9], 0, v7
	s_and_saveexec_b64 s[34:35], s[8:9]
	s_xor_b64 s[34:35], exec, s[34:35]
	s_cbranch_execz .LBB83_6
; %bb.27:                               ;   in Loop: Header=BB83_7 Depth=1
	global_atomic_add_f32 v3, v2, s[30:31] offset:4
	s_branch .LBB83_6
.LBB83_28:
	s_ashr_i32 s3, s20, 31
	s_mov_b32 s2, s20
	s_lshl_b64 s[2:3], s[2:3], 2
	s_add_u32 s2, s12, s2
	s_addc_u32 s3, s13, s3
	s_ashr_i32 s5, s21, 31
	s_mov_b32 s4, s21
	s_lshl_b64 s[4:5], s[4:5], 2
	s_add_u32 s4, s12, s4
	s_addc_u32 s5, s13, s5
	s_load_dword s6, s[4:5], 0x0
	s_load_dword s7, s[2:3], 0x0
	s_waitcnt lgkmcnt(0)
	s_sub_i32 s26, s6, s22
	v_add_u32_e32 v2, s7, v1
	v_cmp_gt_i32_e32 vcc, s26, v2
	s_and_saveexec_b64 s[6:7], vcc
	s_cbranch_execz .LBB83_37
; %bb.29:
	s_add_i32 s27, s21, -1
	s_cmp_lt_i32 s20, s27
	s_cselect_b64 s[2:3], -1, 0
	s_add_i32 s4, s21, -2
	s_cmp_lg_u32 s20, s4
	s_cselect_b64 s[4:5], -1, 0
	s_and_b64 s[2:3], s[2:3], s[4:5]
	v_cndmask_b32_e64 v3, 0, 1, s[2:3]
	v_mul_f32_e32 v10, 0x80000000, v5
	v_mul_f32_e32 v11, 0, v4
	s_mov_b64 s[8:9], 0
	v_cmp_ne_u32_e64 s[2:3], 1, v3
	s_branch .LBB83_31
.LBB83_30:                              ;   in Loop: Header=BB83_31 Depth=1
	s_or_b64 exec, exec, s[4:5]
	v_add_u32_e32 v2, 0x100, v2
	v_cmp_le_i32_e32 vcc, s26, v2
	s_or_b64 s[8:9], vcc, s[8:9]
	s_andn2_b64 exec, exec, s[8:9]
	s_cbranch_execz .LBB83_37
.LBB83_31:                              ; =>This Loop Header: Depth=1
                                        ;     Child Loop BB83_33 Depth 2
	s_and_b64 vcc, exec, s[2:3]
	v_mov_b32_e32 v8, s20
	v_mov_b32_e32 v6, s27
	s_cbranch_vccnz .LBB83_35
; %bb.32:                               ;   in Loop: Header=BB83_31 Depth=1
	s_mov_b64 s[24:25], 0
	v_mov_b32_e32 v8, s20
	v_mov_b32_e32 v6, s27
.LBB83_33:                              ;   Parent Loop BB83_31 Depth=1
                                        ; =>  This Inner Loop Header: Depth=2
	v_add_u32_e32 v3, v6, v8
	v_lshrrev_b32_e32 v7, 31, v3
	v_add_u32_e32 v3, v3, v7
	v_ashrrev_i32_e32 v12, 1, v3
	v_ashrrev_i32_e32 v13, 31, v12
	v_lshl_add_u64 v[14:15], v[12:13], 2, s[12:13]
	global_load_dword v3, v[14:15], off
	s_waitcnt vmcnt(0)
	v_subrev_u32_e32 v3, s22, v3
	v_cmp_lt_i32_e32 vcc, v2, v3
	s_nop 1
	v_cndmask_b32_e32 v6, v6, v12, vcc
	v_cndmask_b32_e32 v8, v12, v8, vcc
	v_add_u32_e32 v3, -1, v6
	v_cmp_ge_i32_e32 vcc, v8, v6
	v_cmp_eq_u32_e64 s[4:5], v8, v3
	s_or_b64 s[4:5], vcc, s[4:5]
	s_and_b64 s[4:5], exec, s[4:5]
	s_or_b64 s[24:25], s[4:5], s[24:25]
	s_andn2_b64 exec, exec, s[24:25]
	s_cbranch_execnz .LBB83_33
; %bb.34:                               ;   in Loop: Header=BB83_31 Depth=1
	s_or_b64 exec, exec, s[24:25]
.LBB83_35:                              ;   in Loop: Header=BB83_31 Depth=1
	v_ashrrev_i32_e32 v7, 31, v6
	v_lshl_add_u64 v[12:13], v[6:7], 2, s[12:13]
	global_load_dword v7, v[12:13], off
	v_ashrrev_i32_e32 v3, 31, v2
	v_lshl_add_u64 v[12:13], v[2:3], 2, s[14:15]
	global_load_dword v9, v[12:13], off
	s_waitcnt vmcnt(1)
	v_subrev_u32_e32 v7, s22, v7
	v_cmp_lt_i32_e32 vcc, v2, v7
	s_nop 1
	v_cndmask_b32_e32 v8, v6, v8, vcc
	s_waitcnt vmcnt(0)
	v_subrev_u32_e32 v6, s22, v9
	v_cmp_ne_u32_e32 vcc, v6, v8
	s_and_saveexec_b64 s[4:5], vcc
	s_cbranch_execz .LBB83_30
; %bb.36:                               ;   in Loop: Header=BB83_31 Depth=1
	v_lshl_add_u64 v[12:13], v[2:3], 2, s[16:17]
	v_ashrrev_i32_e32 v9, 31, v8
	global_load_dword v3, v[12:13], off
	v_lshl_add_u64 v[8:9], v[8:9], 3, s[18:19]
	global_load_dwordx2 v[8:9], v[8:9], off
	v_ashrrev_i32_e32 v7, 31, v6
	v_lshl_add_u64 v[6:7], v[6:7], 3, s[10:11]
	s_waitcnt vmcnt(1)
	v_fma_f32 v12, v4, v3, v10
	v_fma_f32 v3, v5, v3, v11
	s_waitcnt vmcnt(0)
	v_mul_f32_e64 v13, v9, -v3
	v_mul_f32_e32 v9, v12, v9
	v_fmac_f32_e32 v13, v12, v8
	v_fmac_f32_e32 v9, v3, v8
	global_atomic_add_f32 v[6:7], v13, off
	global_atomic_add_f32 v[6:7], v9, off offset:4
	s_branch .LBB83_30
.LBB83_37:
	s_or_b64 exec, exec, s[6:7]
	s_mov_b64 s[2:3], 0
.LBB83_38:
	s_and_b64 vcc, exec, s[2:3]
	s_cbranch_vccz .LBB83_140
; %bb.39:
	v_cvt_f32_u32_e32 v2, s23
	s_ashr_i32 s3, s20, 31
	s_mov_b32 s2, s20
	s_sub_i32 s8, 0, s23
	v_rcp_iflag_f32_e32 v2, v2
	s_lshl_b64 s[2:3], s[2:3], 2
	s_add_u32 s4, s12, s2
	s_addc_u32 s5, s13, s3
	v_mul_f32_e32 v2, 0x4f7ffffe, v2
	v_cvt_u32_f32_e32 v2, v2
	s_load_dword s33, s[4:5], 0x0
	s_load_dwordx2 s[6:7], s[0:1], 0x4
	s_load_dword s34, s[0:1], 0x64
	v_readfirstlane_b32 s35, v2
	s_waitcnt lgkmcnt(0)
	v_add_u32_e32 v2, s33, v1
	s_mul_i32 s8, s8, s35
	v_add_u32_e32 v17, 0x300, v2
	s_mul_hi_u32 s36, s35, s8
	v_cmp_le_i32_e32 vcc, s6, v17
	s_and_saveexec_b64 s[0:1], vcc
	s_xor_b64 s[2:3], exec, s[0:1]
	s_cbranch_execz .LBB83_51
; %bb.40:
	s_ashr_i32 s1, s21, 31
	s_mov_b32 s0, s21
	s_lshl_b64 s[0:1], s[0:1], 2
	s_add_u32 s0, s12, s0
	s_addc_u32 s1, s13, s1
	s_load_dword s24, s[0:1], 0x0
	s_waitcnt lgkmcnt(0)
	s_sub_i32 s6, s24, s33
	v_cmp_gt_i32_e64 s[0:1], s6, v0
	s_and_saveexec_b64 s[8:9], s[0:1]
	s_cbranch_execz .LBB83_50
; %bb.41:
	s_mov_b32 s0, 0
	s_brev_b32 s1, 1
	v_xad_u32 v1, v0, -1, s24
	v_pk_mul_f32 v[6:7], v[4:5], s[0:1]
	v_subrev_u32_e32 v3, s33, v1
	s_movk_i32 s0, 0x1100
	v_cmp_gt_u32_e64 s[24:25], s0, v3
	s_movk_i32 s0, 0x10ff
	v_cmp_lt_u32_e64 s[0:1], s0, v3
	v_mov_b32_e32 v1, 0
	s_and_saveexec_b64 s[26:27], s[0:1]
	s_cbranch_execz .LBB83_47
; %bb.42:
	v_and_b32_e32 v1, 0xffffff00, v3
	v_add_u32_e32 v1, v2, v1
	v_cmp_ge_i32_e64 s[0:1], v1, v2
	s_mov_b64 s[30:31], -1
	v_mov_b32_e32 v1, 0
	s_and_saveexec_b64 s[28:29], s[0:1]
	s_cbranch_execz .LBB83_46
; %bb.43:
	v_lshrrev_b32_e32 v1, 8, v3
	v_add_u32_e32 v3, 1, v1
	v_and_b32_e32 v18, 0x1fffffe, v3
	v_mov_b32_e32 v8, v7
	v_mov_b32_e32 v9, v7
	;; [unrolled: 1-line block ×9, first 2 shown]
	s_movk_i32 s37, 0x100
	s_mov_b32 s38, 0
	s_mov_b64 s[30:31], 0
	v_mov_b32_e32 v19, v18
	v_mov_b32_e32 v20, v16
.LBB83_44:                              ; =>This Inner Loop Header: Depth=1
	v_add_u32_e32 v22, s38, v2
	v_add_u32_e32 v24, s37, v1
	v_ashrrev_i32_e32 v23, 31, v22
	v_ashrrev_i32_e32 v25, 31, v24
	v_lshl_add_u64 v[22:23], v[22:23], 2, s[16:17]
	v_lshl_add_u64 v[24:25], v[24:25], 2, s[16:17]
	global_load_dword v26, v[22:23], off
	global_load_dword v27, v[24:25], off
	v_add_u32_e32 v19, -2, v19
	s_addk_i32 s38, 0x200
	s_addk_i32 s37, 0x200
	v_cmp_eq_u32_e64 s[0:1], 0, v19
	s_or_b64 s[30:31], s[0:1], s[30:31]
	s_waitcnt vmcnt(0)
	v_pk_fma_f32 v[22:23], v[12:13], v[26:27], v[8:9]
	v_pk_fma_f32 v[24:25], v[14:15], v[26:27], v[10:11]
	v_mov_b32_e32 v26, v22
	v_mov_b32_e32 v27, v24
	;; [unrolled: 1-line block ×3, first 2 shown]
	ds_write2st64_b64 v20, v[26:27], v[24:25] offset1:4
	v_add_u32_e32 v20, 0x1000, v20
	s_andn2_b64 exec, exec, s[30:31]
	s_cbranch_execnz .LBB83_44
; %bb.45:
	s_or_b64 exec, exec, s[30:31]
	v_cmp_ne_u32_e64 s[0:1], v3, v18
	v_lshlrev_b32_e32 v1, 8, v18
	s_orn2_b64 s[30:31], s[0:1], exec
.LBB83_46:
	s_or_b64 exec, exec, s[28:29]
	s_andn2_b64 s[0:1], s[24:25], exec
	s_and_b64 s[24:25], s[30:31], exec
	s_or_b64 s[24:25], s[0:1], s[24:25]
.LBB83_47:
	s_or_b64 exec, exec, s[26:27]
	s_and_b64 exec, exec, s[24:25]
	s_cbranch_execz .LBB83_50
; %bb.48:
	v_add_u32_e32 v3, v0, v1
	v_lshlrev_b32_e32 v1, 3, v1
	v_pk_mov_b32 v[6:7], v[6:7], v[6:7] op_sel:[1,0]
	v_lshl_add_u32 v1, v0, 3, v1
	s_sub_i32 s26, s33, s22
	s_mov_b64 s[24:25], 0
.LBB83_49:                              ; =>This Inner Loop Header: Depth=1
	v_add_u32_e32 v8, s26, v3
	v_ashrrev_i32_e32 v9, 31, v8
	v_lshl_add_u64 v[8:9], v[8:9], 2, s[16:17]
	global_load_dword v8, v[8:9], off
	v_add_u32_e32 v3, 0x100, v3
	v_cmp_le_i32_e64 s[0:1], s6, v3
	s_or_b64 s[24:25], s[0:1], s[24:25]
	s_waitcnt vmcnt(0)
	v_pk_fma_f32 v[8:9], v[4:5], v[8:9], v[6:7] op_sel_hi:[1,0,1]
	ds_write_b64 v1, v[8:9]
	v_add_u32_e32 v1, 0x800, v1
	s_andn2_b64 exec, exec, s[24:25]
	s_cbranch_execnz .LBB83_49
.LBB83_50:
	s_or_b64 exec, exec, s[8:9]
                                        ; implicit-def: $vgpr4_vgpr5
.LBB83_51:
	s_or_saveexec_b64 s[0:1], s[2:3]
	s_and_b32 s28, s34, 0xffff
	s_add_i32 s35, s35, s36
	v_ashrrev_i32_e32 v3, 31, v2
	s_xor_b64 exec, exec, s[0:1]
	s_cbranch_execz .LBB83_53
; %bb.52:
	v_lshl_add_u64 v[6:7], v[2:3], 2, s[16:17]
	global_load_dword v8, v[6:7], off
	global_load_dword v10, v[6:7], off offset:1024
	global_load_dword v12, v[6:7], off offset:2048
	;; [unrolled: 1-line block ×3, first 2 shown]
	s_mov_b32 s2, 0
	s_brev_b32 s3, 1
	v_pk_mul_f32 v[6:7], v[4:5], s[2:3]
	s_waitcnt vmcnt(3)
	v_pk_fma_f32 v[8:9], v[4:5], v[8:9], v[6:7] op_sel:[0,0,1] op_sel_hi:[1,0,0]
	s_waitcnt vmcnt(2)
	v_pk_fma_f32 v[10:11], v[4:5], v[10:11], v[6:7] op_sel:[0,0,1] op_sel_hi:[1,0,0]
	;; [unrolled: 2-line block ×4, first 2 shown]
	ds_write2st64_b64 v16, v[8:9], v[10:11] offset1:4
	ds_write2st64_b64 v16, v[12:13], v[4:5] offset0:8 offset1:12
.LBB83_53:
	s_or_b64 exec, exec, s[0:1]
	s_mul_hi_u32 s6, s28, s35
	v_cmp_gt_i32_e64 s[0:1], s7, v0
	s_and_saveexec_b64 s[2:3], s[0:1]
	s_cbranch_execz .LBB83_56
; %bb.54:
	v_mov_b32_e32 v1, 0x2000
	v_lshl_add_u32 v1, v0, 3, v1
	s_mov_b64 s[8:9], 0
	v_mov_b32_e32 v4, 0
	v_mov_b32_e32 v5, v0
.LBB83_55:                              ; =>This Inner Loop Header: Depth=1
	v_add_u32_e32 v5, 0x100, v5
	v_cmp_le_i32_e64 s[0:1], s7, v5
	ds_write2_b32 v1, v4, v4 offset1:1
	s_or_b64 s[8:9], s[0:1], s[8:9]
	v_add_u32_e32 v1, 0x800, v1
	s_andn2_b64 exec, exec, s[8:9]
	s_cbranch_execnz .LBB83_55
.LBB83_56:
	s_or_b64 exec, exec, s[2:3]
	s_sub_i32 s0, s21, s7
	s_cmp_ge_i32 s21, s7
	s_cselect_b32 s29, s0, 0
	s_waitcnt lgkmcnt(0)
	s_barrier
	s_and_saveexec_b64 s[0:1], vcc
	s_xor_b64 s[8:9], exec, s[0:1]
	s_cbranch_execz .LBB83_73
; %bb.57:
	s_ashr_i32 s1, s21, 31
	s_mov_b32 s0, s21
	s_lshl_b64 s[0:1], s[0:1], 2
	s_add_u32 s0, s12, s0
	s_addc_u32 s1, s13, s1
	s_load_dword s0, s[0:1], 0x0
	s_waitcnt lgkmcnt(0)
	s_sub_i32 s30, s0, s33
	v_cmp_gt_i32_e32 vcc, s30, v0
	s_and_saveexec_b64 s[16:17], vcc
	s_cbranch_execz .LBB83_72
; %bb.58:
	s_add_i32 s31, s21, -1
	s_add_i32 s1, s21, -2
	s_cmp_lg_u32 s20, s1
	s_cselect_b64 s[2:3], -1, 0
	v_cndmask_b32_e64 v1, 0, 1, s[2:3]
	s_sub_i32 s34, s0, s22
	s_mov_b32 s35, 0
	s_mov_b64 s[24:25], 0
	v_cmp_ne_u32_e64 s[0:1], 1, v1
	v_mov_b32_e32 v1, 0x2000
	s_branch .LBB83_61
.LBB83_59:                              ;   in Loop: Header=BB83_61 Depth=1
	s_or_b64 exec, exec, s[2:3]
	v_xor_b32_e32 v8, 0x80000000, v7
.LBB83_60:                              ;   in Loop: Header=BB83_61 Depth=1
	s_or_b64 exec, exec, s[26:27]
	v_ashrrev_i32_e32 v5, 31, v4
	v_lshl_add_u64 v[4:5], v[4:5], 3, s[18:19]
	global_load_dwordx2 v[4:5], v[4:5], off
	s_addk_i32 s35, 0x100
	v_add_u32_e32 v10, s35, v0
	v_cmp_le_i32_e32 vcc, s30, v10
	s_or_b64 s[24:25], vcc, s[24:25]
	s_waitcnt vmcnt(0)
	v_pk_mul_f32 v[8:9], v[4:5], v[8:9] op_sel:[1,0]
	s_nop 0
	v_pk_fma_f32 v[4:5], v[6:7], v[4:5], v[8:9] op_sel_hi:[1,0,1]
	ds_write_b64 v3, v[4:5]
	s_andn2_b64 exec, exec, s[24:25]
	s_cbranch_execz .LBB83_72
.LBB83_61:                              ; =>This Loop Header: Depth=1
                                        ;     Child Loop BB83_63 Depth 2
	v_add_u32_e32 v6, s35, v2
	s_and_b64 vcc, exec, s[0:1]
	v_mov_b32_e32 v3, s20
	v_mov_b32_e32 v8, s31
	s_cbranch_vccnz .LBB83_65
; %bb.62:                               ;   in Loop: Header=BB83_61 Depth=1
	s_mov_b64 s[26:27], 0
	v_mov_b32_e32 v3, s20
	v_mov_b32_e32 v8, s31
.LBB83_63:                              ;   Parent Loop BB83_61 Depth=1
                                        ; =>  This Inner Loop Header: Depth=2
	v_add_u32_e32 v4, v8, v3
	v_lshrrev_b32_e32 v5, 31, v4
	v_add_u32_e32 v4, v4, v5
	v_ashrrev_i32_e32 v4, 1, v4
	v_ashrrev_i32_e32 v5, 31, v4
	v_lshl_add_u64 v[10:11], v[4:5], 2, s[12:13]
	global_load_dword v5, v[10:11], off
	s_waitcnt vmcnt(0)
	v_subrev_u32_e32 v5, s22, v5
	v_cmp_lt_i32_e32 vcc, v6, v5
	s_nop 1
	v_cndmask_b32_e32 v8, v8, v4, vcc
	v_cndmask_b32_e32 v3, v4, v3, vcc
	v_add_u32_e32 v4, -1, v8
	v_cmp_ge_i32_e32 vcc, v3, v8
	v_cmp_eq_u32_e64 s[2:3], v3, v4
	s_or_b64 s[2:3], vcc, s[2:3]
	s_and_b64 s[2:3], exec, s[2:3]
	s_or_b64 s[26:27], s[2:3], s[26:27]
	s_andn2_b64 exec, exec, s[26:27]
	s_cbranch_execnz .LBB83_63
; %bb.64:                               ;   in Loop: Header=BB83_61 Depth=1
	s_or_b64 exec, exec, s[26:27]
.LBB83_65:                              ;   in Loop: Header=BB83_61 Depth=1
	v_ashrrev_i32_e32 v9, 31, v8
	v_lshl_add_u64 v[4:5], v[8:9], 2, s[12:13]
	global_load_dword v9, v[4:5], off
	v_ashrrev_i32_e32 v7, 31, v6
	v_lshl_add_u64 v[4:5], v[6:7], 2, s[14:15]
	global_load_dword v4, v[4:5], off
	v_cmp_le_i32_e32 vcc, s34, v6
	s_waitcnt vmcnt(1)
	v_subrev_u32_e32 v5, s22, v9
	v_cmp_lt_i32_e64 s[2:3], v6, v5
                                        ; implicit-def: $vgpr6_vgpr7
	s_waitcnt vmcnt(0)
	v_subrev_u32_e32 v4, s22, v4
	v_cndmask_b32_e64 v10, v8, v3, s[2:3]
	v_cmp_eq_u32_e64 s[2:3], v4, v10
	s_or_b64 s[2:3], s[2:3], vcc
	v_lshl_add_u32 v3, s35, 3, v16
                                        ; implicit-def: $vgpr9
	s_and_saveexec_b64 s[26:27], s[2:3]
	s_xor_b64 s[2:3], exec, s[26:27]
	s_cbranch_execz .LBB83_67
; %bb.66:                               ;   in Loop: Header=BB83_61 Depth=1
	ds_read_b64 v[6:7], v3
                                        ; implicit-def: $vgpr10
	s_waitcnt lgkmcnt(0)
	v_xor_b32_e32 v8, 0x80000000, v7
	v_mov_b32_e32 v9, v6
.LBB83_67:                              ;   in Loop: Header=BB83_61 Depth=1
	s_andn2_saveexec_b64 s[26:27], s[2:3]
	s_cbranch_execz .LBB83_60
; %bb.68:                               ;   in Loop: Header=BB83_61 Depth=1
	v_ashrrev_i32_e32 v11, 31, v10
	v_lshl_add_u64 v[6:7], v[10:11], 3, s[18:19]
	global_load_dwordx2 v[12:13], v[6:7], off
	ds_read_b64 v[6:7], v3
	v_cmp_gt_i32_e32 vcc, s29, v4
	v_cmp_le_i32_e64 s[2:3], s21, v4
	s_or_b64 s[2:3], vcc, s[2:3]
                                        ; implicit-def: $vgpr9
	s_waitcnt vmcnt(0) lgkmcnt(0)
	v_mul_f32_e64 v8, v13, -v7
	v_mul_f32_e32 v10, v13, v6
	v_fmac_f32_e32 v8, v6, v12
	v_fmac_f32_e32 v10, v7, v12
	s_and_saveexec_b64 s[36:37], s[2:3]
	s_xor_b64 s[2:3], exec, s[36:37]
	s_cbranch_execz .LBB83_70
; %bb.69:                               ;   in Loop: Header=BB83_61 Depth=1
	v_ashrrev_i32_e32 v5, 31, v4
	v_lshl_add_u64 v[12:13], v[4:5], 3, s[10:11]
	global_atomic_add_f32 v[12:13], v8, off
	global_atomic_add_f32 v[12:13], v10, off offset:4
	v_mov_b32_e32 v9, v6
                                        ; implicit-def: $vgpr8
                                        ; implicit-def: $vgpr10
.LBB83_70:                              ;   in Loop: Header=BB83_61 Depth=1
	s_andn2_saveexec_b64 s[2:3], s[2:3]
	s_cbranch_execz .LBB83_59
; %bb.71:                               ;   in Loop: Header=BB83_61 Depth=1
	v_subrev_u32_e32 v5, s29, v4
	v_lshl_add_u32 v5, v5, 3, v1
	ds_add_f32 v5, v8
	ds_add_f32 v5, v10 offset:4
	v_mov_b32_e32 v9, v6
	s_branch .LBB83_59
.LBB83_72:
	s_or_b64 exec, exec, s[16:17]
                                        ; implicit-def: $vgpr17
                                        ; implicit-def: $vgpr2
.LBB83_73:
	s_andn2_saveexec_b64 s[8:9], s[8:9]
	s_cbranch_execz .LBB83_115
; %bb.74:
	s_add_i32 s24, s21, -1
	s_add_i32 s0, s21, -2
	s_cmp_lg_u32 s20, s0
	s_cselect_b64 s[2:3], -1, 0
	s_cmp_eq_u32 s20, s0
	v_mov_b32_e32 v1, s20
	v_mov_b32_e32 v6, s24
	s_cbranch_scc1 .LBB83_78
; %bb.75:
	s_mov_b64 s[16:17], 0
	v_mov_b32_e32 v1, s20
	v_mov_b32_e32 v6, s24
.LBB83_76:                              ; =>This Inner Loop Header: Depth=1
	v_add_u32_e32 v4, v6, v1
	v_lshrrev_b32_e32 v5, 31, v4
	v_add_u32_e32 v4, v4, v5
	v_ashrrev_i32_e32 v4, 1, v4
	v_ashrrev_i32_e32 v5, 31, v4
	v_lshl_add_u64 v[8:9], v[4:5], 2, s[12:13]
	global_load_dword v5, v[8:9], off
	s_waitcnt vmcnt(0)
	v_subrev_u32_e32 v5, s22, v5
	v_cmp_lt_i32_e32 vcc, v2, v5
	s_nop 1
	v_cndmask_b32_e32 v6, v6, v4, vcc
	v_cndmask_b32_e32 v1, v4, v1, vcc
	v_add_u32_e32 v4, -1, v6
	v_cmp_ge_i32_e32 vcc, v1, v6
	v_cmp_eq_u32_e64 s[0:1], v1, v4
	s_or_b64 s[0:1], vcc, s[0:1]
	s_and_b64 s[0:1], exec, s[0:1]
	s_or_b64 s[16:17], s[0:1], s[16:17]
	s_andn2_b64 exec, exec, s[16:17]
	s_cbranch_execnz .LBB83_76
; %bb.77:
	s_or_b64 exec, exec, s[16:17]
.LBB83_78:
	v_ashrrev_i32_e32 v7, 31, v6
	v_lshl_add_u64 v[4:5], v[6:7], 2, s[12:13]
	global_load_dword v7, v[4:5], off
	v_lshl_add_u64 v[4:5], v[2:3], 2, s[14:15]
	global_load_dword v3, v[4:5], off
	s_ashr_i32 s1, s21, 31
	s_mov_b32 s0, s21
	s_lshl_b64 s[0:1], s[0:1], 2
	s_add_u32 s14, s12, s0
	s_addc_u32 s15, s13, s1
	s_waitcnt vmcnt(1)
	v_subrev_u32_e32 v7, s22, v7
	v_cmp_lt_i32_e32 vcc, v2, v7
	s_nop 1
	v_cndmask_b32_e32 v8, v6, v1, vcc
	s_waitcnt vmcnt(0)
	v_subrev_u32_e32 v6, s22, v3
	v_cmp_ne_u32_e32 vcc, v6, v8
	s_and_saveexec_b64 s[16:17], vcc
	s_cbranch_execz .LBB83_84
; %bb.79:
	s_load_dword s0, s[14:15], 0x0
	s_waitcnt lgkmcnt(0)
	s_sub_i32 s0, s0, s22
	v_cmp_gt_i32_e32 vcc, s0, v2
	s_and_b64 exec, exec, vcc
	s_cbranch_execz .LBB83_84
; %bb.80:
	v_ashrrev_i32_e32 v9, 31, v8
	v_lshl_add_u64 v[8:9], v[8:9], 3, s[18:19]
	global_load_dwordx2 v[8:9], v[8:9], off
	ds_read_b64 v[10:11], v16
	v_cmp_gt_i32_e32 vcc, s29, v6
	v_cmp_le_i32_e64 s[0:1], s21, v6
	s_or_b64 s[0:1], vcc, s[0:1]
	s_waitcnt vmcnt(0) lgkmcnt(0)
	v_mul_f32_e64 v1, v9, -v11
	v_mul_f32_e32 v3, v9, v10
	v_fmac_f32_e32 v1, v10, v8
	v_fmac_f32_e32 v3, v11, v8
	s_and_saveexec_b64 s[26:27], s[0:1]
	s_xor_b64 s[0:1], exec, s[26:27]
	s_cbranch_execz .LBB83_82
; %bb.81:
	v_ashrrev_i32_e32 v7, 31, v6
	v_lshl_add_u64 v[8:9], v[6:7], 3, s[10:11]
	global_atomic_add_f32 v[8:9], v1, off
	global_atomic_add_f32 v[8:9], v3, off offset:4
                                        ; implicit-def: $vgpr1
                                        ; implicit-def: $vgpr3
.LBB83_82:
	s_andn2_saveexec_b64 s[0:1], s[0:1]
	s_cbranch_execz .LBB83_84
; %bb.83:
	v_subrev_u32_e32 v7, s29, v6
	v_mov_b32_e32 v8, 0x2000
	v_lshl_add_u32 v7, v7, 3, v8
	ds_add_f32 v7, v1
	ds_add_f32 v7, v3 offset:4
.LBB83_84:
	s_or_b64 exec, exec, s[16:17]
	v_ashrrev_i32_e32 v7, 31, v6
	v_lshl_add_u64 v[6:7], v[6:7], 3, s[18:19]
	global_load_dwordx2 v[6:7], v[6:7], off
	ds_read_b64 v[8:9], v16
	v_cndmask_b32_e64 v10, 0, 1, s[2:3]
	v_cmp_ne_u32_e64 s[0:1], 1, v10
	v_add_u32_e32 v1, 0x100, v2
	v_mov_b32_e32 v3, s20
	s_waitcnt lgkmcnt(0)
	v_xor_b32_e32 v10, 0x80000000, v9
	v_mov_b32_e32 v11, v8
	s_andn2_b64 vcc, exec, s[2:3]
	s_waitcnt vmcnt(0)
	v_pk_mul_f32 v[10:11], v[6:7], v[10:11] op_sel:[1,0]
	s_nop 0
	v_pk_fma_f32 v[6:7], v[8:9], v[6:7], v[10:11] op_sel_hi:[1,0,1]
	ds_write_b64 v16, v[6:7]
	v_mov_b32_e32 v6, s24
	s_cbranch_vccnz .LBB83_88
; %bb.85:
	s_mov_b64 s[16:17], 0
	v_mov_b32_e32 v3, s20
	v_mov_b32_e32 v6, s24
.LBB83_86:                              ; =>This Inner Loop Header: Depth=1
	v_add_u32_e32 v7, v6, v3
	v_lshrrev_b32_e32 v8, 31, v7
	v_add_u32_e32 v7, v7, v8
	v_ashrrev_i32_e32 v8, 1, v7
	v_ashrrev_i32_e32 v9, 31, v8
	v_lshl_add_u64 v[10:11], v[8:9], 2, s[12:13]
	global_load_dword v7, v[10:11], off
	s_waitcnt vmcnt(0)
	v_subrev_u32_e32 v7, s22, v7
	v_cmp_lt_i32_e32 vcc, v1, v7
	s_nop 1
	v_cndmask_b32_e32 v6, v6, v8, vcc
	v_cndmask_b32_e32 v3, v8, v3, vcc
	v_add_u32_e32 v7, -1, v6
	v_cmp_ge_i32_e32 vcc, v3, v6
	v_cmp_eq_u32_e64 s[2:3], v3, v7
	s_or_b64 s[2:3], vcc, s[2:3]
	s_and_b64 s[2:3], exec, s[2:3]
	s_or_b64 s[16:17], s[2:3], s[16:17]
	s_andn2_b64 exec, exec, s[16:17]
	s_cbranch_execnz .LBB83_86
; %bb.87:
	s_or_b64 exec, exec, s[16:17]
.LBB83_88:
	v_ashrrev_i32_e32 v7, 31, v6
	v_lshl_add_u64 v[8:9], v[6:7], 2, s[12:13]
	global_load_dword v7, v[8:9], off
	global_load_dword v10, v[4:5], off offset:1024
	s_waitcnt vmcnt(1)
	v_subrev_u32_e32 v7, s22, v7
	v_cmp_lt_i32_e32 vcc, v1, v7
	s_nop 1
	v_cndmask_b32_e32 v8, v6, v3, vcc
	s_waitcnt vmcnt(0)
	v_subrev_u32_e32 v6, s22, v10
	v_cmp_ne_u32_e32 vcc, v6, v8
	s_and_saveexec_b64 s[16:17], vcc
	s_cbranch_execz .LBB83_94
; %bb.89:
	s_load_dword s2, s[14:15], 0x0
	s_waitcnt lgkmcnt(0)
	s_sub_i32 s2, s2, s22
	v_cmp_gt_i32_e32 vcc, s2, v1
	s_and_b64 exec, exec, vcc
	s_cbranch_execz .LBB83_94
; %bb.90:
	v_ashrrev_i32_e32 v9, 31, v8
	v_lshl_add_u64 v[8:9], v[8:9], 3, s[18:19]
	global_load_dwordx2 v[8:9], v[8:9], off
	ds_read_b64 v[10:11], v16 offset:2048
	v_cmp_gt_i32_e32 vcc, s29, v6
	v_cmp_le_i32_e64 s[2:3], s21, v6
	s_or_b64 s[2:3], vcc, s[2:3]
	s_waitcnt vmcnt(0) lgkmcnt(0)
	v_mul_f32_e64 v1, v9, -v11
	v_mul_f32_e32 v3, v9, v10
	v_fmac_f32_e32 v1, v10, v8
	v_fmac_f32_e32 v3, v11, v8
	s_and_saveexec_b64 s[26:27], s[2:3]
	s_xor_b64 s[2:3], exec, s[26:27]
	s_cbranch_execz .LBB83_92
; %bb.91:
	v_ashrrev_i32_e32 v7, 31, v6
	v_lshl_add_u64 v[8:9], v[6:7], 3, s[10:11]
	global_atomic_add_f32 v[8:9], v1, off
	global_atomic_add_f32 v[8:9], v3, off offset:4
                                        ; implicit-def: $vgpr1
                                        ; implicit-def: $vgpr3
.LBB83_92:
	s_andn2_saveexec_b64 s[2:3], s[2:3]
	s_cbranch_execz .LBB83_94
; %bb.93:
	v_subrev_u32_e32 v7, s29, v6
	v_mov_b32_e32 v8, 0x2000
	v_lshl_add_u32 v7, v7, 3, v8
	ds_add_f32 v7, v1
	ds_add_f32 v7, v3 offset:4
.LBB83_94:
	s_or_b64 exec, exec, s[16:17]
	v_ashrrev_i32_e32 v7, 31, v6
	v_lshl_add_u64 v[6:7], v[6:7], 3, s[18:19]
	global_load_dwordx2 v[8:9], v[6:7], off
	ds_read_b64 v[10:11], v16 offset:2048
	v_add_u32_e32 v1, 0x200, v2
	s_and_b64 vcc, exec, s[0:1]
	v_mov_b32_e32 v6, s20
	s_waitcnt lgkmcnt(0)
	v_xor_b32_e32 v2, 0x80000000, v11
	v_mov_b32_e32 v3, v10
	s_waitcnt vmcnt(0)
	v_pk_mul_f32 v[2:3], v[8:9], v[2:3] op_sel:[1,0]
	s_nop 0
	v_pk_fma_f32 v[2:3], v[10:11], v[8:9], v[2:3] op_sel_hi:[1,0,1]
	ds_write_b64 v16, v[2:3] offset:2048
	v_mov_b32_e32 v2, s24
	s_cbranch_vccnz .LBB83_98
; %bb.95:
	s_mov_b64 s[16:17], 0
	v_mov_b32_e32 v6, s20
	v_mov_b32_e32 v2, s24
.LBB83_96:                              ; =>This Inner Loop Header: Depth=1
	v_add_u32_e32 v3, v2, v6
	v_lshrrev_b32_e32 v7, 31, v3
	v_add_u32_e32 v3, v3, v7
	v_ashrrev_i32_e32 v8, 1, v3
	v_ashrrev_i32_e32 v9, 31, v8
	v_lshl_add_u64 v[10:11], v[8:9], 2, s[12:13]
	global_load_dword v3, v[10:11], off
	s_waitcnt vmcnt(0)
	v_subrev_u32_e32 v3, s22, v3
	v_cmp_lt_i32_e32 vcc, v1, v3
	s_nop 1
	v_cndmask_b32_e32 v2, v2, v8, vcc
	v_cndmask_b32_e32 v6, v8, v6, vcc
	v_add_u32_e32 v3, -1, v2
	v_cmp_ge_i32_e32 vcc, v6, v2
	v_cmp_eq_u32_e64 s[2:3], v6, v3
	s_or_b64 s[2:3], vcc, s[2:3]
	s_and_b64 s[2:3], exec, s[2:3]
	s_or_b64 s[16:17], s[2:3], s[16:17]
	s_andn2_b64 exec, exec, s[16:17]
	s_cbranch_execnz .LBB83_96
; %bb.97:
	s_or_b64 exec, exec, s[16:17]
.LBB83_98:
	v_ashrrev_i32_e32 v3, 31, v2
	v_lshl_add_u64 v[8:9], v[2:3], 2, s[12:13]
	global_load_dword v3, v[8:9], off
	global_load_dword v7, v[4:5], off offset:2048
	s_waitcnt vmcnt(1)
	v_subrev_u32_e32 v3, s22, v3
	v_cmp_lt_i32_e32 vcc, v1, v3
	s_nop 1
	v_cndmask_b32_e32 v6, v2, v6, vcc
	s_waitcnt vmcnt(0)
	v_subrev_u32_e32 v2, s22, v7
	v_cmp_ne_u32_e32 vcc, v2, v6
	s_and_saveexec_b64 s[16:17], vcc
	s_cbranch_execz .LBB83_104
; %bb.99:
	s_load_dword s2, s[14:15], 0x0
	s_waitcnt lgkmcnt(0)
	s_sub_i32 s2, s2, s22
	v_cmp_gt_i32_e32 vcc, s2, v1
	s_and_b64 exec, exec, vcc
	s_cbranch_execz .LBB83_104
; %bb.100:
	v_ashrrev_i32_e32 v7, 31, v6
	v_lshl_add_u64 v[6:7], v[6:7], 3, s[18:19]
	global_load_dwordx2 v[8:9], v[6:7], off
	ds_read_b64 v[10:11], v16 offset:4096
	v_cmp_gt_i32_e32 vcc, s29, v2
	v_cmp_le_i32_e64 s[2:3], s21, v2
	s_or_b64 s[2:3], vcc, s[2:3]
	s_waitcnt vmcnt(0) lgkmcnt(0)
	v_mul_f32_e64 v1, v9, -v11
	v_mul_f32_e32 v6, v9, v10
	v_fmac_f32_e32 v1, v10, v8
	v_fmac_f32_e32 v6, v11, v8
	s_and_saveexec_b64 s[26:27], s[2:3]
	s_xor_b64 s[2:3], exec, s[26:27]
	s_cbranch_execz .LBB83_102
; %bb.101:
	v_ashrrev_i32_e32 v3, 31, v2
	v_lshl_add_u64 v[8:9], v[2:3], 3, s[10:11]
	global_atomic_add_f32 v[8:9], v1, off
	global_atomic_add_f32 v[8:9], v6, off offset:4
                                        ; implicit-def: $vgpr1
                                        ; implicit-def: $vgpr6
.LBB83_102:
	s_andn2_saveexec_b64 s[2:3], s[2:3]
	s_cbranch_execz .LBB83_104
; %bb.103:
	v_subrev_u32_e32 v3, s29, v2
	v_mov_b32_e32 v7, 0x2000
	v_lshl_add_u32 v3, v3, 3, v7
	ds_add_f32 v3, v1
	ds_add_f32 v3, v6 offset:4
.LBB83_104:
	s_or_b64 exec, exec, s[16:17]
	v_ashrrev_i32_e32 v3, 31, v2
	v_lshl_add_u64 v[2:3], v[2:3], 3, s[18:19]
	global_load_dwordx2 v[2:3], v[2:3], off
	ds_read_b64 v[6:7], v16 offset:4096
	s_and_b64 vcc, exec, s[0:1]
	v_mov_b32_e32 v1, s20
	s_waitcnt lgkmcnt(0)
	v_xor_b32_e32 v8, 0x80000000, v7
	v_mov_b32_e32 v9, v6
	s_waitcnt vmcnt(0)
	v_pk_mul_f32 v[8:9], v[2:3], v[8:9] op_sel:[1,0]
	s_nop 0
	v_pk_fma_f32 v[2:3], v[6:7], v[2:3], v[8:9] op_sel_hi:[1,0,1]
	ds_write_b64 v16, v[2:3] offset:4096
	v_mov_b32_e32 v2, s24
	s_cbranch_vccnz .LBB83_108
; %bb.105:
	s_mov_b64 s[2:3], 0
	v_mov_b32_e32 v1, s20
	v_mov_b32_e32 v2, s24
.LBB83_106:                             ; =>This Inner Loop Header: Depth=1
	v_add_u32_e32 v3, v2, v1
	v_lshrrev_b32_e32 v6, 31, v3
	v_add_u32_e32 v3, v3, v6
	v_ashrrev_i32_e32 v6, 1, v3
	v_ashrrev_i32_e32 v7, 31, v6
	v_lshl_add_u64 v[8:9], v[6:7], 2, s[12:13]
	global_load_dword v3, v[8:9], off
	s_waitcnt vmcnt(0)
	v_subrev_u32_e32 v3, s22, v3
	v_cmp_lt_i32_e32 vcc, v17, v3
	s_nop 1
	v_cndmask_b32_e32 v2, v2, v6, vcc
	v_cndmask_b32_e32 v1, v6, v1, vcc
	v_add_u32_e32 v3, -1, v2
	v_cmp_ge_i32_e32 vcc, v1, v2
	v_cmp_eq_u32_e64 s[0:1], v1, v3
	s_or_b64 s[0:1], vcc, s[0:1]
	s_and_b64 s[0:1], exec, s[0:1]
	s_or_b64 s[2:3], s[0:1], s[2:3]
	s_andn2_b64 exec, exec, s[2:3]
	s_cbranch_execnz .LBB83_106
; %bb.107:
	s_or_b64 exec, exec, s[2:3]
.LBB83_108:
	v_ashrrev_i32_e32 v3, 31, v2
	v_lshl_add_u64 v[6:7], v[2:3], 2, s[12:13]
	global_load_dword v3, v[6:7], off
	global_load_dword v8, v[4:5], off offset:3072
	s_waitcnt vmcnt(1)
	v_subrev_u32_e32 v3, s22, v3
	v_cmp_lt_i32_e32 vcc, v17, v3
	s_nop 1
	v_cndmask_b32_e32 v4, v2, v1, vcc
	s_waitcnt vmcnt(0)
	v_subrev_u32_e32 v2, s22, v8
	v_cmp_ne_u32_e32 vcc, v2, v4
	s_and_saveexec_b64 s[2:3], vcc
	s_cbranch_execz .LBB83_114
; %bb.109:
	s_load_dword s0, s[14:15], 0x0
	s_waitcnt lgkmcnt(0)
	s_sub_i32 s0, s0, s22
	v_cmp_gt_i32_e32 vcc, s0, v17
	s_and_b64 exec, exec, vcc
	s_cbranch_execz .LBB83_114
; %bb.110:
	v_ashrrev_i32_e32 v5, 31, v4
	v_lshl_add_u64 v[4:5], v[4:5], 3, s[18:19]
	global_load_dwordx2 v[6:7], v[4:5], off
	ds_read_b64 v[8:9], v16 offset:6144
	v_cmp_gt_i32_e32 vcc, s29, v2
	v_cmp_le_i32_e64 s[0:1], s21, v2
	s_or_b64 s[0:1], vcc, s[0:1]
	s_waitcnt vmcnt(0) lgkmcnt(0)
	v_mul_f32_e64 v1, v7, -v9
	v_mul_f32_e32 v4, v7, v8
	v_fmac_f32_e32 v1, v8, v6
	v_fmac_f32_e32 v4, v9, v6
	s_and_saveexec_b64 s[14:15], s[0:1]
	s_xor_b64 s[0:1], exec, s[14:15]
	s_cbranch_execz .LBB83_112
; %bb.111:
	v_ashrrev_i32_e32 v3, 31, v2
	v_lshl_add_u64 v[6:7], v[2:3], 3, s[10:11]
	global_atomic_add_f32 v[6:7], v1, off
	global_atomic_add_f32 v[6:7], v4, off offset:4
                                        ; implicit-def: $vgpr1
                                        ; implicit-def: $vgpr4
.LBB83_112:
	s_andn2_saveexec_b64 s[0:1], s[0:1]
	s_cbranch_execz .LBB83_114
; %bb.113:
	v_subrev_u32_e32 v3, s29, v2
	v_mov_b32_e32 v5, 0x2000
	v_lshl_add_u32 v3, v3, 3, v5
	ds_add_f32 v3, v1
	ds_add_f32 v3, v4 offset:4
.LBB83_114:
	s_or_b64 exec, exec, s[2:3]
	v_ashrrev_i32_e32 v3, 31, v2
	v_lshl_add_u64 v[2:3], v[2:3], 3, s[18:19]
	global_load_dwordx2 v[2:3], v[2:3], off
	ds_read_b64 v[4:5], v16 offset:6144
	s_waitcnt lgkmcnt(0)
	v_xor_b32_e32 v6, 0x80000000, v5
	v_mov_b32_e32 v7, v4
	s_waitcnt vmcnt(0)
	v_pk_mul_f32 v[6:7], v[2:3], v[6:7] op_sel:[1,0]
	s_nop 0
	v_pk_fma_f32 v[2:3], v[4:5], v[2:3], v[6:7] op_sel_hi:[1,0,1]
	ds_write_b64 v16, v[2:3] offset:6144
.LBB83_115:
	s_or_b64 exec, exec, s[8:9]
	s_min_i32 s7, s21, s7
	s_sub_i32 s14, s7, s23
	v_cmp_gt_i32_e32 vcc, s14, v0
	s_waitcnt lgkmcnt(0)
	s_barrier
	s_and_saveexec_b64 s[0:1], vcc
	s_cbranch_execz .LBB83_118
; %bb.116:
	v_mov_b32_e32 v1, 0x2000
	v_lshl_add_u32 v1, v0, 3, v1
	s_mov_b64 s[2:3], 0
	v_mov_b32_e32 v2, v0
.LBB83_117:                             ; =>This Inner Loop Header: Depth=1
	ds_read2_b32 v[4:5], v1 offset1:1
	v_add_u32_e32 v6, s29, v2
	v_ashrrev_i32_e32 v7, 31, v6
	v_lshl_add_u64 v[6:7], v[6:7], 3, s[10:11]
	v_add_u32_e32 v2, 0x100, v2
	s_waitcnt lgkmcnt(0)
	global_atomic_add_f32 v[6:7], v4, off
	global_atomic_add_f32 v[6:7], v5, off offset:4
	v_cmp_le_i32_e32 vcc, s14, v2
	s_or_b64 s[2:3], vcc, s[2:3]
	v_add_u32_e32 v1, 0x800, v1
	s_andn2_b64 exec, exec, s[2:3]
	s_cbranch_execnz .LBB83_117
.LBB83_118:
	s_or_b64 exec, exec, s[0:1]
	s_mul_i32 s0, s6, s23
	s_sub_i32 s0, s28, s0
	s_add_i32 s1, s6, 1
	s_sub_i32 s2, s0, s23
	s_cmp_ge_u32 s0, s23
	s_cselect_b32 s1, s1, s6
	s_cselect_b32 s0, s2, s0
	s_add_i32 s2, s1, 1
	s_cmp_ge_u32 s0, s23
	s_cselect_b32 s0, s2, s1
	s_add_i32 s0, s0, -1
	s_ashr_i32 s1, s0, 1
	s_or_b32 s0, s1, s0
	s_ashr_i32 s1, s0, 2
	s_or_b32 s0, s1, s0
	;; [unrolled: 2-line block ×5, first 2 shown]
	s_add_i32 s0, s0, 1
	s_ashr_i32 s15, s0, 1
	v_add_u32_e32 v2, s20, v0
	s_cmp_gt_i32 s15, 1
	s_mov_b64 s[0:1], -1
	s_barrier
	s_cbranch_scc1 .LBB83_127
; %bb.119:
	v_cmp_gt_i32_e32 vcc, s21, v2
	s_and_saveexec_b64 s[0:1], vcc
	s_cbranch_execz .LBB83_126
; %bb.120:
	s_sub_i32 s2, s7, s21
	s_lshl_b32 s2, s2, 3
	s_add_i32 s16, s2, 0x2000
	s_lshl_b32 s2, s33, 3
	s_sub_i32 s17, 0, s2
	s_mov_b64 s[2:3], 0
	v_mov_b32_e32 v4, v2
	s_branch .LBB83_122
.LBB83_121:                             ;   in Loop: Header=BB83_122 Depth=1
	s_or_b64 exec, exec, s[6:7]
	v_lshl_add_u32 v1, v4, 3, s16
	ds_read2_b32 v[8:9], v1 offset1:1
	s_waitcnt lgkmcnt(0)
	v_add_f32_e32 v1, v6, v8
	v_add_f32_e32 v3, v7, v9
	v_lshl_add_u64 v[6:7], v[4:5], 3, s[10:11]
	global_atomic_add_f32 v[6:7], v1, off
	global_atomic_add_f32 v[6:7], v3, off offset:4
	v_add_u32_e32 v4, s28, v4
	v_cmp_le_i32_e32 vcc, s21, v4
	s_or_b64 s[2:3], vcc, s[2:3]
	s_andn2_b64 exec, exec, s[2:3]
	s_cbranch_execz .LBB83_126
.LBB83_122:                             ; =>This Loop Header: Depth=1
                                        ;     Child Loop BB83_124 Depth 2
	v_ashrrev_i32_e32 v5, 31, v4
	v_lshl_add_u64 v[6:7], v[4:5], 2, s[12:13]
	global_load_dwordx2 v[8:9], v[6:7], off
	v_mov_b32_e32 v7, 0
	v_mov_b32_e32 v6, v7
	s_waitcnt vmcnt(0)
	v_cmp_lt_i32_e32 vcc, v8, v9
	s_and_saveexec_b64 s[6:7], vcc
	s_cbranch_execz .LBB83_121
; %bb.123:                              ;   in Loop: Header=BB83_122 Depth=1
	v_mov_b32_e32 v6, 0
	v_subrev_u32_e32 v1, s33, v9
	v_subrev_u32_e32 v3, s33, v8
	v_lshl_add_u32 v8, v8, 3, s17
	s_mov_b64 s[8:9], 0
	v_mov_b32_e32 v7, v6
.LBB83_124:                             ;   Parent Loop BB83_122 Depth=1
                                        ; =>  This Inner Loop Header: Depth=2
	ds_read_b64 v[10:11], v8
	v_add_u32_e32 v3, 1, v3
	v_cmp_ge_i32_e32 vcc, v3, v1
	v_add_u32_e32 v8, 8, v8
	s_or_b64 s[8:9], vcc, s[8:9]
	s_waitcnt lgkmcnt(0)
	v_pk_add_f32 v[6:7], v[6:7], v[10:11]
	s_andn2_b64 exec, exec, s[8:9]
	s_cbranch_execnz .LBB83_124
; %bb.125:                              ;   in Loop: Header=BB83_122 Depth=1
	s_or_b64 exec, exec, s[8:9]
	s_branch .LBB83_121
.LBB83_126:
	s_or_b64 exec, exec, s[0:1]
	s_mov_b64 s[0:1], 0
.LBB83_127:
	s_andn2_b64 vcc, exec, s[0:1]
	s_cbranch_vccnz .LBB83_140
; %bb.128:
	v_cvt_f32_u32_e32 v1, s15
	s_sub_i32 s0, 0, s15
	v_mov_b32_e32 v5, 0
	v_rcp_iflag_f32_e32 v1, v1
	s_nop 0
	v_mul_f32_e32 v1, 0x4f7ffffe, v1
	v_cvt_u32_f32_e32 v1, v1
	v_mul_lo_u32 v3, s0, v1
	v_mul_hi_u32 v3, v1, v3
	v_add_u32_e32 v1, v1, v3
	v_mul_hi_u32 v1, v0, v1
	v_mul_lo_u32 v3, v1, s15
	v_sub_u32_e32 v3, v0, v3
	v_add_u32_e32 v4, 1, v1
	v_cmp_le_u32_e32 vcc, s15, v3
	s_nop 1
	v_cndmask_b32_e32 v1, v1, v4, vcc
	v_subrev_u32_e32 v4, s15, v3
	v_cndmask_b32_e32 v3, v3, v4, vcc
	v_add_u32_e32 v4, 1, v1
	v_cmp_le_u32_e32 vcc, s15, v3
	s_nop 1
	v_cndmask_b32_e32 v1, v1, v4, vcc
	v_lshlrev_b32_e32 v3, 2, v1
	global_load_dwordx2 v[6:7], v3, s[4:5]
	v_cmp_gt_i32_e32 vcc, s23, v1
	v_mov_b32_e32 v4, 0
	s_and_saveexec_b64 s[0:1], vcc
	s_cbranch_execz .LBB83_136
; %bb.129:
	s_abs_i32 s4, s15
	v_cvt_f32_u32_e32 v3, s4
	s_waitcnt vmcnt(0)
	v_subrev_u32_e32 v6, s33, v6
	v_subrev_u32_e32 v1, s33, v7
	v_sub_u32_e32 v4, v1, v6
	v_rcp_iflag_f32_e32 v3, v3
	s_sub_i32 s2, 0, s4
	v_sub_u32_e32 v5, 0, v4
	v_ashrrev_i32_e32 v7, 31, v4
	v_mul_f32_e32 v3, 0x4f7ffffe, v3
	v_cvt_u32_f32_e32 v3, v3
	v_max_i32_e32 v8, v4, v5
	s_ashr_i32 s5, s15, 31
	v_mul_lo_u32 v4, s2, v3
	v_mul_hi_u32 v4, v3, v4
	v_add_u32_e32 v3, v3, v4
	v_mad_u64_u32 v[4:5], s[2:3], v8, v3, 0
	v_mul_lo_u32 v4, v5, s4
	v_sub_u32_e32 v4, v8, v4
	v_xor_b32_e32 v3, s5, v7
	v_add_u32_e32 v7, 1, v5
	v_cmp_le_u32_e32 vcc, s4, v4
	s_add_i32 s2, s15, -1
	v_and_b32_e32 v8, s2, v0
	v_cndmask_b32_e32 v5, v5, v7, vcc
	v_subrev_u32_e32 v7, s4, v4
	v_cndmask_b32_e32 v4, v4, v7, vcc
	v_add_u32_e32 v7, 1, v5
	v_cmp_le_u32_e32 vcc, s4, v4
	s_nop 1
	v_cndmask_b32_e32 v4, v5, v7, vcc
	v_xor_b32_e32 v4, v4, v3
	v_sub_u32_e32 v7, v4, v3
	v_mov_b32_e32 v5, 0
	v_cmp_lt_i32_e32 vcc, 0, v7
	v_lshlrev_b32_e32 v3, 3, v8
	v_mov_b32_e32 v4, v5
	s_and_saveexec_b64 s[2:3], vcc
	s_cbranch_execz .LBB83_133
; %bb.130:
	v_mov_b32_e32 v4, 0
	v_lshl_add_u32 v9, v6, 3, v3
	s_lshl_b32 s6, s15, 3
	s_mov_b64 s[4:5], 0
	v_mov_b32_e32 v10, v7
	v_mov_b32_e32 v5, v4
.LBB83_131:                             ; =>This Inner Loop Header: Depth=1
	ds_read_b64 v[12:13], v9
	v_add_u32_e32 v10, -1, v10
	v_cmp_eq_u32_e32 vcc, 0, v10
	v_add_u32_e32 v9, s6, v9
	s_or_b64 s[4:5], vcc, s[4:5]
	s_waitcnt lgkmcnt(0)
	v_pk_add_f32 v[4:5], v[4:5], v[12:13]
	s_andn2_b64 exec, exec, s[4:5]
	s_cbranch_execnz .LBB83_131
; %bb.132:
	s_or_b64 exec, exec, s[4:5]
.LBB83_133:
	s_or_b64 exec, exec, s[2:3]
	v_mad_u64_u32 v[6:7], s[2:3], v7, s15, v[6:7]
	v_sub_u32_e32 v1, v1, v6
	v_cmp_lt_i32_e32 vcc, v8, v1
	s_and_saveexec_b64 s[2:3], vcc
	s_cbranch_execz .LBB83_135
; %bb.134:
	v_lshl_add_u32 v1, v6, 3, v3
	ds_read_b64 v[6:7], v1
	s_waitcnt lgkmcnt(0)
	v_pk_add_f32 v[4:5], v[4:5], v[6:7]
.LBB83_135:
	s_or_b64 exec, exec, s[2:3]
.LBB83_136:
	s_or_b64 exec, exec, s[0:1]
	v_cmp_gt_i32_e32 vcc, s23, v0
	s_barrier
	ds_write_b64 v16, v[4:5]
	s_waitcnt lgkmcnt(0)
	s_barrier
	s_and_b64 exec, exec, vcc
	s_cbranch_execz .LBB83_140
; %bb.137:
	v_mul_lo_u32 v1, s15, v0
	v_mov_b32_e32 v4, 0
	v_lshlrev_b32_e32 v1, 3, v1
	v_mov_b32_e32 v5, v4
.LBB83_138:                             ; =>This Inner Loop Header: Depth=1
	s_waitcnt vmcnt(0)
	ds_read_b64 v[6:7], v1
	s_add_i32 s15, s15, -1
	v_add_u32_e32 v1, 8, v1
	s_cmp_eq_u32 s15, 0
	s_waitcnt lgkmcnt(0)
	v_pk_add_f32 v[4:5], v[4:5], v[6:7]
	s_cbranch_scc0 .LBB83_138
; %bb.139:
	s_lshl_b32 s0, s14, 3
	s_addk_i32 s0, 0x2000
	v_lshl_add_u32 v0, v0, 3, s0
	ds_read2_b32 v[0:1], v0 offset1:1
	v_ashrrev_i32_e32 v3, 31, v2
	s_waitcnt lgkmcnt(0)
	v_add_f32_e32 v4, v4, v0
	v_add_f32_e32 v5, v5, v1
	v_lshl_add_u64 v[0:1], v[2:3], 3, s[10:11]
	global_atomic_add_f32 v[0:1], v4, off
	global_atomic_add_f32 v[0:1], v5, off offset:4
.LBB83_140:
	s_endpgm
	.section	.rodata,"a",@progbits
	.p2align	6, 0x0
	.amdhsa_kernel _ZN9rocsparseL27csrmvn_symm_adaptive_kernelIiif21rocsparse_complex_numIfES2_S2_EEvbT_S3_PKS3_NS_24const_host_device_scalarIT4_EES5_PKT0_PKT1_PKT2_S8_PT3_21rocsparse_index_base_b
		.amdhsa_group_segment_fixed_size 8192
		.amdhsa_private_segment_fixed_size 0
		.amdhsa_kernarg_size 344
		.amdhsa_user_sgpr_count 2
		.amdhsa_user_sgpr_dispatch_ptr 0
		.amdhsa_user_sgpr_queue_ptr 0
		.amdhsa_user_sgpr_kernarg_segment_ptr 1
		.amdhsa_user_sgpr_dispatch_id 0
		.amdhsa_user_sgpr_kernarg_preload_length 0
		.amdhsa_user_sgpr_kernarg_preload_offset 0
		.amdhsa_user_sgpr_private_segment_size 0
		.amdhsa_uses_dynamic_stack 0
		.amdhsa_enable_private_segment 0
		.amdhsa_system_sgpr_workgroup_id_x 1
		.amdhsa_system_sgpr_workgroup_id_y 0
		.amdhsa_system_sgpr_workgroup_id_z 0
		.amdhsa_system_sgpr_workgroup_info 0
		.amdhsa_system_vgpr_workitem_id 0
		.amdhsa_next_free_vgpr 28
		.amdhsa_next_free_sgpr 39
		.amdhsa_accum_offset 28
		.amdhsa_reserve_vcc 1
		.amdhsa_float_round_mode_32 0
		.amdhsa_float_round_mode_16_64 0
		.amdhsa_float_denorm_mode_32 3
		.amdhsa_float_denorm_mode_16_64 3
		.amdhsa_dx10_clamp 1
		.amdhsa_ieee_mode 1
		.amdhsa_fp16_overflow 0
		.amdhsa_tg_split 0
		.amdhsa_exception_fp_ieee_invalid_op 0
		.amdhsa_exception_fp_denorm_src 0
		.amdhsa_exception_fp_ieee_div_zero 0
		.amdhsa_exception_fp_ieee_overflow 0
		.amdhsa_exception_fp_ieee_underflow 0
		.amdhsa_exception_fp_ieee_inexact 0
		.amdhsa_exception_int_div_zero 0
	.end_amdhsa_kernel
	.section	.text._ZN9rocsparseL27csrmvn_symm_adaptive_kernelIiif21rocsparse_complex_numIfES2_S2_EEvbT_S3_PKS3_NS_24const_host_device_scalarIT4_EES5_PKT0_PKT1_PKT2_S8_PT3_21rocsparse_index_base_b,"axG",@progbits,_ZN9rocsparseL27csrmvn_symm_adaptive_kernelIiif21rocsparse_complex_numIfES2_S2_EEvbT_S3_PKS3_NS_24const_host_device_scalarIT4_EES5_PKT0_PKT1_PKT2_S8_PT3_21rocsparse_index_base_b,comdat
.Lfunc_end83:
	.size	_ZN9rocsparseL27csrmvn_symm_adaptive_kernelIiif21rocsparse_complex_numIfES2_S2_EEvbT_S3_PKS3_NS_24const_host_device_scalarIT4_EES5_PKT0_PKT1_PKT2_S8_PT3_21rocsparse_index_base_b, .Lfunc_end83-_ZN9rocsparseL27csrmvn_symm_adaptive_kernelIiif21rocsparse_complex_numIfES2_S2_EEvbT_S3_PKS3_NS_24const_host_device_scalarIT4_EES5_PKT0_PKT1_PKT2_S8_PT3_21rocsparse_index_base_b
                                        ; -- End function
	.set _ZN9rocsparseL27csrmvn_symm_adaptive_kernelIiif21rocsparse_complex_numIfES2_S2_EEvbT_S3_PKS3_NS_24const_host_device_scalarIT4_EES5_PKT0_PKT1_PKT2_S8_PT3_21rocsparse_index_base_b.num_vgpr, 28
	.set _ZN9rocsparseL27csrmvn_symm_adaptive_kernelIiif21rocsparse_complex_numIfES2_S2_EEvbT_S3_PKS3_NS_24const_host_device_scalarIT4_EES5_PKT0_PKT1_PKT2_S8_PT3_21rocsparse_index_base_b.num_agpr, 0
	.set _ZN9rocsparseL27csrmvn_symm_adaptive_kernelIiif21rocsparse_complex_numIfES2_S2_EEvbT_S3_PKS3_NS_24const_host_device_scalarIT4_EES5_PKT0_PKT1_PKT2_S8_PT3_21rocsparse_index_base_b.numbered_sgpr, 39
	.set _ZN9rocsparseL27csrmvn_symm_adaptive_kernelIiif21rocsparse_complex_numIfES2_S2_EEvbT_S3_PKS3_NS_24const_host_device_scalarIT4_EES5_PKT0_PKT1_PKT2_S8_PT3_21rocsparse_index_base_b.num_named_barrier, 0
	.set _ZN9rocsparseL27csrmvn_symm_adaptive_kernelIiif21rocsparse_complex_numIfES2_S2_EEvbT_S3_PKS3_NS_24const_host_device_scalarIT4_EES5_PKT0_PKT1_PKT2_S8_PT3_21rocsparse_index_base_b.private_seg_size, 0
	.set _ZN9rocsparseL27csrmvn_symm_adaptive_kernelIiif21rocsparse_complex_numIfES2_S2_EEvbT_S3_PKS3_NS_24const_host_device_scalarIT4_EES5_PKT0_PKT1_PKT2_S8_PT3_21rocsparse_index_base_b.uses_vcc, 1
	.set _ZN9rocsparseL27csrmvn_symm_adaptive_kernelIiif21rocsparse_complex_numIfES2_S2_EEvbT_S3_PKS3_NS_24const_host_device_scalarIT4_EES5_PKT0_PKT1_PKT2_S8_PT3_21rocsparse_index_base_b.uses_flat_scratch, 0
	.set _ZN9rocsparseL27csrmvn_symm_adaptive_kernelIiif21rocsparse_complex_numIfES2_S2_EEvbT_S3_PKS3_NS_24const_host_device_scalarIT4_EES5_PKT0_PKT1_PKT2_S8_PT3_21rocsparse_index_base_b.has_dyn_sized_stack, 0
	.set _ZN9rocsparseL27csrmvn_symm_adaptive_kernelIiif21rocsparse_complex_numIfES2_S2_EEvbT_S3_PKS3_NS_24const_host_device_scalarIT4_EES5_PKT0_PKT1_PKT2_S8_PT3_21rocsparse_index_base_b.has_recursion, 0
	.set _ZN9rocsparseL27csrmvn_symm_adaptive_kernelIiif21rocsparse_complex_numIfES2_S2_EEvbT_S3_PKS3_NS_24const_host_device_scalarIT4_EES5_PKT0_PKT1_PKT2_S8_PT3_21rocsparse_index_base_b.has_indirect_call, 0
	.section	.AMDGPU.csdata,"",@progbits
; Kernel info:
; codeLenInByte = 6320
; TotalNumSgprs: 45
; NumVgprs: 28
; NumAgprs: 0
; TotalNumVgprs: 28
; ScratchSize: 0
; MemoryBound: 0
; FloatMode: 240
; IeeeMode: 1
; LDSByteSize: 8192 bytes/workgroup (compile time only)
; SGPRBlocks: 5
; VGPRBlocks: 3
; NumSGPRsForWavesPerEU: 45
; NumVGPRsForWavesPerEU: 28
; AccumOffset: 28
; Occupancy: 8
; WaveLimiterHint : 1
; COMPUTE_PGM_RSRC2:SCRATCH_EN: 0
; COMPUTE_PGM_RSRC2:USER_SGPR: 2
; COMPUTE_PGM_RSRC2:TRAP_HANDLER: 0
; COMPUTE_PGM_RSRC2:TGID_X_EN: 1
; COMPUTE_PGM_RSRC2:TGID_Y_EN: 0
; COMPUTE_PGM_RSRC2:TGID_Z_EN: 0
; COMPUTE_PGM_RSRC2:TIDIG_COMP_CNT: 0
; COMPUTE_PGM_RSRC3_GFX90A:ACCUM_OFFSET: 6
; COMPUTE_PGM_RSRC3_GFX90A:TG_SPLIT: 0
	.section	.text._ZL33csrmvn_symm_large_adaptive_kernelIiif21rocsparse_complex_numIfES1_S1_EvbT_PKS2_N9rocsparse24const_host_device_scalarIT4_EES4_PKT0_PKT1_PKT2_S8_PT3_21rocsparse_index_base_b,"axG",@progbits,_ZL33csrmvn_symm_large_adaptive_kernelIiif21rocsparse_complex_numIfES1_S1_EvbT_PKS2_N9rocsparse24const_host_device_scalarIT4_EES4_PKT0_PKT1_PKT2_S8_PT3_21rocsparse_index_base_b,comdat
	.globl	_ZL33csrmvn_symm_large_adaptive_kernelIiif21rocsparse_complex_numIfES1_S1_EvbT_PKS2_N9rocsparse24const_host_device_scalarIT4_EES4_PKT0_PKT1_PKT2_S8_PT3_21rocsparse_index_base_b ; -- Begin function _ZL33csrmvn_symm_large_adaptive_kernelIiif21rocsparse_complex_numIfES1_S1_EvbT_PKS2_N9rocsparse24const_host_device_scalarIT4_EES4_PKT0_PKT1_PKT2_S8_PT3_21rocsparse_index_base_b
	.p2align	8
	.type	_ZL33csrmvn_symm_large_adaptive_kernelIiif21rocsparse_complex_numIfES1_S1_EvbT_PKS2_N9rocsparse24const_host_device_scalarIT4_EES4_PKT0_PKT1_PKT2_S8_PT3_21rocsparse_index_base_b,@function
_ZL33csrmvn_symm_large_adaptive_kernelIiif21rocsparse_complex_numIfES1_S1_EvbT_PKS2_N9rocsparse24const_host_device_scalarIT4_EES4_PKT0_PKT1_PKT2_S8_PT3_21rocsparse_index_base_b: ; @_ZL33csrmvn_symm_large_adaptive_kernelIiif21rocsparse_complex_numIfES1_S1_EvbT_PKS2_N9rocsparse24const_host_device_scalarIT4_EES4_PKT0_PKT1_PKT2_S8_PT3_21rocsparse_index_base_b
; %bb.0:
	s_load_dwordx2 s[16:17], s[0:1], 0x48
	s_load_dwordx2 s[4:5], s[0:1], 0x10
	s_add_u32 s3, s0, 16
	s_addc_u32 s10, s1, 0
	s_waitcnt lgkmcnt(0)
	s_bitcmp1_b32 s17, 0
	s_cselect_b64 s[8:9], -1, 0
	s_and_b64 s[6:7], s[8:9], exec
	s_cselect_b32 s5, s10, s5
	s_cselect_b32 s3, s3, s4
	v_mov_b32_e32 v2, s3
	v_mov_b32_e32 v3, s5
	flat_load_dwordx2 v[2:3], v[2:3]
	s_waitcnt vmcnt(0) lgkmcnt(0)
	v_cmp_eq_f32_e32 vcc, 0, v2
	v_cmp_eq_f32_e64 s[4:5], 0, v3
	s_and_b64 s[10:11], vcc, s[4:5]
	s_mov_b64 s[4:5], -1
	s_and_saveexec_b64 s[6:7], s[10:11]
	s_cbranch_execz .LBB84_2
; %bb.1:
	s_load_dwordx2 s[4:5], s[0:1], 0x38
	s_add_u32 s3, s0, 56
	s_addc_u32 s10, s1, 0
	s_and_b64 s[8:9], s[8:9], exec
	s_waitcnt lgkmcnt(0)
	s_cselect_b32 s5, s10, s5
	s_cselect_b32 s3, s3, s4
	v_mov_b32_e32 v4, s3
	v_mov_b32_e32 v5, s5
	flat_load_dwordx2 v[4:5], v[4:5]
	s_waitcnt vmcnt(0) lgkmcnt(0)
	v_cmp_neq_f32_e32 vcc, 1.0, v4
	v_cmp_neq_f32_e64 s[4:5], 0, v5
	s_or_b64 s[4:5], vcc, s[4:5]
	s_orn2_b64 s[4:5], s[4:5], exec
.LBB84_2:
	s_or_b64 exec, exec, s[6:7]
	s_and_saveexec_b64 s[6:7], s[4:5]
	s_cbranch_execz .LBB84_36
; %bb.3:
	s_load_dwordx2 s[4:5], s[0:1], 0x8
	s_ashr_i32 s3, s2, 31
	s_mov_b32 s6, 0
	s_lshl_b64 s[2:3], s[2:3], 2
	s_mov_b32 s7, s6
	s_waitcnt lgkmcnt(0)
	s_add_u32 s2, s4, s2
	v_lshlrev_b32_e32 v14, 3, v0
	v_mov_b64_e32 v[4:5], s[6:7]
	s_addc_u32 s3, s5, s3
	ds_write2st64_b64 v14, v[4:5], v[4:5] offset1:4
	ds_write2st64_b64 v14, v[4:5], v[4:5] offset0:8 offset1:12
	s_waitcnt lgkmcnt(0)
	s_barrier
	s_load_dwordx2 s[18:19], s[2:3], 0x0
	s_load_dwordx8 s[8:15], s[0:1], 0x18
	s_load_dwordx2 s[20:21], s[0:1], 0x40
	v_subrev_u32_e32 v15, s16, v0
	s_waitcnt lgkmcnt(0)
	s_cmp_ge_i32 s18, s19
	s_cbranch_scc1 .LBB84_27
; %bb.4:
	v_cmp_gt_u32_e32 vcc, 64, v0
	v_cmp_gt_u32_e64 s[0:1], 16, v0
	v_cmp_gt_u32_e64 s[2:3], 4, v0
	v_cmp_eq_u32_e64 s[4:5], 0, v0
	v_mov_b32_e32 v1, 0
	v_bfrev_b32_e32 v4, 1
	s_mov_b64 s[22:23], 0x400
	s_mov_b32 s24, s18
	s_branch .LBB84_6
.LBB84_5:                               ;   in Loop: Header=BB84_6 Depth=1
	s_or_b64 exec, exec, s[26:27]
	s_add_i32 s24, s24, 1
	s_cmp_ge_i32 s24, s19
	s_cbranch_scc1 .LBB84_27
.LBB84_6:                               ; =>This Loop Header: Depth=1
                                        ;     Child Loop BB84_8 Depth 2
                                        ;     Child Loop BB84_20 Depth 2
                                        ;     Child Loop BB84_24 Depth 2
	s_ashr_i32 s25, s24, 31
	s_lshl_b64 s[6:7], s[24:25], 2
	s_add_u32 s6, s8, s6
	s_addc_u32 s7, s9, s7
	s_load_dwordx2 s[26:27], s[6:7], 0x0
	v_mov_b32_e32 v7, v1
	v_mov_b32_e32 v6, v1
	s_waitcnt lgkmcnt(0)
	v_add_u32_e32 v8, s26, v15
	s_sub_i32 s17, s27, s16
	v_cmp_gt_i32_e64 s[6:7], s17, v8
	s_and_saveexec_b64 s[26:27], s[6:7]
	s_cbranch_execz .LBB84_10
; %bb.7:                                ;   in Loop: Header=BB84_6 Depth=1
	v_ashrrev_i32_e32 v9, 31, v8
	v_lshlrev_b64 v[6:7], 2, v[8:9]
	v_lshl_add_u64 v[10:11], s[10:11], 0, v[6:7]
	v_lshl_add_u64 v[12:13], s[12:13], 0, v[6:7]
	v_mov_b32_e32 v6, 0
	s_mov_b64 s[28:29], 0
	v_mov_b32_e32 v7, v6
.LBB84_8:                               ;   Parent Loop BB84_6 Depth=1
                                        ; =>  This Inner Loop Header: Depth=2
	global_load_dword v5, v[10:11], off
	global_load_dword v0, v[12:13], off
	v_add_u32_e32 v8, 0x100, v8
	v_cmp_le_i32_e64 s[6:7], s17, v8
	v_lshl_add_u64 v[10:11], v[10:11], 0, s[22:23]
	v_lshl_add_u64 v[12:13], v[12:13], 0, s[22:23]
	s_or_b64 s[28:29], s[6:7], s[28:29]
	s_waitcnt vmcnt(1)
	v_subrev_u32_e32 v16, s16, v5
	v_ashrrev_i32_e32 v17, 31, v16
	v_lshl_add_u64 v[16:17], v[16:17], 3, s[14:15]
	global_load_dwordx2 v[16:17], v[16:17], off
	s_waitcnt vmcnt(1)
	v_mov_b32_e32 v5, v0
	s_waitcnt vmcnt(0)
	v_pk_fma_f32 v[6:7], v[16:17], v[0:1], v[6:7] op_sel_hi:[0,1,1]
	v_pk_fma_f32 v[6:7], v[16:17], v[4:5], v[6:7] op_sel:[1,0,0]
	s_andn2_b64 exec, exec, s[28:29]
	s_cbranch_execnz .LBB84_8
; %bb.9:                                ;   in Loop: Header=BB84_6 Depth=1
	s_or_b64 exec, exec, s[28:29]
.LBB84_10:                              ;   in Loop: Header=BB84_6 Depth=1
	s_or_b64 exec, exec, s[26:27]
	ds_write_b64 v14, v[6:7]
	s_waitcnt lgkmcnt(0)
	s_barrier
	ds_read2st64_b64 v[6:9], v14 offset1:4
	ds_read2st64_b64 v[10:13], v14 offset0:8 offset1:12
	s_waitcnt lgkmcnt(0)
	v_pk_add_f32 v[8:9], v[10:11], v[8:9]
	s_nop 0
	v_pk_add_f32 v[8:9], v[12:13], v[8:9]
	s_nop 0
	v_pk_add_f32 v[6:7], v[8:9], v[6:7]
	ds_write_b64 v14, v[6:7]
	s_waitcnt lgkmcnt(0)
	s_barrier
	s_and_saveexec_b64 s[6:7], vcc
	s_cbranch_execz .LBB84_12
; %bb.11:                               ;   in Loop: Header=BB84_6 Depth=1
	ds_read2st64_b64 v[6:9], v14 offset1:1
	ds_read2st64_b64 v[10:13], v14 offset0:2 offset1:3
	s_waitcnt lgkmcnt(0)
	v_pk_add_f32 v[8:9], v[10:11], v[8:9]
	s_nop 0
	v_pk_add_f32 v[8:9], v[12:13], v[8:9]
	s_nop 0
	v_pk_add_f32 v[6:7], v[8:9], v[6:7]
	ds_write_b64 v14, v[6:7]
.LBB84_12:                              ;   in Loop: Header=BB84_6 Depth=1
	s_or_b64 exec, exec, s[6:7]
	s_waitcnt lgkmcnt(0)
	s_barrier
	s_and_saveexec_b64 s[6:7], s[0:1]
	s_cbranch_execz .LBB84_14
; %bb.13:                               ;   in Loop: Header=BB84_6 Depth=1
	ds_read2_b64 v[6:9], v14 offset1:16
	ds_read2_b64 v[10:13], v14 offset0:32 offset1:48
	s_waitcnt lgkmcnt(0)
	v_pk_add_f32 v[8:9], v[10:11], v[8:9]
	s_nop 0
	v_pk_add_f32 v[8:9], v[12:13], v[8:9]
	s_nop 0
	v_pk_add_f32 v[6:7], v[8:9], v[6:7]
	ds_write_b64 v14, v[6:7]
.LBB84_14:                              ;   in Loop: Header=BB84_6 Depth=1
	s_or_b64 exec, exec, s[6:7]
	s_waitcnt lgkmcnt(0)
	s_barrier
	s_and_saveexec_b64 s[6:7], s[2:3]
	s_cbranch_execz .LBB84_16
; %bb.15:                               ;   in Loop: Header=BB84_6 Depth=1
	ds_read2_b64 v[6:9], v14 offset1:4
	ds_read2_b64 v[10:13], v14 offset0:8 offset1:12
	s_waitcnt lgkmcnt(0)
	v_pk_add_f32 v[8:9], v[10:11], v[8:9]
	s_nop 0
	v_pk_add_f32 v[8:9], v[12:13], v[8:9]
	s_nop 0
	v_pk_add_f32 v[6:7], v[8:9], v[6:7]
	ds_write_b64 v14, v[6:7]
.LBB84_16:                              ;   in Loop: Header=BB84_6 Depth=1
	s_or_b64 exec, exec, s[6:7]
	s_waitcnt lgkmcnt(0)
	s_barrier
	s_and_saveexec_b64 s[6:7], s[4:5]
	s_cbranch_execz .LBB84_18
; %bb.17:                               ;   in Loop: Header=BB84_6 Depth=1
	ds_read_b128 v[6:9], v1 offset:16
	ds_read_b64 v[10:11], v1 offset:8
	ds_read_b64 v[12:13], v14
	s_waitcnt lgkmcnt(1)
	v_pk_add_f32 v[6:7], v[6:7], v[10:11]
	s_nop 0
	v_pk_add_f32 v[6:7], v[8:9], v[6:7]
	s_waitcnt lgkmcnt(0)
	v_pk_add_f32 v[6:7], v[6:7], v[12:13]
	ds_write_b64 v14, v[6:7]
.LBB84_18:                              ;   in Loop: Header=BB84_6 Depth=1
	s_or_b64 exec, exec, s[6:7]
	s_waitcnt lgkmcnt(0)
	s_barrier
	s_and_saveexec_b64 s[26:27], s[4:5]
	s_cbranch_execz .LBB84_5
; %bb.19:                               ;   in Loop: Header=BB84_6 Depth=1
	ds_read_b64 v[6:7], v1
	s_mov_b64 s[6:7], exec
	v_bfrev_b32_e32 v0, 1
	s_waitcnt lgkmcnt(0)
	v_mul_f32_e64 v5, v7, -v3
	v_fmac_f32_e32 v5, v2, v6
.LBB84_20:                              ;   Parent Loop BB84_6 Depth=1
                                        ; =>  This Inner Loop Header: Depth=2
	s_ff1_i32_b64 s17, s[6:7]
	s_lshl_b64 s[28:29], 1, s17
	v_readlane_b32 s30, v5, s17
	s_andn2_b64 s[6:7], s[6:7], s[28:29]
	s_cmp_lg_u64 s[6:7], 0
	v_add_f32_e32 v0, s30, v0
	s_cbranch_scc1 .LBB84_20
; %bb.21:                               ;   in Loop: Header=BB84_6 Depth=1
	s_lshl_b64 s[6:7], s[24:25], 3
	v_mbcnt_lo_u32_b32 v5, exec_lo, 0
	s_add_u32 s28, s20, s6
	v_mbcnt_hi_u32_b32 v5, exec_hi, v5
	s_addc_u32 s29, s21, s7
	v_cmp_eq_u32_e64 s[6:7], 0, v5
	s_and_saveexec_b64 s[30:31], s[6:7]
	s_xor_b64 s[6:7], exec, s[30:31]
	s_cbranch_execz .LBB84_23
; %bb.22:                               ;   in Loop: Header=BB84_6 Depth=1
	global_atomic_add_f32 v1, v0, s[28:29]
.LBB84_23:                              ;   in Loop: Header=BB84_6 Depth=1
	s_or_b64 exec, exec, s[6:7]
	v_mul_f32_e32 v5, v2, v7
	s_mov_b64 s[6:7], exec
	v_fmac_f32_e32 v5, v3, v6
	v_bfrev_b32_e32 v0, 1
.LBB84_24:                              ;   Parent Loop BB84_6 Depth=1
                                        ; =>  This Inner Loop Header: Depth=2
	s_ff1_i32_b64 s17, s[6:7]
	s_lshl_b64 s[30:31], 1, s17
	v_readlane_b32 s25, v5, s17
	s_andn2_b64 s[6:7], s[6:7], s[30:31]
	s_cmp_lg_u64 s[6:7], 0
	v_add_f32_e32 v0, s25, v0
	s_cbranch_scc1 .LBB84_24
; %bb.25:                               ;   in Loop: Header=BB84_6 Depth=1
	v_mbcnt_lo_u32_b32 v5, exec_lo, 0
	v_mbcnt_hi_u32_b32 v5, exec_hi, v5
	v_cmp_eq_u32_e64 s[6:7], 0, v5
	s_and_saveexec_b64 s[30:31], s[6:7]
	s_xor_b64 s[30:31], exec, s[30:31]
	s_cbranch_execz .LBB84_5
; %bb.26:                               ;   in Loop: Header=BB84_6 Depth=1
	global_atomic_add_f32 v1, v0, s[28:29] offset:4
	s_branch .LBB84_5
.LBB84_27:
	s_ashr_i32 s1, s18, 31
	s_mov_b32 s0, s18
	s_lshl_b64 s[0:1], s[0:1], 2
	s_add_u32 s0, s8, s0
	s_addc_u32 s1, s9, s1
	s_ashr_i32 s3, s19, 31
	s_mov_b32 s2, s19
	s_lshl_b64 s[2:3], s[2:3], 2
	s_add_u32 s2, s8, s2
	s_addc_u32 s3, s9, s3
	s_load_dword s4, s[2:3], 0x0
	s_load_dword s5, s[0:1], 0x0
	s_waitcnt lgkmcnt(0)
	s_sub_i32 s17, s4, s16
	v_add_u32_e32 v0, s5, v15
	v_cmp_gt_i32_e32 vcc, s17, v0
	s_and_b64 exec, exec, vcc
	s_cbranch_execz .LBB84_36
; %bb.28:
	s_add_i32 s22, s19, -1
	s_cmp_lt_i32 s18, s22
	s_cselect_b64 s[0:1], -1, 0
	s_add_i32 s2, s19, -2
	s_cmp_lg_u32 s18, s2
	s_cselect_b64 s[2:3], -1, 0
	s_and_b64 s[0:1], s[0:1], s[2:3]
	v_cndmask_b32_e64 v1, 0, 1, s[0:1]
	v_mul_f32_e32 v8, 0x80000000, v3
	v_mul_f32_e32 v9, 0, v2
	s_mov_b64 s[4:5], 0
	v_cmp_ne_u32_e64 s[0:1], 1, v1
	s_branch .LBB84_30
.LBB84_29:                              ;   in Loop: Header=BB84_30 Depth=1
	s_or_b64 exec, exec, s[2:3]
	v_add_u32_e32 v0, 0x100, v0
	v_cmp_le_i32_e32 vcc, s17, v0
	s_or_b64 s[4:5], vcc, s[4:5]
	s_andn2_b64 exec, exec, s[4:5]
	s_cbranch_execz .LBB84_36
.LBB84_30:                              ; =>This Loop Header: Depth=1
                                        ;     Child Loop BB84_32 Depth 2
	s_and_b64 vcc, exec, s[0:1]
	v_mov_b32_e32 v6, s18
	v_mov_b32_e32 v4, s22
	s_cbranch_vccnz .LBB84_34
; %bb.31:                               ;   in Loop: Header=BB84_30 Depth=1
	s_mov_b64 s[6:7], 0
	v_mov_b32_e32 v6, s18
	v_mov_b32_e32 v4, s22
.LBB84_32:                              ;   Parent Loop BB84_30 Depth=1
                                        ; =>  This Inner Loop Header: Depth=2
	v_add_u32_e32 v1, v4, v6
	v_lshrrev_b32_e32 v5, 31, v1
	v_add_u32_e32 v1, v1, v5
	v_ashrrev_i32_e32 v10, 1, v1
	v_ashrrev_i32_e32 v11, 31, v10
	v_lshl_add_u64 v[12:13], v[10:11], 2, s[8:9]
	global_load_dword v1, v[12:13], off
	s_waitcnt vmcnt(0)
	v_subrev_u32_e32 v1, s16, v1
	v_cmp_lt_i32_e32 vcc, v0, v1
	s_nop 1
	v_cndmask_b32_e32 v4, v4, v10, vcc
	v_cndmask_b32_e32 v6, v10, v6, vcc
	v_add_u32_e32 v1, -1, v4
	v_cmp_ge_i32_e32 vcc, v6, v4
	v_cmp_eq_u32_e64 s[2:3], v6, v1
	s_or_b64 s[2:3], vcc, s[2:3]
	s_and_b64 s[2:3], exec, s[2:3]
	s_or_b64 s[6:7], s[2:3], s[6:7]
	s_andn2_b64 exec, exec, s[6:7]
	s_cbranch_execnz .LBB84_32
; %bb.33:                               ;   in Loop: Header=BB84_30 Depth=1
	s_or_b64 exec, exec, s[6:7]
.LBB84_34:                              ;   in Loop: Header=BB84_30 Depth=1
	v_ashrrev_i32_e32 v5, 31, v4
	v_lshl_add_u64 v[10:11], v[4:5], 2, s[8:9]
	global_load_dword v5, v[10:11], off
	v_ashrrev_i32_e32 v1, 31, v0
	v_lshl_add_u64 v[10:11], v[0:1], 2, s[10:11]
	global_load_dword v7, v[10:11], off
	s_waitcnt vmcnt(1)
	v_subrev_u32_e32 v5, s16, v5
	v_cmp_lt_i32_e32 vcc, v0, v5
	s_nop 1
	v_cndmask_b32_e32 v6, v4, v6, vcc
	s_waitcnt vmcnt(0)
	v_subrev_u32_e32 v4, s16, v7
	v_cmp_ne_u32_e32 vcc, v4, v6
	s_and_saveexec_b64 s[2:3], vcc
	s_cbranch_execz .LBB84_29
; %bb.35:                               ;   in Loop: Header=BB84_30 Depth=1
	v_lshl_add_u64 v[10:11], v[0:1], 2, s[12:13]
	v_ashrrev_i32_e32 v7, 31, v6
	global_load_dword v1, v[10:11], off
	v_lshl_add_u64 v[6:7], v[6:7], 3, s[14:15]
	global_load_dwordx2 v[6:7], v[6:7], off
	v_ashrrev_i32_e32 v5, 31, v4
	v_lshl_add_u64 v[4:5], v[4:5], 3, s[20:21]
	s_waitcnt vmcnt(1)
	v_fma_f32 v10, v2, v1, v8
	v_fma_f32 v1, v3, v1, v9
	s_waitcnt vmcnt(0)
	v_mul_f32_e64 v11, v7, -v1
	v_mul_f32_e32 v7, v10, v7
	v_fmac_f32_e32 v11, v10, v6
	v_fmac_f32_e32 v7, v1, v6
	global_atomic_add_f32 v[4:5], v11, off
	global_atomic_add_f32 v[4:5], v7, off offset:4
	s_branch .LBB84_29
.LBB84_36:
	s_endpgm
	.section	.rodata,"a",@progbits
	.p2align	6, 0x0
	.amdhsa_kernel _ZL33csrmvn_symm_large_adaptive_kernelIiif21rocsparse_complex_numIfES1_S1_EvbT_PKS2_N9rocsparse24const_host_device_scalarIT4_EES4_PKT0_PKT1_PKT2_S8_PT3_21rocsparse_index_base_b
		.amdhsa_group_segment_fixed_size 8192
		.amdhsa_private_segment_fixed_size 0
		.amdhsa_kernarg_size 80
		.amdhsa_user_sgpr_count 2
		.amdhsa_user_sgpr_dispatch_ptr 0
		.amdhsa_user_sgpr_queue_ptr 0
		.amdhsa_user_sgpr_kernarg_segment_ptr 1
		.amdhsa_user_sgpr_dispatch_id 0
		.amdhsa_user_sgpr_kernarg_preload_length 0
		.amdhsa_user_sgpr_kernarg_preload_offset 0
		.amdhsa_user_sgpr_private_segment_size 0
		.amdhsa_uses_dynamic_stack 0
		.amdhsa_enable_private_segment 0
		.amdhsa_system_sgpr_workgroup_id_x 1
		.amdhsa_system_sgpr_workgroup_id_y 0
		.amdhsa_system_sgpr_workgroup_id_z 0
		.amdhsa_system_sgpr_workgroup_info 0
		.amdhsa_system_vgpr_workitem_id 0
		.amdhsa_next_free_vgpr 18
		.amdhsa_next_free_sgpr 32
		.amdhsa_accum_offset 20
		.amdhsa_reserve_vcc 1
		.amdhsa_float_round_mode_32 0
		.amdhsa_float_round_mode_16_64 0
		.amdhsa_float_denorm_mode_32 3
		.amdhsa_float_denorm_mode_16_64 3
		.amdhsa_dx10_clamp 1
		.amdhsa_ieee_mode 1
		.amdhsa_fp16_overflow 0
		.amdhsa_tg_split 0
		.amdhsa_exception_fp_ieee_invalid_op 0
		.amdhsa_exception_fp_denorm_src 0
		.amdhsa_exception_fp_ieee_div_zero 0
		.amdhsa_exception_fp_ieee_overflow 0
		.amdhsa_exception_fp_ieee_underflow 0
		.amdhsa_exception_fp_ieee_inexact 0
		.amdhsa_exception_int_div_zero 0
	.end_amdhsa_kernel
	.section	.text._ZL33csrmvn_symm_large_adaptive_kernelIiif21rocsparse_complex_numIfES1_S1_EvbT_PKS2_N9rocsparse24const_host_device_scalarIT4_EES4_PKT0_PKT1_PKT2_S8_PT3_21rocsparse_index_base_b,"axG",@progbits,_ZL33csrmvn_symm_large_adaptive_kernelIiif21rocsparse_complex_numIfES1_S1_EvbT_PKS2_N9rocsparse24const_host_device_scalarIT4_EES4_PKT0_PKT1_PKT2_S8_PT3_21rocsparse_index_base_b,comdat
.Lfunc_end84:
	.size	_ZL33csrmvn_symm_large_adaptive_kernelIiif21rocsparse_complex_numIfES1_S1_EvbT_PKS2_N9rocsparse24const_host_device_scalarIT4_EES4_PKT0_PKT1_PKT2_S8_PT3_21rocsparse_index_base_b, .Lfunc_end84-_ZL33csrmvn_symm_large_adaptive_kernelIiif21rocsparse_complex_numIfES1_S1_EvbT_PKS2_N9rocsparse24const_host_device_scalarIT4_EES4_PKT0_PKT1_PKT2_S8_PT3_21rocsparse_index_base_b
                                        ; -- End function
	.set _ZL33csrmvn_symm_large_adaptive_kernelIiif21rocsparse_complex_numIfES1_S1_EvbT_PKS2_N9rocsparse24const_host_device_scalarIT4_EES4_PKT0_PKT1_PKT2_S8_PT3_21rocsparse_index_base_b.num_vgpr, 18
	.set _ZL33csrmvn_symm_large_adaptive_kernelIiif21rocsparse_complex_numIfES1_S1_EvbT_PKS2_N9rocsparse24const_host_device_scalarIT4_EES4_PKT0_PKT1_PKT2_S8_PT3_21rocsparse_index_base_b.num_agpr, 0
	.set _ZL33csrmvn_symm_large_adaptive_kernelIiif21rocsparse_complex_numIfES1_S1_EvbT_PKS2_N9rocsparse24const_host_device_scalarIT4_EES4_PKT0_PKT1_PKT2_S8_PT3_21rocsparse_index_base_b.numbered_sgpr, 32
	.set _ZL33csrmvn_symm_large_adaptive_kernelIiif21rocsparse_complex_numIfES1_S1_EvbT_PKS2_N9rocsparse24const_host_device_scalarIT4_EES4_PKT0_PKT1_PKT2_S8_PT3_21rocsparse_index_base_b.num_named_barrier, 0
	.set _ZL33csrmvn_symm_large_adaptive_kernelIiif21rocsparse_complex_numIfES1_S1_EvbT_PKS2_N9rocsparse24const_host_device_scalarIT4_EES4_PKT0_PKT1_PKT2_S8_PT3_21rocsparse_index_base_b.private_seg_size, 0
	.set _ZL33csrmvn_symm_large_adaptive_kernelIiif21rocsparse_complex_numIfES1_S1_EvbT_PKS2_N9rocsparse24const_host_device_scalarIT4_EES4_PKT0_PKT1_PKT2_S8_PT3_21rocsparse_index_base_b.uses_vcc, 1
	.set _ZL33csrmvn_symm_large_adaptive_kernelIiif21rocsparse_complex_numIfES1_S1_EvbT_PKS2_N9rocsparse24const_host_device_scalarIT4_EES4_PKT0_PKT1_PKT2_S8_PT3_21rocsparse_index_base_b.uses_flat_scratch, 0
	.set _ZL33csrmvn_symm_large_adaptive_kernelIiif21rocsparse_complex_numIfES1_S1_EvbT_PKS2_N9rocsparse24const_host_device_scalarIT4_EES4_PKT0_PKT1_PKT2_S8_PT3_21rocsparse_index_base_b.has_dyn_sized_stack, 0
	.set _ZL33csrmvn_symm_large_adaptive_kernelIiif21rocsparse_complex_numIfES1_S1_EvbT_PKS2_N9rocsparse24const_host_device_scalarIT4_EES4_PKT0_PKT1_PKT2_S8_PT3_21rocsparse_index_base_b.has_recursion, 0
	.set _ZL33csrmvn_symm_large_adaptive_kernelIiif21rocsparse_complex_numIfES1_S1_EvbT_PKS2_N9rocsparse24const_host_device_scalarIT4_EES4_PKT0_PKT1_PKT2_S8_PT3_21rocsparse_index_base_b.has_indirect_call, 0
	.section	.AMDGPU.csdata,"",@progbits
; Kernel info:
; codeLenInByte = 1716
; TotalNumSgprs: 38
; NumVgprs: 18
; NumAgprs: 0
; TotalNumVgprs: 18
; ScratchSize: 0
; MemoryBound: 0
; FloatMode: 240
; IeeeMode: 1
; LDSByteSize: 8192 bytes/workgroup (compile time only)
; SGPRBlocks: 4
; VGPRBlocks: 2
; NumSGPRsForWavesPerEU: 38
; NumVGPRsForWavesPerEU: 18
; AccumOffset: 20
; Occupancy: 8
; WaveLimiterHint : 1
; COMPUTE_PGM_RSRC2:SCRATCH_EN: 0
; COMPUTE_PGM_RSRC2:USER_SGPR: 2
; COMPUTE_PGM_RSRC2:TRAP_HANDLER: 0
; COMPUTE_PGM_RSRC2:TGID_X_EN: 1
; COMPUTE_PGM_RSRC2:TGID_Y_EN: 0
; COMPUTE_PGM_RSRC2:TGID_Z_EN: 0
; COMPUTE_PGM_RSRC2:TIDIG_COMP_CNT: 0
; COMPUTE_PGM_RSRC3_GFX90A:ACCUM_OFFSET: 4
; COMPUTE_PGM_RSRC3_GFX90A:TG_SPLIT: 0
	.section	.text._ZN9rocsparseL22csrmvn_adaptive_kernelIlif21rocsparse_complex_numIfES2_S2_EEvbT_PKS3_PjPKT0_NS_24const_host_device_scalarIT4_EES5_S9_PKT1_PKT2_SC_PT3_21rocsparse_index_base_b,"axG",@progbits,_ZN9rocsparseL22csrmvn_adaptive_kernelIlif21rocsparse_complex_numIfES2_S2_EEvbT_PKS3_PjPKT0_NS_24const_host_device_scalarIT4_EES5_S9_PKT1_PKT2_SC_PT3_21rocsparse_index_base_b,comdat
	.globl	_ZN9rocsparseL22csrmvn_adaptive_kernelIlif21rocsparse_complex_numIfES2_S2_EEvbT_PKS3_PjPKT0_NS_24const_host_device_scalarIT4_EES5_S9_PKT1_PKT2_SC_PT3_21rocsparse_index_base_b ; -- Begin function _ZN9rocsparseL22csrmvn_adaptive_kernelIlif21rocsparse_complex_numIfES2_S2_EEvbT_PKS3_PjPKT0_NS_24const_host_device_scalarIT4_EES5_S9_PKT1_PKT2_SC_PT3_21rocsparse_index_base_b
	.p2align	8
	.type	_ZN9rocsparseL22csrmvn_adaptive_kernelIlif21rocsparse_complex_numIfES2_S2_EEvbT_PKS3_PjPKT0_NS_24const_host_device_scalarIT4_EES5_S9_PKT1_PKT2_SC_PT3_21rocsparse_index_base_b,@function
_ZN9rocsparseL22csrmvn_adaptive_kernelIlif21rocsparse_complex_numIfES2_S2_EEvbT_PKS3_PjPKT0_NS_24const_host_device_scalarIT4_EES5_S9_PKT1_PKT2_SC_PT3_21rocsparse_index_base_b: ; @_ZN9rocsparseL22csrmvn_adaptive_kernelIlif21rocsparse_complex_numIfES2_S2_EEvbT_PKS3_PjPKT0_NS_24const_host_device_scalarIT4_EES5_S9_PKT1_PKT2_SC_PT3_21rocsparse_index_base_b
; %bb.0:
	s_load_dwordx2 s[4:5], s[0:1], 0x28
	s_load_dwordx2 s[42:43], s[0:1], 0x60
	s_add_u32 s3, s0, 40
	s_addc_u32 s8, s1, 0
	s_load_dwordx2 s[6:7], s[0:1], 0x50
	s_add_u32 s9, s0, 0x50
	s_addc_u32 s10, s1, 0
	s_waitcnt lgkmcnt(0)
	s_bitcmp1_b32 s43, 0
	s_cselect_b32 s3, s3, s4
	s_cselect_b32 s5, s8, s5
	v_mov_b32_e32 v2, s3
	s_cselect_b32 s3, s10, s7
	s_cselect_b32 s4, s9, s6
	v_mov_b32_e32 v3, s5
	v_mov_b32_e32 v4, s4
	;; [unrolled: 1-line block ×3, first 2 shown]
	flat_load_dwordx2 v[2:3], v[2:3]
	s_waitcnt vmcnt(0) lgkmcnt(0)
	v_cmp_neq_f32_e32 vcc, 0, v2
	flat_load_dwordx2 v[6:7], v[4:5]
	v_cmp_neq_f32_e64 s[6:7], 0, v3
	s_or_b64 s[6:7], vcc, s[6:7]
	s_waitcnt vmcnt(0) lgkmcnt(0)
	v_cmp_neq_f32_e64 s[8:9], 1.0, v6
	v_cmp_neq_f32_e64 s[4:5], 0, v7
	s_or_b64 s[8:9], s[8:9], s[4:5]
	s_or_b64 s[6:7], s[6:7], s[8:9]
	s_and_saveexec_b64 s[8:9], s[6:7]
	s_cbranch_execz .LBB85_120
; %bb.1:
	s_load_dwordx2 s[6:7], s[0:1], 0x10
	s_load_dwordx2 s[8:9], s[0:1], 0x20
	s_ashr_i32 s3, s2, 31
	s_lshl_b64 s[10:11], s[2:3], 3
	s_waitcnt lgkmcnt(0)
	s_add_u32 s6, s6, s10
	s_addc_u32 s7, s7, s11
	s_load_dwordx4 s[36:39], s[6:7], 0x0
	s_load_dwordx2 s[22:23], s[0:1], 0x58
	s_load_dwordx8 s[24:31], s[0:1], 0x30
	s_lshl_b64 s[46:47], s[2:3], 2
	s_waitcnt lgkmcnt(0)
	s_sub_i32 s3, s38, s36
	s_add_u32 s6, s8, s46
	s_addc_u32 s7, s9, s47
	s_lshl_b64 s[44:45], s[36:37], 3
	s_add_u32 s34, s24, s44
	s_addc_u32 s35, s25, s45
	s_load_dword s33, s[6:7], 0x0
	s_load_dwordx2 s[40:41], s[34:35], 0x0
	s_cmp_lt_i32 s3, 2
	s_mov_b64 s[6:7], -1
	s_cbranch_scc0 .LBB85_69
; %bb.2:
	s_cmp_lg_u32 s3, 1
	s_cselect_b64 s[6:7], -1, 0
	s_waitcnt lgkmcnt(0)
	s_cmp_lg_u32 s33, 0
	s_cselect_b64 s[8:9], -1, 0
	s_or_b64 s[8:9], s[6:7], s[8:9]
	s_mov_b64 s[6:7], -1
	s_and_b64 vcc, exec, s[8:9]
	s_cbranch_vccnz .LBB85_31
; %bb.3:
	v_mov_b64_e32 v[4:5], s[36:37]
	v_cmp_le_i64_e32 vcc, s[38:39], v[4:5]
	s_cbranch_vccnz .LBB85_30
; %bb.4:
	s_mov_b32 s6, 0
	s_brev_b32 s7, 1
	v_subrev_co_u32_e32 v4, vcc, s42, v0
	v_pk_mul_f32 v[8:9], v[2:3], s[6:7]
	s_nop 0
	v_subb_co_u32_e64 v5, s[8:9], 0, 0, vcc
	s_movk_i32 s3, 0x80
	v_cmp_neq_f32_e32 vcc, 0, v6
	v_mov_b32_e32 v1, 0
	v_pk_mov_b32 v[8:9], v[8:9], v[8:9] op_sel:[1,0]
	v_lshlrev_b32_e32 v22, 3, v0
	v_cmp_gt_u32_e64 s[6:7], s3, v0
	v_cmp_gt_u32_e64 s[8:9], 64, v0
	;; [unrolled: 1-line block ×7, first 2 shown]
	v_cmp_eq_u32_e64 s[20:21], 0, v0
	s_or_b64 s[48:49], vcc, s[4:5]
	v_xor_b32_e32 v10, 0x80000000, v7
	v_mov_b32_e32 v11, v6
	s_mov_b64 s[50:51], 0x100
	s_mov_b64 s[52:53], 0x400
	v_mov_b64_e32 v[12:13], s[38:39]
	s_mov_b64 s[54:55], s[36:37]
	s_branch .LBB85_7
.LBB85_5:                               ;   in Loop: Header=BB85_7 Depth=1
	s_or_b64 exec, exec, s[60:61]
	s_add_u32 s56, s22, s56
	s_addc_u32 s57, s23, s57
	s_waitcnt lgkmcnt(0)
	global_store_dwordx2 v1, v[14:15], s[56:57]
.LBB85_6:                               ;   in Loop: Header=BB85_7 Depth=1
	s_or_b64 exec, exec, s[58:59]
	s_add_u32 s54, s54, 1
	s_addc_u32 s55, s55, 0
	v_cmp_ge_i64_e32 vcc, s[54:55], v[12:13]
	s_cbranch_vccnz .LBB85_30
.LBB85_7:                               ; =>This Loop Header: Depth=1
                                        ;     Child Loop BB85_9 Depth 2
	s_lshl_b64 s[56:57], s[54:55], 3
	s_add_u32 s58, s24, s56
	s_addc_u32 s59, s25, s57
	s_load_dwordx4 s[64:67], s[58:59], 0x0
	v_mov_b32_e32 v15, 0
	v_mov_b32_e32 v14, 0
	s_waitcnt lgkmcnt(0)
	s_sub_u32 s60, s66, s42
	v_lshl_add_u64 v[16:17], s[64:65], 0, v[4:5]
	s_subb_u32 s61, s67, 0
	v_cmp_gt_i64_e32 vcc, s[60:61], v[16:17]
	s_and_saveexec_b64 s[58:59], vcc
	s_cbranch_execz .LBB85_11
; %bb.8:                                ;   in Loop: Header=BB85_7 Depth=1
	v_lshlrev_b64 v[14:15], 2, v[16:17]
	v_lshl_add_u64 v[18:19], s[28:29], 0, v[14:15]
	v_lshl_add_u64 v[20:21], s[26:27], 0, v[14:15]
	v_mov_b32_e32 v14, 0
	s_mov_b64 s[62:63], 0
	v_mov_b32_e32 v15, v14
.LBB85_9:                               ;   Parent Loop BB85_7 Depth=1
                                        ; =>  This Inner Loop Header: Depth=2
	global_load_dword v23, v[20:21], off
	global_load_dword v24, v[18:19], off
	v_lshl_add_u64 v[16:17], v[16:17], 0, s[50:51]
	v_cmp_le_i64_e32 vcc, s[60:61], v[16:17]
	v_lshl_add_u64 v[18:19], v[18:19], 0, s[52:53]
	v_lshl_add_u64 v[20:21], v[20:21], 0, s[52:53]
	s_or_b64 s[62:63], vcc, s[62:63]
	s_waitcnt vmcnt(1)
	v_subrev_u32_e32 v26, s42, v23
	v_ashrrev_i32_e32 v27, 31, v26
	v_lshl_add_u64 v[26:27], v[26:27], 3, s[30:31]
	global_load_dwordx2 v[26:27], v[26:27], off
	s_waitcnt vmcnt(1)
	v_pk_fma_f32 v[24:25], v[2:3], v[24:25], v[8:9] op_sel_hi:[1,0,1]
	s_nop 0
	v_xor_b32_e32 v28, 0x80000000, v25
	v_mov_b32_e32 v29, v24
	s_waitcnt vmcnt(0)
	v_pk_fma_f32 v[14:15], v[24:25], v[26:27], v[14:15] op_sel_hi:[1,0,1]
	s_nop 0
	v_pk_fma_f32 v[14:15], v[28:29], v[26:27], v[14:15] op_sel:[0,1,0]
	s_andn2_b64 exec, exec, s[62:63]
	s_cbranch_execnz .LBB85_9
; %bb.10:                               ;   in Loop: Header=BB85_7 Depth=1
	s_or_b64 exec, exec, s[62:63]
.LBB85_11:                              ;   in Loop: Header=BB85_7 Depth=1
	s_or_b64 exec, exec, s[58:59]
	ds_write_b64 v22, v[14:15]
	s_waitcnt lgkmcnt(0)
	s_barrier
	s_and_saveexec_b64 s[58:59], s[6:7]
	s_cbranch_execz .LBB85_13
; %bb.12:                               ;   in Loop: Header=BB85_7 Depth=1
	ds_read2st64_b64 v[14:17], v22 offset1:2
	s_waitcnt lgkmcnt(0)
	v_pk_add_f32 v[14:15], v[16:17], v[14:15]
	ds_write_b64 v22, v[14:15]
.LBB85_13:                              ;   in Loop: Header=BB85_7 Depth=1
	s_or_b64 exec, exec, s[58:59]
	s_waitcnt lgkmcnt(0)
	s_barrier
	s_and_saveexec_b64 s[58:59], s[8:9]
	s_cbranch_execz .LBB85_15
; %bb.14:                               ;   in Loop: Header=BB85_7 Depth=1
	ds_read2st64_b64 v[14:17], v22 offset1:1
	s_waitcnt lgkmcnt(0)
	v_pk_add_f32 v[14:15], v[16:17], v[14:15]
	ds_write_b64 v22, v[14:15]
.LBB85_15:                              ;   in Loop: Header=BB85_7 Depth=1
	s_or_b64 exec, exec, s[58:59]
	s_waitcnt lgkmcnt(0)
	s_barrier
	s_and_saveexec_b64 s[58:59], s[10:11]
	s_cbranch_execz .LBB85_17
; %bb.16:                               ;   in Loop: Header=BB85_7 Depth=1
	ds_read2_b64 v[14:17], v22 offset1:32
	s_waitcnt lgkmcnt(0)
	v_pk_add_f32 v[14:15], v[16:17], v[14:15]
	ds_write_b64 v22, v[14:15]
.LBB85_17:                              ;   in Loop: Header=BB85_7 Depth=1
	s_or_b64 exec, exec, s[58:59]
	s_waitcnt lgkmcnt(0)
	s_barrier
	s_and_saveexec_b64 s[58:59], s[12:13]
	s_cbranch_execz .LBB85_19
; %bb.18:                               ;   in Loop: Header=BB85_7 Depth=1
	ds_read2_b64 v[14:17], v22 offset1:16
	s_waitcnt lgkmcnt(0)
	v_pk_add_f32 v[14:15], v[16:17], v[14:15]
	ds_write_b64 v22, v[14:15]
.LBB85_19:                              ;   in Loop: Header=BB85_7 Depth=1
	s_or_b64 exec, exec, s[58:59]
	s_waitcnt lgkmcnt(0)
	s_barrier
	s_and_saveexec_b64 s[58:59], s[14:15]
	s_cbranch_execz .LBB85_21
; %bb.20:                               ;   in Loop: Header=BB85_7 Depth=1
	ds_read2_b64 v[14:17], v22 offset1:8
	s_waitcnt lgkmcnt(0)
	v_pk_add_f32 v[14:15], v[16:17], v[14:15]
	ds_write_b64 v22, v[14:15]
.LBB85_21:                              ;   in Loop: Header=BB85_7 Depth=1
	s_or_b64 exec, exec, s[58:59]
	s_waitcnt lgkmcnt(0)
	s_barrier
	s_and_saveexec_b64 s[58:59], s[16:17]
	s_cbranch_execz .LBB85_23
; %bb.22:                               ;   in Loop: Header=BB85_7 Depth=1
	ds_read2_b64 v[14:17], v22 offset1:4
	s_waitcnt lgkmcnt(0)
	v_pk_add_f32 v[14:15], v[16:17], v[14:15]
	ds_write_b64 v22, v[14:15]
.LBB85_23:                              ;   in Loop: Header=BB85_7 Depth=1
	s_or_b64 exec, exec, s[58:59]
	s_waitcnt lgkmcnt(0)
	s_barrier
	s_and_saveexec_b64 s[58:59], s[18:19]
	s_cbranch_execz .LBB85_25
; %bb.24:                               ;   in Loop: Header=BB85_7 Depth=1
	ds_read2_b64 v[14:17], v22 offset1:2
	s_waitcnt lgkmcnt(0)
	v_pk_add_f32 v[14:15], v[16:17], v[14:15]
	ds_write_b64 v22, v[14:15]
.LBB85_25:                              ;   in Loop: Header=BB85_7 Depth=1
	s_or_b64 exec, exec, s[58:59]
	s_waitcnt lgkmcnt(0)
	s_barrier
	s_and_saveexec_b64 s[58:59], s[20:21]
	s_cbranch_execz .LBB85_27
; %bb.26:                               ;   in Loop: Header=BB85_7 Depth=1
	ds_read2_b64 v[14:17], v1 offset1:1
	s_waitcnt lgkmcnt(0)
	v_pk_add_f32 v[14:15], v[16:17], v[14:15]
	ds_write_b64 v1, v[14:15]
.LBB85_27:                              ;   in Loop: Header=BB85_7 Depth=1
	s_or_b64 exec, exec, s[58:59]
	s_waitcnt lgkmcnt(0)
	s_barrier
	s_and_saveexec_b64 s[58:59], s[20:21]
	s_cbranch_execz .LBB85_6
; %bb.28:                               ;   in Loop: Header=BB85_7 Depth=1
	ds_read_b64 v[14:15], v1
	s_and_saveexec_b64 s[60:61], s[48:49]
	s_cbranch_execz .LBB85_5
; %bb.29:                               ;   in Loop: Header=BB85_7 Depth=1
	s_add_u32 s62, s22, s56
	s_addc_u32 s63, s23, s57
	global_load_dwordx2 v[16:17], v1, s[62:63]
	s_waitcnt vmcnt(0) lgkmcnt(0)
	v_pk_fma_f32 v[14:15], v[6:7], v[16:17], v[14:15] op_sel_hi:[1,0,1]
	s_nop 0
	v_pk_fma_f32 v[14:15], v[10:11], v[16:17], v[14:15] op_sel:[0,1,0]
	s_branch .LBB85_5
.LBB85_30:
	s_mov_b64 s[6:7], 0
.LBB85_31:
	s_andn2_b64 vcc, exec, s[6:7]
	s_cbranch_vccnz .LBB85_68
; %bb.32:
	s_load_dwordx2 s[6:7], s[0:1], 0x18
	s_sub_i32 s8, s2, s33
	v_mov_b32_e32 v1, 0
	v_or_b32_e32 v4, s33, v0
	v_cmp_eq_u32_e32 vcc, 0, v4
	s_waitcnt lgkmcnt(0)
	s_add_u32 s2, s6, s46
	s_addc_u32 s3, s7, s47
	global_load_dword v16, v1, s[2:3]
	v_mov_b32_e32 v4, v1
	v_mov_b32_e32 v5, v1
	s_and_saveexec_b64 s[10:11], vcc
	s_cbranch_execz .LBB85_36
; %bb.33:
	s_add_u32 s14, s22, s44
	s_addc_u32 s15, s23, s45
	global_load_dwordx2 v[4:5], v1, s[14:15]
	s_mov_b64 s[12:13], exec
	v_mbcnt_lo_u32_b32 v12, s12, 0
	v_add_f32_e32 v11, -1.0, v6
	v_xor_b32_e32 v10, 0x80000000, v7
	v_mbcnt_hi_u32_b32 v12, s13, v12
	v_mov_b32_e32 v9, v7
	v_mov_b32_e32 v8, v11
	v_cmp_eq_u32_e32 vcc, 0, v12
	s_waitcnt vmcnt(0) expcnt(0) lgkmcnt(0)
	v_pk_mul_f32 v[10:11], v[4:5], v[10:11] op_sel:[1,0]
	s_and_saveexec_b64 s[14:15], vcc
	s_cbranch_execz .LBB85_35
; %bb.34:
	s_ashr_i32 s9, s8, 31
	s_lshl_b64 s[16:17], s[8:9], 2
	s_add_u32 s16, s6, s16
	s_addc_u32 s17, s7, s17
	s_bcnt1_i32_b64 s9, s[12:13]
	s_and_b32 s9, s9, 1
	v_mov_b32_e32 v12, 0
	v_mov_b32_e32 v13, s9
	global_atomic_xor v12, v13, s[16:17]
.LBB85_35:
	s_or_b64 exec, exec, s[14:15]
	v_pk_fma_f32 v[4:5], v[8:9], v[4:5], v[10:11] op_sel_hi:[1,0,1]
.LBB85_36:
	s_or_b64 exec, exec, s[10:11]
	s_load_dwordx2 s[10:11], s[34:35], 0x8
	s_sub_u32 s13, s40, s42
	s_mul_i32 s12, s33, 0xc00
	s_subb_u32 s15, s41, 0
	s_mul_hi_i32 s9, s33, 0xc00
	s_add_u32 s14, s13, s12
	s_addc_u32 s15, s15, s9
	s_waitcnt lgkmcnt(0)
	s_sub_u32 s12, s10, s42
	s_subb_u32 s13, s11, 0
	v_lshl_add_u64 v[8:9], s[14:15], 0, v[0:1]
	v_cmp_gt_i64_e32 vcc, s[12:13], v[8:9]
	s_and_saveexec_b64 s[10:11], vcc
	s_cbranch_execz .LBB85_40
; %bb.37:
	s_add_u32 s14, s14, 0xc00
	s_addc_u32 s15, s15, 0
	v_mov_b64_e32 v[10:11], s[12:13]
	v_cmp_lt_i64_e32 vcc, s[14:15], v[10:11]
	s_and_b64 s[16:17], vcc, exec
	s_cselect_b32 s13, s15, s13
	s_cselect_b32 s12, s14, s12
	s_mov_b32 s14, 0
	s_brev_b32 s15, 1
	v_pk_mul_f32 v[10:11], v[2:3], s[14:15]
	v_lshlrev_b64 v[14:15], 2, v[8:9]
	v_pk_mov_b32 v[10:11], v[10:11], v[10:11] op_sel:[1,0]
	v_lshl_add_u64 v[12:13], s[28:29], 0, v[14:15]
	v_lshl_add_u64 v[14:15], s[26:27], 0, v[14:15]
	s_mov_b64 s[14:15], 0
	s_mov_b64 s[16:17], 0x100
	;; [unrolled: 1-line block ×3, first 2 shown]
.LBB85_38:                              ; =>This Inner Loop Header: Depth=1
	global_load_dword v1, v[14:15], off
	global_load_dword v18, v[12:13], off
	v_lshl_add_u64 v[8:9], v[8:9], 0, s[16:17]
	v_cmp_le_i64_e32 vcc, s[12:13], v[8:9]
	v_lshl_add_u64 v[12:13], v[12:13], 0, s[18:19]
	v_lshl_add_u64 v[14:15], v[14:15], 0, s[18:19]
	s_or_b64 s[14:15], vcc, s[14:15]
	s_waitcnt vmcnt(1)
	v_subrev_u32_e32 v20, s42, v1
	v_ashrrev_i32_e32 v21, 31, v20
	v_lshl_add_u64 v[20:21], v[20:21], 3, s[30:31]
	global_load_dwordx2 v[20:21], v[20:21], off
	s_waitcnt vmcnt(1)
	v_pk_fma_f32 v[18:19], v[2:3], v[18:19], v[10:11] op_sel_hi:[1,0,1]
	s_nop 0
	v_xor_b32_e32 v22, 0x80000000, v19
	v_mov_b32_e32 v23, v18
	s_waitcnt vmcnt(0)
	v_pk_fma_f32 v[4:5], v[18:19], v[20:21], v[4:5] op_sel_hi:[1,0,1]
	s_nop 0
	v_pk_fma_f32 v[4:5], v[22:23], v[20:21], v[4:5] op_sel:[0,1,0]
	s_andn2_b64 exec, exec, s[14:15]
	s_cbranch_execnz .LBB85_38
; %bb.39:
	s_or_b64 exec, exec, s[14:15]
.LBB85_40:
	s_or_b64 exec, exec, s[10:11]
	s_movk_i32 s9, 0x80
	v_lshlrev_b32_e32 v1, 3, v0
	v_cmp_gt_u32_e32 vcc, s9, v0
	ds_write_b64 v1, v[4:5]
	s_waitcnt lgkmcnt(0)
	s_barrier
	s_and_saveexec_b64 s[10:11], vcc
	s_cbranch_execz .LBB85_42
; %bb.41:
	ds_read2st64_b64 v[8:11], v1 offset1:2
	s_waitcnt lgkmcnt(0)
	v_pk_add_f32 v[4:5], v[10:11], v[8:9]
	ds_write_b64 v1, v[4:5]
.LBB85_42:
	s_or_b64 exec, exec, s[10:11]
	v_cmp_gt_u32_e32 vcc, 64, v0
	s_waitcnt lgkmcnt(0)
	s_barrier
	s_and_saveexec_b64 s[10:11], vcc
	s_cbranch_execz .LBB85_44
; %bb.43:
	ds_read2st64_b64 v[8:11], v1 offset1:1
	s_waitcnt lgkmcnt(0)
	v_pk_add_f32 v[4:5], v[10:11], v[8:9]
	ds_write_b64 v1, v[4:5]
.LBB85_44:
	s_or_b64 exec, exec, s[10:11]
	v_cmp_gt_u32_e32 vcc, 32, v0
	s_waitcnt lgkmcnt(0)
	s_barrier
	s_and_saveexec_b64 s[10:11], vcc
	s_cbranch_execz .LBB85_46
; %bb.45:
	ds_read2_b64 v[8:11], v1 offset1:32
	s_waitcnt lgkmcnt(0)
	v_pk_add_f32 v[4:5], v[10:11], v[8:9]
	ds_write_b64 v1, v[4:5]
.LBB85_46:
	s_or_b64 exec, exec, s[10:11]
	v_cmp_gt_u32_e32 vcc, 16, v0
	s_waitcnt lgkmcnt(0)
	s_barrier
	s_and_saveexec_b64 s[10:11], vcc
	s_cbranch_execz .LBB85_48
; %bb.47:
	ds_read2_b64 v[8:11], v1 offset1:16
	s_waitcnt lgkmcnt(0)
	v_pk_add_f32 v[4:5], v[10:11], v[8:9]
	ds_write_b64 v1, v[4:5]
.LBB85_48:
	;; [unrolled: 12-line block ×5, first 2 shown]
	s_or_b64 exec, exec, s[10:11]
	v_cmp_eq_u32_e32 vcc, 0, v0
	s_waitcnt lgkmcnt(0)
	s_barrier
	s_and_saveexec_b64 s[10:11], vcc
	s_cbranch_execz .LBB85_56
; %bb.55:
	v_mov_b32_e32 v1, 0
	ds_read2_b64 v[8:11], v1 offset1:1
	s_waitcnt lgkmcnt(0)
	v_pk_add_f32 v[4:5], v[10:11], v[8:9]
	ds_write_b64 v1, v[4:5]
.LBB85_56:
	s_or_b64 exec, exec, s[10:11]
	s_waitcnt lgkmcnt(0)
	s_barrier
	s_and_saveexec_b64 s[10:11], vcc
	s_cbranch_execz .LBB85_67
; %bb.57:
	s_cmp_eq_u32 s33, 0
	s_cbranch_scc1 .LBB85_63
; %bb.58:
	s_ashr_i32 s9, s8, 31
	s_lshl_b64 s[8:9], s[8:9], 2
	s_add_u32 s6, s6, s8
	s_addc_u32 s7, s7, s9
	v_mov_b32_e32 v1, 0
	s_branch .LBB85_60
.LBB85_59:                              ;   in Loop: Header=BB85_60 Depth=1
	s_or_b64 exec, exec, s[8:9]
	s_waitcnt vmcnt(0)
	v_readfirstlane_b32 s8, v4
	s_nop 1
	v_cmp_eq_u32_e32 vcc, s8, v16
	s_cbranch_vccz .LBB85_62
.LBB85_60:                              ; =>This Inner Loop Header: Depth=1
	v_mbcnt_lo_u32_b32 v4, exec_lo, 0
	v_mbcnt_hi_u32_b32 v4, exec_hi, v4
	v_cmp_eq_u32_e32 vcc, 0, v4
                                        ; implicit-def: $vgpr4
	s_and_saveexec_b64 s[8:9], vcc
	s_cbranch_execz .LBB85_59
; %bb.61:                               ;   in Loop: Header=BB85_60 Depth=1
	global_load_dword v4, v1, s[6:7] sc1
	s_branch .LBB85_59
.LBB85_62:
	v_mov_b32_e32 v1, 0
	global_load_ushort v4, v1, s[2:3]
	s_waitcnt vmcnt(0)
	v_xor_b32_e32 v4, 1, v4
	global_store_short v1, v4, s[2:3]
.LBB85_63:
	v_mov_b32_e32 v1, 0
	ds_read_b64 v[4:5], v1
	s_mov_b64 s[6:7], exec
	v_mbcnt_lo_u32_b32 v8, s6, 0
	s_add_u32 s2, s22, s44
	v_mbcnt_hi_u32_b32 v8, s7, v8
	s_addc_u32 s3, s23, s45
	v_cmp_eq_u32_e32 vcc, 0, v8
	s_and_saveexec_b64 s[8:9], vcc
	s_cbranch_execz .LBB85_65
; %bb.64:
	s_bcnt1_i32_b64 s6, s[6:7]
	v_cvt_f32_ubyte0_e32 v8, s6
	s_waitcnt lgkmcnt(0)
	v_mul_f32_e32 v4, v4, v8
	global_atomic_add_f32 v1, v4, s[2:3]
.LBB85_65:
	s_or_b64 exec, exec, s[8:9]
	s_mov_b64 s[6:7], exec
	v_mbcnt_lo_u32_b32 v1, s6, 0
	v_mbcnt_hi_u32_b32 v1, s7, v1
	v_cmp_eq_u32_e32 vcc, 0, v1
	s_and_b64 s[8:9], exec, vcc
	s_mov_b64 exec, s[8:9]
	s_cbranch_execz .LBB85_67
; %bb.66:
	s_bcnt1_i32_b64 s6, s[6:7]
	v_cvt_f32_ubyte0_e32 v1, s6
	s_waitcnt lgkmcnt(0)
	v_mul_f32_e32 v1, v5, v1
	v_mov_b32_e32 v4, 0
	global_atomic_add_f32 v4, v1, s[2:3] offset:4
.LBB85_67:
	s_or_b64 exec, exec, s[10:11]
.LBB85_68:
	s_mov_b64 s[6:7], 0
.LBB85_69:
	s_andn2_b64 vcc, exec, s[6:7]
	s_cbranch_vccnz .LBB85_120
; %bb.70:
	s_load_dwordx2 s[0:1], s[0:1], 0x8
	s_waitcnt lgkmcnt(0)
	v_subrev_co_u32_e32 v4, vcc, s42, v0
	v_mov_b32_e32 v1, 0
	s_nop 0
	v_subb_co_u32_e64 v5, s[2:3], 0, 0, vcc
	v_lshl_add_u64 v[4:5], s[40:41], 0, v[4:5]
	s_mov_b64 s[2:3], 0x300
	v_lshl_add_u64 v[8:9], v[4:5], 0, s[2:3]
	v_cmp_le_i64_e32 vcc, s[0:1], v[8:9]
	s_and_saveexec_b64 s[0:1], vcc
	s_xor_b64 s[6:7], exec, s[0:1]
	s_cbranch_execz .LBB85_82
; %bb.71:
	s_lshl_b64 s[0:1], s[38:39], 3
	s_add_u32 s0, s24, s0
	s_addc_u32 s1, s25, s1
	s_load_dwordx2 s[0:1], s[0:1], 0x0
	s_waitcnt lgkmcnt(0)
	s_sub_u32 s8, s0, s42
	s_subb_u32 s9, s1, 0
	v_cmp_gt_i64_e32 vcc, s[8:9], v[4:5]
	s_and_saveexec_b64 s[10:11], vcc
	s_cbranch_execz .LBB85_81
; %bb.72:
	v_lshl_add_u64 v[10:11], s[40:41], 0, v[0:1]
	v_subrev_co_u32_e32 v10, vcc, s42, v10
	s_mov_b64 s[0:1], 0x100
	s_nop 0
	v_subbrev_co_u32_e32 v11, vcc, 0, v11, vcc
	v_lshl_add_u64 v[10:11], v[10:11], 0, s[0:1]
	v_mov_b32_e32 v12, s9
	v_cmp_lt_i64_e32 vcc, s[8:9], v[10:11]
	s_not_b64 s[0:1], s[40:41]
	s_add_u32 s0, s0, s42
	v_cndmask_b32_e32 v11, v12, v11, vcc
	v_mov_b32_e32 v12, s8
	v_cndmask_b32_e32 v10, v12, v10, vcc
	s_addc_u32 s1, s1, 0
	v_lshl_add_u64 v[10:11], s[0:1], 0, v[10:11]
	v_sub_co_u32_e32 v10, vcc, v10, v0
	s_mov_b64 s[0:1], 0xf00
	s_nop 0
	v_subbrev_co_u32_e32 v11, vcc, 0, v11, vcc
	s_brev_b32 s3, 1
	s_mov_b32 s2, 0
	v_cmp_gt_u64_e64 s[12:13], s[0:1], v[10:11]
	s_mov_b64 s[0:1], 0xeff
	v_pk_mul_f32 v[8:9], v[2:3], s[2:3]
	v_cmp_lt_u64_e32 vcc, s[0:1], v[10:11]
	v_mov_b64_e32 v[14:15], 0
	s_and_saveexec_b64 s[14:15], vcc
	s_cbranch_execz .LBB85_78
; %bb.73:
	v_lshlrev_b32_e32 v26, 3, v0
	v_alignbit_b32 v12, v11, v10, 8
	s_mov_b32 s0, 0x200000
	s_movk_i32 s3, 0x100
	v_cmp_gt_u32_e32 vcc, s0, v12
	v_lshl_or_b32 v12, v12, 11, v26
	v_cmp_gt_u64_e64 s[2:3], s[2:3], v[10:11]
	v_cmp_ge_u32_e64 s[0:1], v12, v26
	s_and_b64 s[2:3], vcc, s[2:3]
	s_and_b64 s[16:17], s[2:3], s[0:1]
	s_mov_b64 s[2:3], -1
	v_mov_b64_e32 v[14:15], 0
	s_and_saveexec_b64 s[0:1], s[16:17]
	s_cbranch_execz .LBB85_77
; %bb.74:
	v_lshrrev_b64 v[10:11], 8, v[10:11]
	v_lshl_add_u64 v[10:11], v[10:11], 0, 1
	v_and_b32_e32 v12, -2, v10
	v_mov_b32_e32 v13, v11
	v_mov_b32_e32 v14, v9
	;; [unrolled: 1-line block ×3, first 2 shown]
	s_waitcnt vmcnt(0)
	v_mov_b32_e32 v16, v8
	v_mov_b32_e32 v17, v8
	;; [unrolled: 1-line block ×8, first 2 shown]
	s_mov_b32 s20, s42
	s_mov_b64 s[16:17], 0x100
	s_mov_b64 s[2:3], 0
	v_mov_b64_e32 v[24:25], v[12:13]
	s_mov_b64 s[18:19], 0
.LBB85_75:                              ; =>This Inner Loop Header: Depth=1
	v_lshl_add_u64 v[30:31], s[18:19], 0, v[4:5]
	v_lshl_add_u64 v[28:29], s[16:17], 0, v[18:19]
	v_lshlrev_b64 v[30:31], 2, v[30:31]
	v_lshlrev_b64 v[28:29], 2, v[28:29]
	v_lshl_add_u64 v[32:33], s[26:27], 0, v[30:31]
	v_lshl_add_u64 v[34:35], s[26:27], 0, v[28:29]
	global_load_dword v27, v[32:33], off
	global_load_dword v36, v[34:35], off
	v_lshl_add_u64 v[30:31], s[28:29], 0, v[30:31]
	v_lshl_add_u64 v[28:29], s[28:29], 0, v[28:29]
	global_load_dword v32, v[30:31], off
	global_load_dword v33, v[28:29], off
	v_lshl_add_u32 v38, s16, 3, v26
	v_lshl_add_u64 v[24:25], v[24:25], 0, -2
	v_cmp_eq_u64_e32 vcc, 0, v[24:25]
	s_waitcnt vmcnt(3)
	v_subrev_u32_e32 v28, s42, v27
	s_waitcnt vmcnt(2)
	v_subrev_u32_e32 v30, s20, v36
	v_ashrrev_i32_e32 v29, 31, v28
	v_ashrrev_i32_e32 v31, 31, v30
	v_lshl_add_u64 v[28:29], v[28:29], 3, s[30:31]
	v_lshl_add_u64 v[30:31], v[30:31], 3, s[30:31]
	global_load_dwordx2 v[36:37], v[28:29], off
	global_load_dwordx2 v[34:35], v[30:31], off
	v_lshl_add_u32 v27, s18, 3, v26
	s_add_u32 s18, s18, 0x200
	s_addc_u32 s19, s19, 0
	s_waitcnt vmcnt(2)
	v_pk_fma_f32 v[28:29], v[20:21], v[32:33], v[14:15]
	v_pk_fma_f32 v[30:31], v[22:23], v[32:33], v[16:17]
	s_add_u32 s16, s16, 0x200
	s_addc_u32 s17, s17, 0
	s_or_b64 s[2:3], vcc, s[2:3]
	s_waitcnt vmcnt(1)
	v_mov_b32_e32 v32, v36
	s_waitcnt vmcnt(0)
	v_mov_b32_e32 v33, v34
	v_mov_b32_e32 v34, v37
	v_pk_mul_f32 v[36:37], v[34:35], v[30:31] neg_lo:[0,1] neg_hi:[0,1]
	v_pk_mul_f32 v[34:35], v[28:29], v[34:35]
	v_pk_fma_f32 v[28:29], v[28:29], v[32:33], v[36:37]
	v_pk_fma_f32 v[30:31], v[30:31], v[32:33], v[34:35]
	v_mov_b32_e32 v32, v28
	v_mov_b32_e32 v33, v30
	v_mov_b32_e32 v30, v29
	ds_write_b64 v27, v[32:33]
	ds_write_b64 v38, v[30:31]
	s_andn2_b64 exec, exec, s[2:3]
	s_cbranch_execnz .LBB85_75
; %bb.76:
	s_or_b64 exec, exec, s[2:3]
	v_cmp_ne_u64_e32 vcc, v[10:11], v[12:13]
	v_lshlrev_b64 v[14:15], 8, v[12:13]
	s_orn2_b64 s[2:3], vcc, exec
.LBB85_77:
	s_or_b64 exec, exec, s[0:1]
	s_andn2_b64 s[0:1], s[12:13], exec
	s_and_b64 s[2:3], s[2:3], exec
	s_or_b64 s[12:13], s[0:1], s[2:3]
.LBB85_78:
	s_or_b64 exec, exec, s[14:15]
	s_and_b64 exec, exec, s[12:13]
	s_cbranch_execz .LBB85_81
; %bb.79:
	v_pk_mov_b32 v[4:5], v[8:9], v[8:9] op_sel:[1,0]
	v_lshl_add_u64 v[8:9], v[14:15], 0, s[40:41]
	v_lshl_add_u64 v[8:9], v[8:9], 0, v[0:1]
	v_subrev_co_u32_e32 v8, vcc, s42, v8
	v_lshlrev_b32_e32 v10, 3, v14
	s_nop 0
	v_subbrev_co_u32_e32 v9, vcc, 0, v9, vcc
	v_lshlrev_b64 v[12:13], 2, v[8:9]
	v_lshl_add_u32 v14, v0, 3, v10
	v_lshl_add_u64 v[10:11], s[28:29], 0, v[12:13]
	v_lshl_add_u64 v[12:13], s[26:27], 0, v[12:13]
	s_mov_b64 s[0:1], 0
	s_mov_b64 s[2:3], 0x100
	;; [unrolled: 1-line block ×3, first 2 shown]
.LBB85_80:                              ; =>This Inner Loop Header: Depth=1
	global_load_dword v15, v[12:13], off
	global_load_dword v16, v[10:11], off
	v_lshl_add_u64 v[8:9], v[8:9], 0, s[2:3]
	v_cmp_le_i64_e32 vcc, s[8:9], v[8:9]
	v_lshl_add_u64 v[10:11], v[10:11], 0, s[12:13]
	v_lshl_add_u64 v[12:13], v[12:13], 0, s[12:13]
	s_or_b64 s[0:1], vcc, s[0:1]
	s_waitcnt vmcnt(1)
	v_subrev_u32_e32 v18, s42, v15
	v_ashrrev_i32_e32 v19, 31, v18
	v_lshl_add_u64 v[18:19], v[18:19], 3, s[30:31]
	global_load_dwordx2 v[18:19], v[18:19], off
	s_waitcnt vmcnt(1)
	v_pk_fma_f32 v[16:17], v[2:3], v[16:17], v[4:5] op_sel_hi:[1,0,1]
	s_nop 0
	v_xor_b32_e32 v20, 0x80000000, v17
	v_mov_b32_e32 v21, v16
	s_waitcnt vmcnt(0)
	v_pk_mul_f32 v[20:21], v[18:19], v[20:21] op_sel:[1,0]
	s_nop 0
	v_pk_fma_f32 v[16:17], v[16:17], v[18:19], v[20:21] op_sel_hi:[1,0,1]
	ds_write_b64 v14, v[16:17]
	v_add_u32_e32 v14, 0x800, v14
	s_andn2_b64 exec, exec, s[0:1]
	s_cbranch_execnz .LBB85_80
.LBB85_81:
	s_or_b64 exec, exec, s[10:11]
                                        ; implicit-def: $vgpr2_vgpr3
                                        ; implicit-def: $vgpr4_vgpr5
.LBB85_82:
	s_or_saveexec_b64 s[0:1], s[6:7]
	v_lshlrev_b32_e32 v12, 3, v0
	s_xor_b64 exec, exec, s[0:1]
	s_cbranch_execz .LBB85_84
; %bb.83:
	v_lshlrev_b64 v[4:5], 2, v[4:5]
	v_lshl_add_u64 v[8:9], s[26:27], 0, v[4:5]
	global_load_dword v11, v[8:9], off
	global_load_dword v13, v[8:9], off offset:1024
	global_load_dword v15, v[8:9], off offset:2048
	;; [unrolled: 1-line block ×3, first 2 shown]
	v_lshl_add_u64 v[4:5], s[28:29], 0, v[4:5]
	global_load_dword v8, v[4:5], off
	global_load_dword v10, v[4:5], off offset:1024
	global_load_dword v14, v[4:5], off offset:2048
	;; [unrolled: 1-line block ×3, first 2 shown]
	s_mov_b32 s2, 0
	s_brev_b32 s3, 1
	s_waitcnt vmcnt(7)
	v_subrev_u32_e32 v4, s42, v11
	s_waitcnt vmcnt(6)
	v_subrev_u32_e32 v18, s42, v13
	;; [unrolled: 2-line block ×4, first 2 shown]
	v_ashrrev_i32_e32 v5, 31, v4
	v_ashrrev_i32_e32 v19, 31, v18
	;; [unrolled: 1-line block ×4, first 2 shown]
	v_lshl_add_u64 v[4:5], v[4:5], 3, s[30:31]
	v_lshl_add_u64 v[18:19], v[18:19], 3, s[30:31]
	;; [unrolled: 1-line block ×4, first 2 shown]
	global_load_dwordx2 v[24:25], v[4:5], off
	global_load_dwordx2 v[26:27], v[18:19], off
	;; [unrolled: 1-line block ×4, first 2 shown]
	v_pk_mul_f32 v[4:5], v[2:3], s[2:3]
	s_waitcnt vmcnt(7)
	v_pk_fma_f32 v[8:9], v[2:3], v[8:9], v[4:5] op_sel:[0,0,1] op_sel_hi:[1,0,0]
	s_waitcnt vmcnt(6)
	v_pk_fma_f32 v[10:11], v[2:3], v[10:11], v[4:5] op_sel:[0,0,1] op_sel_hi:[1,0,0]
	;; [unrolled: 2-line block ×4, first 2 shown]
	v_xor_b32_e32 v4, 0x80000000, v9
	v_mov_b32_e32 v5, v8
	v_xor_b32_e32 v16, 0x80000000, v11
	v_mov_b32_e32 v17, v10
	;; [unrolled: 2-line block ×4, first 2 shown]
	s_waitcnt vmcnt(3)
	v_pk_mul_f32 v[4:5], v[24:25], v[4:5] op_sel:[1,0]
	s_waitcnt vmcnt(2)
	v_pk_mul_f32 v[16:17], v[26:27], v[16:17] op_sel:[1,0]
	;; [unrolled: 2-line block ×4, first 2 shown]
	v_pk_fma_f32 v[4:5], v[8:9], v[24:25], v[4:5] op_sel_hi:[1,0,1]
	v_pk_fma_f32 v[8:9], v[10:11], v[26:27], v[16:17] op_sel_hi:[1,0,1]
	;; [unrolled: 1-line block ×4, first 2 shown]
	ds_write2st64_b64 v12, v[4:5], v[8:9] offset1:4
	ds_write2st64_b64 v12, v[10:11], v[2:3] offset0:8 offset1:12
.LBB85_84:
	s_or_b64 exec, exec, s[0:1]
	s_cmp_lt_i32 s33, 2
	s_mov_b64 s[0:1], -1
	s_waitcnt lgkmcnt(0)
	s_barrier
	s_cbranch_scc0 .LBB85_95
; %bb.85:
	v_lshl_add_u64 v[8:9], s[36:37], 0, v[0:1]
	v_cmp_gt_i64_e32 vcc, s[38:39], v[8:9]
	s_and_saveexec_b64 s[0:1], vcc
	s_cbranch_execz .LBB85_94
; %bb.86:
	v_cmp_neq_f32_e32 vcc, 0, v6
	s_lshl_b32 s6, s40, 3
	s_or_b64 s[2:3], vcc, s[4:5]
	v_xor_b32_e32 v10, 0x80000000, v7
	v_mov_b32_e32 v11, v6
	s_sub_i32 s14, 0, s6
	s_mov_b64 s[6:7], 0
	v_mov_b32_e32 v14, 0
	s_mov_b64 s[8:9], 0x100
	s_branch .LBB85_88
.LBB85_87:                              ;   in Loop: Header=BB85_88 Depth=1
	s_or_b64 exec, exec, s[10:11]
	v_lshl_add_u64 v[8:9], v[8:9], 0, s[8:9]
	v_cmp_le_i64_e32 vcc, s[38:39], v[8:9]
	s_or_b64 s[6:7], vcc, s[6:7]
	global_store_dwordx2 v[2:3], v[4:5], off
	s_andn2_b64 exec, exec, s[6:7]
	s_cbranch_execz .LBB85_94
.LBB85_88:                              ; =>This Loop Header: Depth=1
                                        ;     Child Loop BB85_90 Depth 2
	v_lshl_add_u64 v[2:3], v[8:9], 3, s[24:25]
	global_load_dwordx4 v[2:5], v[2:3], off
	v_mov_b32_e32 v15, v14
	s_waitcnt vmcnt(0)
	v_subrev_u32_e32 v1, s40, v2
	v_subrev_u32_e32 v3, s40, v4
	v_cmp_lt_i32_e32 vcc, v1, v3
	v_mov_b64_e32 v[4:5], v[14:15]
	s_and_saveexec_b64 s[10:11], vcc
	s_cbranch_execz .LBB85_92
; %bb.89:                               ;   in Loop: Header=BB85_88 Depth=1
	v_mov_b32_e32 v4, 0
	v_lshl_add_u32 v2, v2, 3, s14
	s_mov_b64 s[12:13], 0
	v_mov_b32_e32 v5, v4
.LBB85_90:                              ;   Parent Loop BB85_88 Depth=1
                                        ; =>  This Inner Loop Header: Depth=2
	ds_read_b64 v[16:17], v2
	v_add_u32_e32 v1, 1, v1
	v_cmp_ge_i32_e32 vcc, v1, v3
	v_add_u32_e32 v2, 8, v2
	s_or_b64 s[12:13], vcc, s[12:13]
	s_waitcnt lgkmcnt(0)
	v_pk_add_f32 v[4:5], v[4:5], v[16:17]
	s_andn2_b64 exec, exec, s[12:13]
	s_cbranch_execnz .LBB85_90
; %bb.91:                               ;   in Loop: Header=BB85_88 Depth=1
	s_or_b64 exec, exec, s[12:13]
.LBB85_92:                              ;   in Loop: Header=BB85_88 Depth=1
	s_or_b64 exec, exec, s[10:11]
	v_lshl_add_u64 v[2:3], v[8:9], 3, s[22:23]
	s_and_saveexec_b64 s[10:11], s[2:3]
	s_cbranch_execz .LBB85_87
; %bb.93:                               ;   in Loop: Header=BB85_88 Depth=1
	global_load_dwordx2 v[16:17], v[2:3], off
	s_waitcnt vmcnt(0)
	v_pk_fma_f32 v[4:5], v[6:7], v[16:17], v[4:5] op_sel_hi:[1,0,1]
	s_nop 0
	v_pk_fma_f32 v[4:5], v[10:11], v[16:17], v[4:5] op_sel:[0,1,0]
	s_branch .LBB85_87
.LBB85_94:
	s_or_b64 exec, exec, s[0:1]
	s_mov_b64 s[0:1], 0
.LBB85_95:
	s_andn2_b64 vcc, exec, s[0:1]
	s_cbranch_vccnz .LBB85_120
; %bb.96:
	s_flbit_i32_b32 s0, s33
	s_xor_b32 s0, s0, 31
	v_lshrrev_b32_e32 v4, s0, v0
	v_mov_b32_e32 v5, 0
	v_lshl_add_u64 v[2:3], s[36:37], 0, v[4:5]
	s_add_i32 s0, s33, -1
	v_and_b32_e32 v8, s0, v0
	v_cmp_le_i64_e32 vcc, s[38:39], v[2:3]
	v_cmp_gt_i64_e64 s[0:1], s[38:39], v[2:3]
	v_mov_b32_e32 v0, v5
	v_mov_b32_e32 v1, v5
	s_and_saveexec_b64 s[2:3], s[0:1]
	s_cbranch_execz .LBB85_102
; %bb.97:
	v_lshlrev_b32_e32 v0, 3, v4
	global_load_dword v1, v0, s[34:35] offset:8
	global_load_dword v4, v0, s[34:35]
	s_waitcnt vmcnt(1)
	v_subrev_u32_e32 v0, s40, v1
	s_waitcnt vmcnt(0)
	v_subrev_u32_e32 v1, s40, v4
	v_add_u32_e32 v1, v8, v1
	v_cmp_lt_i32_e64 s[0:1], v1, v0
	v_mov_b32_e32 v4, v5
	s_and_saveexec_b64 s[6:7], s[0:1]
	s_cbranch_execz .LBB85_101
; %bb.98:
	v_mov_b32_e32 v4, 0
	v_lshlrev_b32_e32 v9, 3, v1
	s_lshl_b32 s10, s33, 3
	s_mov_b64 s[8:9], 0
	v_mov_b32_e32 v5, v4
.LBB85_99:                              ; =>This Inner Loop Header: Depth=1
	ds_read_b64 v[10:11], v9
	v_add_u32_e32 v1, s33, v1
	v_cmp_ge_i32_e64 s[0:1], v1, v0
	v_add_u32_e32 v9, s10, v9
	s_or_b64 s[8:9], s[0:1], s[8:9]
	s_waitcnt lgkmcnt(0)
	v_pk_add_f32 v[4:5], v[4:5], v[10:11]
	s_andn2_b64 exec, exec, s[8:9]
	s_cbranch_execnz .LBB85_99
; %bb.100:
	s_or_b64 exec, exec, s[8:9]
.LBB85_101:
	s_or_b64 exec, exec, s[6:7]
	v_mov_b64_e32 v[0:1], v[4:5]
.LBB85_102:
	s_or_b64 exec, exec, s[2:3]
	s_cmpk_lt_u32 s33, 0x81
	s_barrier
	ds_write_b64 v12, v[0:1]
	s_waitcnt lgkmcnt(0)
	s_barrier
	s_cbranch_scc1 .LBB85_104
; %bb.103:
	ds_read_b64 v[4:5], v12 offset:1024
	s_waitcnt lgkmcnt(0)
	s_barrier
	v_pk_add_f32 v[0:1], v[0:1], v[4:5]
	ds_write_b64 v12, v[0:1]
.LBB85_104:
	s_cmpk_lt_u32 s33, 0x41
	s_waitcnt lgkmcnt(0)
	s_barrier
	s_cbranch_scc1 .LBB85_106
; %bb.105:
	ds_read_b64 v[4:5], v12 offset:512
	s_waitcnt lgkmcnt(0)
	s_barrier
	v_pk_add_f32 v[0:1], v[0:1], v[4:5]
	ds_write_b64 v12, v[0:1]
.LBB85_106:
	s_cmp_lt_u32 s33, 33
	s_waitcnt lgkmcnt(0)
	s_barrier
	s_cbranch_scc1 .LBB85_108
; %bb.107:
	ds_read_b64 v[4:5], v12 offset:256
	s_waitcnt lgkmcnt(0)
	s_barrier
	v_pk_add_f32 v[0:1], v[0:1], v[4:5]
	ds_write_b64 v12, v[0:1]
.LBB85_108:
	s_cmp_lt_u32 s33, 17
	;; [unrolled: 11-line block ×4, first 2 shown]
	s_waitcnt lgkmcnt(0)
	s_barrier
	s_cbranch_scc1 .LBB85_114
; %bb.113:
	ds_read_b64 v[4:5], v12 offset:32
	s_waitcnt lgkmcnt(0)
	s_barrier
	v_pk_add_f32 v[0:1], v[0:1], v[4:5]
	ds_write_b64 v12, v[0:1]
.LBB85_114:
	s_cmp_eq_u32 s33, 2
	s_waitcnt lgkmcnt(0)
	s_barrier
	s_cbranch_scc1 .LBB85_116
; %bb.115:
	ds_read_b64 v[4:5], v12 offset:16
	s_waitcnt lgkmcnt(0)
	s_barrier
	v_pk_add_f32 v[0:1], v[0:1], v[4:5]
	ds_write_b64 v12, v[0:1]
.LBB85_116:
	s_waitcnt lgkmcnt(0)
	s_barrier
	ds_read_b64 v[4:5], v12 offset:8
	v_cmp_eq_u32_e64 s[0:1], 0, v8
	s_xor_b64 s[2:3], vcc, -1
	s_and_b64 s[0:1], s[0:1], s[2:3]
	s_waitcnt lgkmcnt(0)
	v_pk_add_f32 v[0:1], v[0:1], v[4:5]
	s_barrier
	ds_write_b64 v12, v[0:1]
	s_and_b64 exec, exec, s[0:1]
	s_cbranch_execz .LBB85_120
; %bb.117:
	v_cmp_neq_f32_e32 vcc, 0, v6
	s_or_b64 s[2:3], vcc, s[4:5]
	v_lshl_add_u64 v[2:3], v[2:3], 3, s[22:23]
	s_and_saveexec_b64 s[0:1], s[2:3]
	s_cbranch_execz .LBB85_119
; %bb.118:
	global_load_dwordx2 v[4:5], v[2:3], off
	v_xor_b32_e32 v8, 0x80000000, v7
	v_mov_b32_e32 v9, v6
	s_waitcnt vmcnt(0)
	v_pk_fma_f32 v[0:1], v[6:7], v[4:5], v[0:1] op_sel_hi:[1,0,1]
	s_nop 0
	v_pk_fma_f32 v[0:1], v[8:9], v[4:5], v[0:1] op_sel:[0,1,0]
.LBB85_119:
	s_or_b64 exec, exec, s[0:1]
	global_store_dwordx2 v[2:3], v[0:1], off
.LBB85_120:
	s_endpgm
	.section	.rodata,"a",@progbits
	.p2align	6, 0x0
	.amdhsa_kernel _ZN9rocsparseL22csrmvn_adaptive_kernelIlif21rocsparse_complex_numIfES2_S2_EEvbT_PKS3_PjPKT0_NS_24const_host_device_scalarIT4_EES5_S9_PKT1_PKT2_SC_PT3_21rocsparse_index_base_b
		.amdhsa_group_segment_fixed_size 8192
		.amdhsa_private_segment_fixed_size 0
		.amdhsa_kernarg_size 104
		.amdhsa_user_sgpr_count 2
		.amdhsa_user_sgpr_dispatch_ptr 0
		.amdhsa_user_sgpr_queue_ptr 0
		.amdhsa_user_sgpr_kernarg_segment_ptr 1
		.amdhsa_user_sgpr_dispatch_id 0
		.amdhsa_user_sgpr_kernarg_preload_length 0
		.amdhsa_user_sgpr_kernarg_preload_offset 0
		.amdhsa_user_sgpr_private_segment_size 0
		.amdhsa_uses_dynamic_stack 0
		.amdhsa_enable_private_segment 0
		.amdhsa_system_sgpr_workgroup_id_x 1
		.amdhsa_system_sgpr_workgroup_id_y 0
		.amdhsa_system_sgpr_workgroup_id_z 0
		.amdhsa_system_sgpr_workgroup_info 0
		.amdhsa_system_vgpr_workitem_id 0
		.amdhsa_next_free_vgpr 39
		.amdhsa_next_free_sgpr 68
		.amdhsa_accum_offset 40
		.amdhsa_reserve_vcc 1
		.amdhsa_float_round_mode_32 0
		.amdhsa_float_round_mode_16_64 0
		.amdhsa_float_denorm_mode_32 3
		.amdhsa_float_denorm_mode_16_64 3
		.amdhsa_dx10_clamp 1
		.amdhsa_ieee_mode 1
		.amdhsa_fp16_overflow 0
		.amdhsa_tg_split 0
		.amdhsa_exception_fp_ieee_invalid_op 0
		.amdhsa_exception_fp_denorm_src 0
		.amdhsa_exception_fp_ieee_div_zero 0
		.amdhsa_exception_fp_ieee_overflow 0
		.amdhsa_exception_fp_ieee_underflow 0
		.amdhsa_exception_fp_ieee_inexact 0
		.amdhsa_exception_int_div_zero 0
	.end_amdhsa_kernel
	.section	.text._ZN9rocsparseL22csrmvn_adaptive_kernelIlif21rocsparse_complex_numIfES2_S2_EEvbT_PKS3_PjPKT0_NS_24const_host_device_scalarIT4_EES5_S9_PKT1_PKT2_SC_PT3_21rocsparse_index_base_b,"axG",@progbits,_ZN9rocsparseL22csrmvn_adaptive_kernelIlif21rocsparse_complex_numIfES2_S2_EEvbT_PKS3_PjPKT0_NS_24const_host_device_scalarIT4_EES5_S9_PKT1_PKT2_SC_PT3_21rocsparse_index_base_b,comdat
.Lfunc_end85:
	.size	_ZN9rocsparseL22csrmvn_adaptive_kernelIlif21rocsparse_complex_numIfES2_S2_EEvbT_PKS3_PjPKT0_NS_24const_host_device_scalarIT4_EES5_S9_PKT1_PKT2_SC_PT3_21rocsparse_index_base_b, .Lfunc_end85-_ZN9rocsparseL22csrmvn_adaptive_kernelIlif21rocsparse_complex_numIfES2_S2_EEvbT_PKS3_PjPKT0_NS_24const_host_device_scalarIT4_EES5_S9_PKT1_PKT2_SC_PT3_21rocsparse_index_base_b
                                        ; -- End function
	.set _ZN9rocsparseL22csrmvn_adaptive_kernelIlif21rocsparse_complex_numIfES2_S2_EEvbT_PKS3_PjPKT0_NS_24const_host_device_scalarIT4_EES5_S9_PKT1_PKT2_SC_PT3_21rocsparse_index_base_b.num_vgpr, 39
	.set _ZN9rocsparseL22csrmvn_adaptive_kernelIlif21rocsparse_complex_numIfES2_S2_EEvbT_PKS3_PjPKT0_NS_24const_host_device_scalarIT4_EES5_S9_PKT1_PKT2_SC_PT3_21rocsparse_index_base_b.num_agpr, 0
	.set _ZN9rocsparseL22csrmvn_adaptive_kernelIlif21rocsparse_complex_numIfES2_S2_EEvbT_PKS3_PjPKT0_NS_24const_host_device_scalarIT4_EES5_S9_PKT1_PKT2_SC_PT3_21rocsparse_index_base_b.numbered_sgpr, 68
	.set _ZN9rocsparseL22csrmvn_adaptive_kernelIlif21rocsparse_complex_numIfES2_S2_EEvbT_PKS3_PjPKT0_NS_24const_host_device_scalarIT4_EES5_S9_PKT1_PKT2_SC_PT3_21rocsparse_index_base_b.num_named_barrier, 0
	.set _ZN9rocsparseL22csrmvn_adaptive_kernelIlif21rocsparse_complex_numIfES2_S2_EEvbT_PKS3_PjPKT0_NS_24const_host_device_scalarIT4_EES5_S9_PKT1_PKT2_SC_PT3_21rocsparse_index_base_b.private_seg_size, 0
	.set _ZN9rocsparseL22csrmvn_adaptive_kernelIlif21rocsparse_complex_numIfES2_S2_EEvbT_PKS3_PjPKT0_NS_24const_host_device_scalarIT4_EES5_S9_PKT1_PKT2_SC_PT3_21rocsparse_index_base_b.uses_vcc, 1
	.set _ZN9rocsparseL22csrmvn_adaptive_kernelIlif21rocsparse_complex_numIfES2_S2_EEvbT_PKS3_PjPKT0_NS_24const_host_device_scalarIT4_EES5_S9_PKT1_PKT2_SC_PT3_21rocsparse_index_base_b.uses_flat_scratch, 0
	.set _ZN9rocsparseL22csrmvn_adaptive_kernelIlif21rocsparse_complex_numIfES2_S2_EEvbT_PKS3_PjPKT0_NS_24const_host_device_scalarIT4_EES5_S9_PKT1_PKT2_SC_PT3_21rocsparse_index_base_b.has_dyn_sized_stack, 0
	.set _ZN9rocsparseL22csrmvn_adaptive_kernelIlif21rocsparse_complex_numIfES2_S2_EEvbT_PKS3_PjPKT0_NS_24const_host_device_scalarIT4_EES5_S9_PKT1_PKT2_SC_PT3_21rocsparse_index_base_b.has_recursion, 0
	.set _ZN9rocsparseL22csrmvn_adaptive_kernelIlif21rocsparse_complex_numIfES2_S2_EEvbT_PKS3_PjPKT0_NS_24const_host_device_scalarIT4_EES5_S9_PKT1_PKT2_SC_PT3_21rocsparse_index_base_b.has_indirect_call, 0
	.section	.AMDGPU.csdata,"",@progbits
; Kernel info:
; codeLenInByte = 4980
; TotalNumSgprs: 74
; NumVgprs: 39
; NumAgprs: 0
; TotalNumVgprs: 39
; ScratchSize: 0
; MemoryBound: 0
; FloatMode: 240
; IeeeMode: 1
; LDSByteSize: 8192 bytes/workgroup (compile time only)
; SGPRBlocks: 9
; VGPRBlocks: 4
; NumSGPRsForWavesPerEU: 74
; NumVGPRsForWavesPerEU: 39
; AccumOffset: 40
; Occupancy: 8
; WaveLimiterHint : 1
; COMPUTE_PGM_RSRC2:SCRATCH_EN: 0
; COMPUTE_PGM_RSRC2:USER_SGPR: 2
; COMPUTE_PGM_RSRC2:TRAP_HANDLER: 0
; COMPUTE_PGM_RSRC2:TGID_X_EN: 1
; COMPUTE_PGM_RSRC2:TGID_Y_EN: 0
; COMPUTE_PGM_RSRC2:TGID_Z_EN: 0
; COMPUTE_PGM_RSRC2:TIDIG_COMP_CNT: 0
; COMPUTE_PGM_RSRC3_GFX90A:ACCUM_OFFSET: 9
; COMPUTE_PGM_RSRC3_GFX90A:TG_SPLIT: 0
	.section	.text._ZN9rocsparseL27csrmvn_symm_adaptive_kernelIlif21rocsparse_complex_numIfES2_S2_EEvbT_S3_PKS3_NS_24const_host_device_scalarIT4_EES5_PKT0_PKT1_PKT2_S8_PT3_21rocsparse_index_base_b,"axG",@progbits,_ZN9rocsparseL27csrmvn_symm_adaptive_kernelIlif21rocsparse_complex_numIfES2_S2_EEvbT_S3_PKS3_NS_24const_host_device_scalarIT4_EES5_PKT0_PKT1_PKT2_S8_PT3_21rocsparse_index_base_b,comdat
	.globl	_ZN9rocsparseL27csrmvn_symm_adaptive_kernelIlif21rocsparse_complex_numIfES2_S2_EEvbT_S3_PKS3_NS_24const_host_device_scalarIT4_EES5_PKT0_PKT1_PKT2_S8_PT3_21rocsparse_index_base_b ; -- Begin function _ZN9rocsparseL27csrmvn_symm_adaptive_kernelIlif21rocsparse_complex_numIfES2_S2_EEvbT_S3_PKS3_NS_24const_host_device_scalarIT4_EES5_PKT0_PKT1_PKT2_S8_PT3_21rocsparse_index_base_b
	.p2align	8
	.type	_ZN9rocsparseL27csrmvn_symm_adaptive_kernelIlif21rocsparse_complex_numIfES2_S2_EEvbT_S3_PKS3_NS_24const_host_device_scalarIT4_EES5_PKT0_PKT1_PKT2_S8_PT3_21rocsparse_index_base_b,@function
_ZN9rocsparseL27csrmvn_symm_adaptive_kernelIlif21rocsparse_complex_numIfES2_S2_EEvbT_S3_PKS3_NS_24const_host_device_scalarIT4_EES5_PKT0_PKT1_PKT2_S8_PT3_21rocsparse_index_base_b: ; @_ZN9rocsparseL27csrmvn_symm_adaptive_kernelIlif21rocsparse_complex_numIfES2_S2_EEvbT_S3_PKS3_NS_24const_host_device_scalarIT4_EES5_PKT0_PKT1_PKT2_S8_PT3_21rocsparse_index_base_b
; %bb.0:
	s_load_dwordx2 s[28:29], s[0:1], 0x58
	s_load_dwordx2 s[4:5], s[0:1], 0x20
	s_add_u32 s3, s0, 32
	s_addc_u32 s10, s1, 0
	s_waitcnt lgkmcnt(0)
	s_bitcmp1_b32 s29, 0
	s_cselect_b64 s[8:9], -1, 0
	s_and_b64 s[6:7], s[8:9], exec
	s_cselect_b32 s5, s10, s5
	s_cselect_b32 s3, s3, s4
	v_mov_b32_e32 v2, s3
	v_mov_b32_e32 v3, s5
	flat_load_dwordx2 v[2:3], v[2:3]
	s_waitcnt vmcnt(0) lgkmcnt(0)
	v_cmp_eq_f32_e32 vcc, 0, v2
	v_cmp_eq_f32_e64 s[4:5], 0, v3
	s_and_b64 s[10:11], vcc, s[4:5]
	s_mov_b64 s[4:5], -1
	s_and_saveexec_b64 s[6:7], s[10:11]
	s_cbranch_execz .LBB86_2
; %bb.1:
	s_load_dwordx2 s[4:5], s[0:1], 0x48
	s_add_u32 s3, s0, 0x48
	s_addc_u32 s10, s1, 0
	s_and_b64 s[8:9], s[8:9], exec
	s_waitcnt lgkmcnt(0)
	s_cselect_b32 s5, s10, s5
	s_cselect_b32 s3, s3, s4
	v_mov_b32_e32 v4, s3
	v_mov_b32_e32 v5, s5
	flat_load_dwordx2 v[4:5], v[4:5]
	s_waitcnt vmcnt(0) lgkmcnt(0)
	v_cmp_neq_f32_e32 vcc, 1.0, v4
	v_cmp_neq_f32_e64 s[4:5], 0, v5
	s_or_b64 s[4:5], vcc, s[4:5]
	s_orn2_b64 s[4:5], s[4:5], exec
.LBB86_2:
	s_or_b64 exec, exec, s[6:7]
	s_and_saveexec_b64 s[6:7], s[4:5]
	s_cbranch_execz .LBB86_153
; %bb.3:
	s_load_dwordx2 s[4:5], s[0:1], 0x18
	s_ashr_i32 s3, s2, 31
	s_mov_b32 s6, 0
	s_lshl_b64 s[2:3], s[2:3], 3
	s_mov_b32 s7, s6
	s_waitcnt lgkmcnt(0)
	s_add_u32 s2, s4, s2
	v_lshlrev_b32_e32 v26, 3, v0
	v_mov_b64_e32 v[4:5], s[6:7]
	s_addc_u32 s3, s5, s3
	ds_write2st64_b64 v26, v[4:5], v[4:5] offset1:4
	ds_write2st64_b64 v26, v[4:5], v[4:5] offset0:8 offset1:12
	s_waitcnt lgkmcnt(0)
	s_barrier
	s_load_dwordx4 s[20:23], s[2:3], 0x0
	s_load_dwordx8 s[12:19], s[0:1], 0x28
	s_load_dwordx2 s[24:25], s[0:1], 0x50
	s_mov_b64 s[2:3], -1
	s_waitcnt lgkmcnt(0)
	s_sub_u32 s26, s22, s20
	s_subb_u32 s27, s23, s21
	v_cmp_gt_i64_e64 s[4:5], s[26:27], 2
	s_and_b64 vcc, exec, s[4:5]
	s_cbranch_vccnz .LBB86_40
; %bb.4:
	v_mov_b64_e32 v[4:5], s[20:21]
	v_cmp_le_i64_e32 vcc, s[22:23], v[4:5]
	v_subrev_co_u32_e64 v4, s[2:3], s28, v0
	v_mov_b32_e32 v7, 0
	s_nop 0
	v_subb_co_u32_e64 v5, s[2:3], 0, 0, s[2:3]
	s_cbranch_vccnz .LBB86_30
; %bb.5:
	s_movk_i32 s2, 0x100
	v_cmp_gt_u32_e64 s[2:3], s2, v0
	v_cmp_gt_u32_e64 s[4:5], 64, v0
	;; [unrolled: 1-line block ×4, first 2 shown]
	v_cmp_eq_u32_e64 s[10:11], 0, v0
	v_bfrev_b32_e32 v8, 1
	s_mov_b64 s[30:31], 0x100
	s_mov_b64 s[34:35], 0x400
	v_mov_b64_e32 v[10:11], s[22:23]
	s_mov_b64 s[36:37], s[20:21]
	s_branch .LBB86_7
.LBB86_6:                               ;   in Loop: Header=BB86_7 Depth=1
	s_or_b64 exec, exec, s[40:41]
	s_add_u32 s36, s36, 1
	s_addc_u32 s37, s37, 0
	v_cmp_ge_i64_e32 vcc, s[36:37], v[10:11]
	s_cbranch_vccnz .LBB86_30
.LBB86_7:                               ; =>This Loop Header: Depth=1
                                        ;     Child Loop BB86_9 Depth 2
                                        ;     Child Loop BB86_23 Depth 2
	;; [unrolled: 1-line block ×3, first 2 shown]
	s_lshl_b64 s[38:39], s[36:37], 3
	s_add_u32 s44, s12, s38
	s_addc_u32 s45, s13, s39
	s_load_dwordx4 s[40:43], s[44:45], 0x0
	v_mov_b32_e32 v13, 0
	v_mov_b32_e32 v12, v13
	s_waitcnt lgkmcnt(0)
	s_sub_u32 s42, s42, s28
	v_lshl_add_u64 v[14:15], s[40:41], 0, v[4:5]
	s_subb_u32 s43, s43, 0
	v_cmp_gt_i64_e32 vcc, s[42:43], v[14:15]
	s_and_saveexec_b64 s[40:41], vcc
	s_cbranch_execz .LBB86_11
; %bb.8:                                ;   in Loop: Header=BB86_7 Depth=1
	v_lshlrev_b64 v[12:13], 2, v[14:15]
	v_lshl_add_u64 v[16:17], s[14:15], 0, v[12:13]
	v_lshl_add_u64 v[18:19], s[16:17], 0, v[12:13]
	v_mov_b32_e32 v12, 0
	s_mov_b64 s[44:45], 0
	v_mov_b32_e32 v13, v12
.LBB86_9:                               ;   Parent Loop BB86_7 Depth=1
                                        ; =>  This Inner Loop Header: Depth=2
	global_load_dword v1, v[16:17], off
	global_load_dword v6, v[18:19], off
	v_lshl_add_u64 v[14:15], v[14:15], 0, s[30:31]
	v_cmp_le_i64_e32 vcc, s[42:43], v[14:15]
	v_lshl_add_u64 v[16:17], v[16:17], 0, s[34:35]
	v_lshl_add_u64 v[18:19], v[18:19], 0, s[34:35]
	s_or_b64 s[44:45], vcc, s[44:45]
	s_waitcnt vmcnt(1)
	v_subrev_u32_e32 v20, s28, v1
	v_ashrrev_i32_e32 v21, 31, v20
	v_lshl_add_u64 v[20:21], v[20:21], 3, s[18:19]
	global_load_dwordx2 v[20:21], v[20:21], off
	s_waitcnt vmcnt(1)
	v_mov_b32_e32 v9, v6
	s_waitcnt vmcnt(0)
	v_pk_fma_f32 v[12:13], v[20:21], v[6:7], v[12:13] op_sel_hi:[0,1,1]
	v_pk_fma_f32 v[12:13], v[20:21], v[8:9], v[12:13] op_sel:[1,0,0]
	s_andn2_b64 exec, exec, s[44:45]
	s_cbranch_execnz .LBB86_9
; %bb.10:                               ;   in Loop: Header=BB86_7 Depth=1
	s_or_b64 exec, exec, s[44:45]
.LBB86_11:                              ;   in Loop: Header=BB86_7 Depth=1
	s_or_b64 exec, exec, s[40:41]
	ds_write_b64 v26, v[12:13]
	s_waitcnt lgkmcnt(0)
	s_barrier
	s_and_saveexec_b64 s[40:41], s[2:3]
	s_cbranch_execz .LBB86_13
; %bb.12:                               ;   in Loop: Header=BB86_7 Depth=1
	ds_read2st64_b64 v[12:15], v26 offset1:4
	ds_read2st64_b64 v[16:19], v26 offset0:8 offset1:12
	s_waitcnt lgkmcnt(0)
	v_pk_add_f32 v[14:15], v[16:17], v[14:15]
	s_nop 0
	v_pk_add_f32 v[14:15], v[18:19], v[14:15]
	s_nop 0
	v_pk_add_f32 v[12:13], v[14:15], v[12:13]
	ds_write_b64 v26, v[12:13]
.LBB86_13:                              ;   in Loop: Header=BB86_7 Depth=1
	s_or_b64 exec, exec, s[40:41]
	s_waitcnt lgkmcnt(0)
	s_barrier
	s_and_saveexec_b64 s[40:41], s[4:5]
	s_cbranch_execz .LBB86_15
; %bb.14:                               ;   in Loop: Header=BB86_7 Depth=1
	ds_read2st64_b64 v[12:15], v26 offset1:1
	ds_read2st64_b64 v[16:19], v26 offset0:2 offset1:3
	s_waitcnt lgkmcnt(0)
	v_pk_add_f32 v[14:15], v[16:17], v[14:15]
	s_nop 0
	v_pk_add_f32 v[14:15], v[18:19], v[14:15]
	s_nop 0
	v_pk_add_f32 v[12:13], v[14:15], v[12:13]
	ds_write_b64 v26, v[12:13]
.LBB86_15:                              ;   in Loop: Header=BB86_7 Depth=1
	s_or_b64 exec, exec, s[40:41]
	s_waitcnt lgkmcnt(0)
	s_barrier
	s_and_saveexec_b64 s[40:41], s[6:7]
	s_cbranch_execz .LBB86_17
; %bb.16:                               ;   in Loop: Header=BB86_7 Depth=1
	ds_read2_b64 v[12:15], v26 offset1:16
	ds_read2_b64 v[16:19], v26 offset0:32 offset1:48
	s_waitcnt lgkmcnt(0)
	v_pk_add_f32 v[14:15], v[16:17], v[14:15]
	s_nop 0
	v_pk_add_f32 v[14:15], v[18:19], v[14:15]
	s_nop 0
	v_pk_add_f32 v[12:13], v[14:15], v[12:13]
	ds_write_b64 v26, v[12:13]
.LBB86_17:                              ;   in Loop: Header=BB86_7 Depth=1
	s_or_b64 exec, exec, s[40:41]
	s_waitcnt lgkmcnt(0)
	s_barrier
	s_and_saveexec_b64 s[40:41], s[8:9]
	s_cbranch_execz .LBB86_19
; %bb.18:                               ;   in Loop: Header=BB86_7 Depth=1
	ds_read2_b64 v[12:15], v26 offset1:4
	ds_read2_b64 v[16:19], v26 offset0:8 offset1:12
	s_waitcnt lgkmcnt(0)
	v_pk_add_f32 v[14:15], v[16:17], v[14:15]
	s_nop 0
	v_pk_add_f32 v[14:15], v[18:19], v[14:15]
	s_nop 0
	v_pk_add_f32 v[12:13], v[14:15], v[12:13]
	ds_write_b64 v26, v[12:13]
.LBB86_19:                              ;   in Loop: Header=BB86_7 Depth=1
	s_or_b64 exec, exec, s[40:41]
	s_waitcnt lgkmcnt(0)
	s_barrier
	s_and_saveexec_b64 s[40:41], s[10:11]
	s_cbranch_execz .LBB86_21
; %bb.20:                               ;   in Loop: Header=BB86_7 Depth=1
	ds_read_b128 v[12:15], v7 offset:16
	ds_read_b64 v[16:17], v7 offset:8
	ds_read_b64 v[18:19], v26
	s_waitcnt lgkmcnt(1)
	v_pk_add_f32 v[12:13], v[12:13], v[16:17]
	s_nop 0
	v_pk_add_f32 v[12:13], v[14:15], v[12:13]
	s_waitcnt lgkmcnt(0)
	v_pk_add_f32 v[12:13], v[12:13], v[18:19]
	ds_write_b64 v26, v[12:13]
.LBB86_21:                              ;   in Loop: Header=BB86_7 Depth=1
	s_or_b64 exec, exec, s[40:41]
	s_waitcnt lgkmcnt(0)
	s_barrier
	s_and_saveexec_b64 s[40:41], s[10:11]
	s_cbranch_execz .LBB86_6
; %bb.22:                               ;   in Loop: Header=BB86_7 Depth=1
	ds_read_b64 v[12:13], v7
	s_mov_b64 s[42:43], exec
	v_bfrev_b32_e32 v1, 1
	s_waitcnt lgkmcnt(0)
	v_mul_f32_e64 v6, v13, -v3
	v_fmac_f32_e32 v6, v2, v12
.LBB86_23:                              ;   Parent Loop BB86_7 Depth=1
                                        ; =>  This Inner Loop Header: Depth=2
	s_ff1_i32_b64 s29, s[42:43]
	s_lshl_b64 s[44:45], 1, s29
	v_readlane_b32 s33, v6, s29
	s_andn2_b64 s[42:43], s[42:43], s[44:45]
	s_cmp_lg_u64 s[42:43], 0
	v_add_f32_e32 v1, s33, v1
	s_cbranch_scc1 .LBB86_23
; %bb.24:                               ;   in Loop: Header=BB86_7 Depth=1
	v_mbcnt_lo_u32_b32 v6, exec_lo, 0
	s_add_u32 s38, s24, s38
	v_mbcnt_hi_u32_b32 v6, exec_hi, v6
	s_addc_u32 s39, s25, s39
	v_cmp_eq_u32_e32 vcc, 0, v6
	s_and_saveexec_b64 s[42:43], vcc
	s_xor_b64 s[42:43], exec, s[42:43]
	s_cbranch_execz .LBB86_26
; %bb.25:                               ;   in Loop: Header=BB86_7 Depth=1
	global_atomic_add_f32 v7, v1, s[38:39]
.LBB86_26:                              ;   in Loop: Header=BB86_7 Depth=1
	s_or_b64 exec, exec, s[42:43]
	v_mul_f32_e32 v6, v2, v13
	s_mov_b64 s[42:43], exec
	v_fmac_f32_e32 v6, v3, v12
	v_bfrev_b32_e32 v1, 1
.LBB86_27:                              ;   Parent Loop BB86_7 Depth=1
                                        ; =>  This Inner Loop Header: Depth=2
	s_ff1_i32_b64 s29, s[42:43]
	s_lshl_b64 s[44:45], 1, s29
	v_readlane_b32 s33, v6, s29
	s_andn2_b64 s[42:43], s[42:43], s[44:45]
	s_cmp_lg_u64 s[42:43], 0
	v_add_f32_e32 v1, s33, v1
	s_cbranch_scc1 .LBB86_27
; %bb.28:                               ;   in Loop: Header=BB86_7 Depth=1
	v_mbcnt_lo_u32_b32 v6, exec_lo, 0
	v_mbcnt_hi_u32_b32 v6, exec_hi, v6
	v_cmp_eq_u32_e32 vcc, 0, v6
	s_and_saveexec_b64 s[42:43], vcc
	s_xor_b64 s[42:43], exec, s[42:43]
	s_cbranch_execz .LBB86_6
; %bb.29:                               ;   in Loop: Header=BB86_7 Depth=1
	global_atomic_add_f32 v7, v1, s[38:39] offset:4
	s_branch .LBB86_6
.LBB86_30:
	s_lshl_b64 s[2:3], s[20:21], 3
	s_add_u32 s2, s12, s2
	s_addc_u32 s3, s13, s3
	s_lshl_b64 s[4:5], s[22:23], 3
	s_add_u32 s4, s12, s4
	s_addc_u32 s5, s13, s5
	s_load_dwordx2 s[6:7], s[4:5], 0x0
	s_load_dwordx2 s[8:9], s[2:3], 0x0
	s_waitcnt lgkmcnt(0)
	s_sub_u32 s6, s6, s28
	s_subb_u32 s7, s7, 0
	v_lshl_add_u64 v[4:5], s[8:9], 0, v[4:5]
	v_cmp_gt_i64_e32 vcc, s[6:7], v[4:5]
	s_and_saveexec_b64 s[8:9], vcc
	s_cbranch_execz .LBB86_39
; %bb.31:
	s_add_u32 s10, s22, -1
	s_addc_u32 s11, s23, -1
	s_add_u32 s2, s22, -2
	s_addc_u32 s3, s23, -1
	v_mov_b64_e32 v[6:7], s[10:11]
	s_cmp_lg_u64 s[20:21], s[2:3]
	v_cmp_lt_i64_e32 vcc, s[20:21], v[6:7]
	s_cselect_b64 s[2:3], -1, 0
	s_and_b64 s[2:3], vcc, s[2:3]
	v_cndmask_b32_e64 v6, 0, 1, s[2:3]
	v_mul_f32_e32 v1, 0x80000000, v3
	v_mul_f32_e32 v14, 0, v2
	s_mov_b64 s[30:31], 0
	v_cmp_ne_u32_e64 s[2:3], 1, v6
	v_mov_b32_e32 v7, 0
	s_mov_b64 s[34:35], 0x100
	s_branch .LBB86_33
.LBB86_32:                              ;   in Loop: Header=BB86_33 Depth=1
	s_or_b64 exec, exec, s[4:5]
	v_lshl_add_u64 v[4:5], v[4:5], 0, s[34:35]
	v_cmp_le_i64_e32 vcc, s[6:7], v[4:5]
	s_or_b64 s[30:31], vcc, s[30:31]
	s_andn2_b64 exec, exec, s[30:31]
	s_cbranch_execz .LBB86_39
.LBB86_33:                              ; =>This Loop Header: Depth=1
                                        ;     Child Loop BB86_35 Depth 2
	s_and_b64 vcc, exec, s[2:3]
	v_mov_b64_e32 v[8:9], s[20:21]
	v_mov_b64_e32 v[10:11], s[10:11]
	s_cbranch_vccnz .LBB86_37
; %bb.34:                               ;   in Loop: Header=BB86_33 Depth=1
	s_mov_b64 s[36:37], 0
	v_mov_b64_e32 v[8:9], s[20:21]
	v_mov_b64_e32 v[10:11], s[10:11]
.LBB86_35:                              ;   Parent Loop BB86_33 Depth=1
                                        ; =>  This Inner Loop Header: Depth=2
	v_lshl_add_u64 v[12:13], v[10:11], 0, v[8:9]
	v_lshrrev_b32_e32 v6, 31, v13
	v_lshl_add_u64 v[12:13], v[12:13], 0, v[6:7]
	v_ashrrev_i64 v[12:13], 1, v[12:13]
	v_lshl_add_u64 v[16:17], v[12:13], 3, s[12:13]
	global_load_dwordx2 v[16:17], v[16:17], off
	s_waitcnt vmcnt(0)
	v_subrev_co_u32_e32 v16, vcc, s28, v16
	s_nop 1
	v_subbrev_co_u32_e32 v17, vcc, 0, v17, vcc
	v_cmp_lt_i64_e32 vcc, v[4:5], v[16:17]
	s_nop 1
	v_cndmask_b32_e32 v11, v11, v13, vcc
	v_cndmask_b32_e32 v10, v10, v12, vcc
	;; [unrolled: 1-line block ×4, first 2 shown]
	v_lshl_add_u64 v[12:13], v[10:11], 0, -1
	v_cmp_ge_i64_e32 vcc, v[8:9], v[10:11]
	v_cmp_eq_u64_e64 s[4:5], v[8:9], v[12:13]
	s_or_b64 s[4:5], vcc, s[4:5]
	s_and_b64 s[4:5], exec, s[4:5]
	s_or_b64 s[36:37], s[4:5], s[36:37]
	s_andn2_b64 exec, exec, s[36:37]
	s_cbranch_execnz .LBB86_35
; %bb.36:                               ;   in Loop: Header=BB86_33 Depth=1
	s_or_b64 exec, exec, s[36:37]
.LBB86_37:                              ;   in Loop: Header=BB86_33 Depth=1
	v_lshl_add_u64 v[12:13], v[10:11], 3, s[12:13]
	global_load_dwordx2 v[12:13], v[12:13], off
	v_lshl_add_u64 v[16:17], v[4:5], 2, s[14:15]
	global_load_dword v6, v[16:17], off
	s_waitcnt vmcnt(1)
	v_subrev_co_u32_e32 v16, vcc, s28, v12
	s_nop 1
	v_subbrev_co_u32_e32 v17, vcc, 0, v13, vcc
	s_waitcnt vmcnt(0)
	v_subrev_u32_e32 v12, s28, v6
	v_cmp_lt_i64_e32 vcc, v[4:5], v[16:17]
	v_ashrrev_i32_e32 v13, 31, v12
	s_nop 0
	v_cndmask_b32_e32 v9, v11, v9, vcc
	v_cndmask_b32_e32 v8, v10, v8, vcc
	v_cmp_ne_u64_e32 vcc, v[8:9], v[12:13]
	s_and_saveexec_b64 s[4:5], vcc
	s_cbranch_execz .LBB86_32
; %bb.38:                               ;   in Loop: Header=BB86_33 Depth=1
	v_lshl_add_u64 v[10:11], v[4:5], 2, s[16:17]
	global_load_dword v6, v[10:11], off
	v_lshl_add_u64 v[8:9], v[8:9], 3, s[18:19]
	global_load_dwordx2 v[8:9], v[8:9], off
	v_lshl_add_u64 v[10:11], v[12:13], 3, s[24:25]
	s_waitcnt vmcnt(1)
	v_fma_f32 v12, v2, v6, v1
	v_fma_f32 v6, v3, v6, v14
	s_waitcnt vmcnt(0)
	v_mul_f32_e64 v13, v9, -v6
	v_mul_f32_e32 v9, v12, v9
	v_fmac_f32_e32 v13, v12, v8
	v_fmac_f32_e32 v9, v6, v8
	global_atomic_add_f32 v[10:11], v13, off
	global_atomic_add_f32 v[10:11], v9, off offset:4
	s_branch .LBB86_32
.LBB86_39:
	s_or_b64 exec, exec, s[8:9]
	s_mov_b64 s[2:3], 0
.LBB86_40:
	s_and_b64 vcc, exec, s[2:3]
	s_cbranch_vccz .LBB86_153
; %bb.41:
	s_load_dword s2, s[0:1], 0x6c
	s_mov_b32 s31, 0
	v_mov_b64_e32 v[4:5], s[26:27]
	s_mov_b64 s[34:35], 0
	s_waitcnt lgkmcnt(0)
	s_and_b32 s30, s2, 0xffff
	v_cmp_lt_u64_e32 vcc, s[30:31], v[4:5]
	s_cbranch_vccnz .LBB86_43
; %bb.42:
	v_cvt_f32_u32_e32 v1, s26
	s_sub_i32 s2, 0, s26
	v_rcp_iflag_f32_e32 v1, v1
	s_nop 0
	v_mul_f32_e32 v1, 0x4f7ffffe, v1
	v_cvt_u32_f32_e32 v1, v1
	s_nop 0
	v_readfirstlane_b32 s3, v1
	s_mul_i32 s2, s2, s3
	s_mul_hi_u32 s2, s3, s2
	s_add_i32 s3, s3, s2
	s_mul_hi_u32 s2, s30, s3
	s_mul_i32 s4, s2, s26
	s_sub_i32 s4, s30, s4
	s_add_i32 s3, s2, 1
	s_sub_i32 s5, s4, s26
	s_cmp_ge_u32 s4, s26
	s_cselect_b32 s2, s3, s2
	s_cselect_b32 s4, s5, s4
	s_add_i32 s3, s2, 1
	s_cmp_ge_u32 s4, s26
	s_cselect_b32 s34, s3, s2
.LBB86_43:
	s_load_dwordx4 s[4:7], s[0:1], 0x8
	s_lshl_b64 s[0:1], s[20:21], 3
	s_add_u32 s10, s12, s0
	s_addc_u32 s11, s13, s1
	s_load_dwordx2 s[8:9], s[10:11], 0x0
	v_subrev_co_u32_e32 v4, vcc, s28, v0
	v_mov_b32_e32 v1, 0
	s_nop 0
	v_subb_co_u32_e64 v5, s[0:1], 0, 0, vcc
	s_waitcnt lgkmcnt(0)
	v_lshl_add_u64 v[10:11], s[8:9], 0, v[4:5]
	s_mov_b64 s[0:1], 0x300
	v_lshl_add_u64 v[8:9], v[10:11], 0, s[0:1]
	v_cmp_le_i64_e32 vcc, s[4:5], v[8:9]
	s_and_saveexec_b64 s[0:1], vcc
	s_xor_b64 s[36:37], exec, s[0:1]
	s_cbranch_execnz .LBB86_46
; %bb.44:
	s_andn2_saveexec_b64 s[0:1], s[36:37]
	s_cbranch_execnz .LBB86_57
.LBB86_45:
	s_or_b64 exec, exec, s[0:1]
	v_cmp_gt_i64_e64 s[0:1], s[6:7], v[0:1]
	s_and_saveexec_b64 s[2:3], s[0:1]
	s_cbranch_execnz .LBB86_58
	s_branch .LBB86_65
.LBB86_46:
	s_lshl_b64 s[0:1], s[22:23], 3
	s_add_u32 s0, s12, s0
	s_addc_u32 s1, s13, s1
	s_load_dwordx2 s[2:3], s[0:1], 0x0
	s_waitcnt lgkmcnt(0)
	s_sub_u32 s38, s2, s8
	s_subb_u32 s39, s3, s9
	v_cmp_gt_i64_e64 s[0:1], s[38:39], v[0:1]
	s_and_saveexec_b64 s[40:41], s[0:1]
	s_cbranch_execz .LBB86_56
; %bb.47:
	s_not_b64 s[0:1], s[8:9]
	s_add_u32 s0, s2, s0
	s_addc_u32 s1, s3, s1
	v_mov_b32_e32 v7, s1
	v_sub_co_u32_e64 v6, s[0:1], s0, v0
	s_brev_b32 s5, 1
	s_nop 0
	v_subbrev_co_u32_e64 v7, s[0:1], 0, v7, s[0:1]
	s_mov_b64 s[0:1], 0x1300
	s_mov_b32 s4, 0
	v_cmp_gt_u64_e64 s[42:43], s[0:1], v[6:7]
	s_mov_b64 s[0:1], 0x12ff
	v_pk_mul_f32 v[4:5], v[2:3], s[4:5]
	v_cmp_lt_u64_e64 s[0:1], s[0:1], v[6:7]
	v_mov_b64_e32 v[14:15], 0
	s_and_saveexec_b64 s[44:45], s[0:1]
	s_cbranch_execz .LBB86_53
; %bb.48:
	v_alignbit_b32 v12, v7, v6, 8
	s_mov_b32 s0, 0x200000
	s_movk_i32 s5, 0x100
	v_cmp_gt_u32_e64 s[0:1], s0, v12
	v_lshl_or_b32 v12, v12, 11, v26
	v_cmp_gt_u64_e64 s[4:5], s[4:5], v[6:7]
	v_cmp_ge_u32_e64 s[2:3], v12, v26
	s_and_b64 s[0:1], s[0:1], s[4:5]
	s_and_b64 s[4:5], s[0:1], s[2:3]
	s_mov_b64 s[0:1], -1
	v_mov_b64_e32 v[14:15], 0
	s_and_saveexec_b64 s[2:3], s[4:5]
	s_cbranch_execz .LBB86_52
; %bb.49:
	v_lshrrev_b64 v[6:7], 8, v[6:7]
	v_lshl_add_u64 v[6:7], v[6:7], 0, 1
	v_and_b32_e32 v12, -2, v6
	v_mov_b32_e32 v13, v7
	v_lshl_add_u64 v[22:23], v[10:11], 2, s[16:17]
	s_mov_b64 s[0:1], 0x400
	v_mov_b32_e32 v14, v5
	v_mov_b32_e32 v15, v5
	v_mov_b32_e32 v16, v4
	v_mov_b32_e32 v17, v4
	v_mov_b32_e32 v18, v2
	v_mov_b32_e32 v19, v2
	v_mov_b32_e32 v20, v3
	v_mov_b32_e32 v21, v3
	v_lshl_add_u64 v[22:23], v[22:23], 0, s[0:1]
	s_mov_b64 s[46:47], 0x100
	s_mov_b64 s[4:5], 0
	;; [unrolled: 1-line block ×3, first 2 shown]
	v_mov_b64_e32 v[24:25], v[12:13]
	s_mov_b64 s[50:51], 0
.LBB86_50:                              ; =>This Inner Loop Header: Depth=1
	global_load_dword v28, v[22:23], off offset:-1024
	global_load_dword v29, v[22:23], off
	v_lshl_add_u32 v27, s50, 3, v26
	s_add_u32 s50, s50, 0x200
	s_addc_u32 s51, s51, 0
	v_lshl_add_u32 v34, s46, 3, v26
	v_lshl_add_u64 v[24:25], v[24:25], 0, -2
	s_add_u32 s46, s46, 0x200
	v_cmp_eq_u64_e64 s[0:1], 0, v[24:25]
	s_addc_u32 s47, s47, 0
	v_lshl_add_u64 v[22:23], v[22:23], 0, s[48:49]
	s_or_b64 s[4:5], s[0:1], s[4:5]
	s_waitcnt vmcnt(0)
	v_pk_fma_f32 v[30:31], v[18:19], v[28:29], v[14:15]
	v_pk_fma_f32 v[28:29], v[20:21], v[28:29], v[16:17]
	v_mov_b32_e32 v32, v30
	v_mov_b32_e32 v33, v28
	;; [unrolled: 1-line block ×3, first 2 shown]
	ds_write_b64 v27, v[32:33]
	ds_write_b64 v34, v[28:29]
	s_andn2_b64 exec, exec, s[4:5]
	s_cbranch_execnz .LBB86_50
; %bb.51:
	s_or_b64 exec, exec, s[4:5]
	v_cmp_ne_u64_e64 s[0:1], v[6:7], v[12:13]
	v_lshlrev_b64 v[14:15], 8, v[12:13]
	s_orn2_b64 s[0:1], s[0:1], exec
.LBB86_52:
	s_or_b64 exec, exec, s[2:3]
	s_andn2_b64 s[2:3], s[42:43], exec
	s_and_b64 s[0:1], s[0:1], exec
	s_or_b64 s[42:43], s[2:3], s[0:1]
.LBB86_53:
	s_or_b64 exec, exec, s[44:45]
	s_and_b64 exec, exec, s[42:43]
	s_cbranch_execz .LBB86_56
; %bb.54:
	v_lshlrev_b64 v[6:7], 2, v[10:11]
	v_lshl_add_u64 v[6:7], v[14:15], 2, v[6:7]
	v_lshl_add_u64 v[12:13], v[14:15], 0, v[0:1]
	v_lshlrev_b32_e32 v14, 3, v14
	v_pk_mov_b32 v[4:5], v[4:5], v[4:5] op_sel:[1,0]
	v_lshl_add_u64 v[6:7], s[16:17], 0, v[6:7]
	v_lshl_add_u32 v14, v0, 3, v14
	s_mov_b64 s[2:3], 0
	s_mov_b64 s[4:5], 0x400
	;; [unrolled: 1-line block ×3, first 2 shown]
.LBB86_55:                              ; =>This Inner Loop Header: Depth=1
	global_load_dword v16, v[6:7], off
	v_lshl_add_u64 v[12:13], v[12:13], 0, s[42:43]
	v_cmp_le_i64_e64 s[0:1], s[38:39], v[12:13]
	v_lshl_add_u64 v[6:7], v[6:7], 0, s[4:5]
	s_or_b64 s[2:3], s[0:1], s[2:3]
	s_waitcnt vmcnt(0)
	v_pk_fma_f32 v[16:17], v[2:3], v[16:17], v[4:5] op_sel_hi:[1,0,1]
	ds_write_b64 v14, v[16:17]
	v_add_u32_e32 v14, 0x800, v14
	s_andn2_b64 exec, exec, s[2:3]
	s_cbranch_execnz .LBB86_55
.LBB86_56:
	s_or_b64 exec, exec, s[40:41]
                                        ; implicit-def: $vgpr2_vgpr3
	s_andn2_saveexec_b64 s[0:1], s[36:37]
	s_cbranch_execz .LBB86_45
.LBB86_57:
	v_lshl_add_u64 v[4:5], v[10:11], 2, s[16:17]
	global_load_dword v6, v[4:5], off
	global_load_dword v12, v[4:5], off offset:1024
	global_load_dword v14, v[4:5], off offset:2048
	;; [unrolled: 1-line block ×3, first 2 shown]
	s_mov_b32 s2, 0
	s_brev_b32 s3, 1
	v_pk_mul_f32 v[4:5], v[2:3], s[2:3]
	s_waitcnt vmcnt(3)
	v_pk_fma_f32 v[6:7], v[2:3], v[6:7], v[4:5] op_sel:[0,0,1] op_sel_hi:[1,0,0]
	s_waitcnt vmcnt(2)
	v_pk_fma_f32 v[12:13], v[2:3], v[12:13], v[4:5] op_sel:[0,0,1] op_sel_hi:[1,0,0]
	s_waitcnt vmcnt(1)
	v_pk_fma_f32 v[14:15], v[2:3], v[14:15], v[4:5] op_sel:[0,0,1] op_sel_hi:[1,0,0]
	s_waitcnt vmcnt(0)
	v_pk_fma_f32 v[2:3], v[2:3], v[16:17], v[4:5] op_sel:[0,0,1] op_sel_hi:[1,0,0]
	ds_write2st64_b64 v26, v[6:7], v[12:13] offset1:4
	ds_write2st64_b64 v26, v[14:15], v[2:3] offset0:8 offset1:12
	s_or_b64 exec, exec, s[0:1]
	v_cmp_gt_i64_e64 s[0:1], s[6:7], v[0:1]
	s_and_saveexec_b64 s[2:3], s[0:1]
	s_cbranch_execz .LBB86_65
.LBB86_58:
	v_mov_b32_e32 v3, -1
	v_not_b32_e32 v2, v0
	v_lshl_add_u64 v[4:5], s[6:7], 0, v[2:3]
	s_mov_b64 s[0:1], 0xff
	v_cmp_lt_u64_e64 s[0:1], s[0:1], v[4:5]
	s_mov_b64 s[16:17], -1
	v_mov_b64_e32 v[2:3], v[0:1]
	s_and_saveexec_b64 s[4:5], s[0:1]
	s_cbranch_execz .LBB86_62
; %bb.59:
	v_lshrrev_b64 v[2:3], 8, v[4:5]
	v_lshl_add_u64 v[12:13], v[2:3], 0, 1
	v_mov_b32_e32 v3, 0
	v_or_b32_e32 v4, 0x100, v0
	v_mov_b32_e32 v5, v3
	v_and_b32_e32 v14, -2, v12
	v_mov_b32_e32 v15, v13
	v_mov_b32_e32 v2, v0
	v_mov_b64_e32 v[6:7], v[4:5]
	s_mov_b64 s[16:17], 0
	v_mov_b32_e32 v18, 0x2000
	s_mov_b64 s[36:37], 0x200
	v_mov_b64_e32 v[16:17], v[14:15]
	v_mov_b64_e32 v[4:5], v[2:3]
.LBB86_60:                              ; =>This Inner Loop Header: Depth=1
	v_lshl_add_u64 v[16:17], v[16:17], 0, -2
	v_cmp_eq_u64_e64 s[0:1], 0, v[16:17]
	v_lshl_add_u32 v2, v4, 3, v18
	v_lshl_add_u32 v19, v6, 3, v18
	v_lshl_add_u64 v[6:7], v[6:7], 0, s[36:37]
	v_lshl_add_u64 v[4:5], v[4:5], 0, s[36:37]
	s_or_b64 s[16:17], s[0:1], s[16:17]
	ds_write2_b32 v2, v3, v3 offset1:1
	ds_write2_b32 v19, v3, v3 offset1:1
	s_andn2_b64 exec, exec, s[16:17]
	s_cbranch_execnz .LBB86_60
; %bb.61:
	s_or_b64 exec, exec, s[16:17]
	v_lshlrev_b64 v[2:3], 8, v[14:15]
	v_cmp_ne_u64_e64 s[0:1], v[12:13], v[14:15]
	v_or_b32_e32 v2, v2, v0
	s_orn2_b64 s[16:17], s[0:1], exec
.LBB86_62:
	s_or_b64 exec, exec, s[4:5]
	s_and_b64 exec, exec, s[16:17]
	s_cbranch_execz .LBB86_65
; %bb.63:
	v_mov_b32_e32 v4, 0x2000
	v_lshl_add_u32 v4, v2, 3, v4
	s_mov_b64 s[4:5], 0
	v_mov_b32_e32 v5, 0
	s_mov_b64 s[16:17], 0x100
.LBB86_64:                              ; =>This Inner Loop Header: Depth=1
	v_lshl_add_u64 v[2:3], v[2:3], 0, s[16:17]
	v_cmp_le_i64_e64 s[0:1], s[6:7], v[2:3]
	ds_write2_b32 v4, v5, v5 offset1:1
	s_or_b64 s[4:5], s[0:1], s[4:5]
	v_add_u32_e32 v4, 0x800, v4
	s_andn2_b64 exec, exec, s[4:5]
	s_cbranch_execnz .LBB86_64
.LBB86_65:
	s_or_b64 exec, exec, s[2:3]
	s_sub_u32 s2, s22, s6
	v_mov_b64_e32 v[2:3], s[6:7]
	s_subb_u32 s3, s23, s7
	v_cmp_ge_i64_e64 s[0:1], s[22:23], v[2:3]
	s_and_b64 s[0:1], s[0:1], exec
	s_cselect_b32 s5, s3, 0
	s_cselect_b32 s4, s2, 0
	s_waitcnt lgkmcnt(0)
	s_barrier
	s_and_saveexec_b64 s[0:1], vcc
	s_xor_b64 s[16:17], exec, s[0:1]
	s_cbranch_execz .LBB86_82
; %bb.66:
	s_lshl_b64 s[0:1], s[22:23], 3
	s_add_u32 s0, s12, s0
	s_addc_u32 s1, s13, s1
	s_load_dwordx2 s[0:1], s[0:1], 0x0
	s_waitcnt lgkmcnt(0)
	s_sub_u32 s36, s0, s8
	s_subb_u32 s37, s1, s9
	v_cmp_gt_i64_e32 vcc, s[36:37], v[0:1]
	s_and_saveexec_b64 s[38:39], vcc
	s_cbranch_execz .LBB86_81
; %bb.67:
	s_add_u32 s40, s22, -1
	s_addc_u32 s41, s23, -1
	s_add_u32 s2, s22, -2
	s_addc_u32 s3, s23, -1
	s_cmp_lg_u64 s[20:21], s[2:3]
	s_cselect_b64 s[2:3], -1, 0
	s_sub_u32 s42, s0, s28
	v_cndmask_b32_e64 v2, 0, 1, s[2:3]
	s_subb_u32 s43, s1, 0
	s_mov_b64 s[44:45], 0
	v_cmp_ne_u32_e64 s[0:1], 1, v2
	v_mov_b32_e32 v3, 0
	v_mov_b32_e32 v16, 0x2000
	s_mov_b64 s[46:47], 0
	s_branch .LBB86_70
.LBB86_68:                              ;   in Loop: Header=BB86_70 Depth=1
	s_or_b64 exec, exec, s[2:3]
.LBB86_69:                              ;   in Loop: Header=BB86_70 Depth=1
	s_or_b64 exec, exec, s[48:49]
	v_lshl_add_u64 v[6:7], v[6:7], 3, s[18:19]
	global_load_dwordx2 v[6:7], v[6:7], off
	s_add_u32 s46, s46, 0x100
	s_addc_u32 s47, s47, 0
	v_lshlrev_b32_e32 v2, 3, v4
	s_waitcnt lgkmcnt(0)
	v_xor_b32_e32 v4, 0x80000000, v9
	v_mov_b32_e32 v5, v8
	v_lshl_add_u64 v[12:13], s[46:47], 0, v[0:1]
	v_cmp_le_i64_e32 vcc, s[36:37], v[12:13]
	s_or_b64 s[44:45], vcc, s[44:45]
	s_waitcnt vmcnt(0)
	v_pk_mul_f32 v[4:5], v[6:7], v[4:5] op_sel:[1,0]
	s_nop 0
	v_pk_fma_f32 v[4:5], v[8:9], v[6:7], v[4:5] op_sel_hi:[1,0,1]
	ds_write_b64 v2, v[4:5]
	s_andn2_b64 exec, exec, s[44:45]
	s_cbranch_execz .LBB86_81
.LBB86_70:                              ; =>This Loop Header: Depth=1
                                        ;     Child Loop BB86_72 Depth 2
	v_lshl_add_u64 v[8:9], s[46:47], 0, v[10:11]
	s_and_b64 vcc, exec, s[0:1]
	v_mov_b64_e32 v[12:13], s[20:21]
	v_mov_b64_e32 v[14:15], s[40:41]
	s_cbranch_vccnz .LBB86_74
; %bb.71:                               ;   in Loop: Header=BB86_70 Depth=1
	s_mov_b64 s[48:49], 0
	v_mov_b64_e32 v[12:13], s[20:21]
	v_mov_b64_e32 v[14:15], s[40:41]
.LBB86_72:                              ;   Parent Loop BB86_70 Depth=1
                                        ; =>  This Inner Loop Header: Depth=2
	v_lshl_add_u64 v[4:5], v[14:15], 0, v[12:13]
	v_lshrrev_b32_e32 v2, 31, v5
	v_lshl_add_u64 v[4:5], v[4:5], 0, v[2:3]
	v_ashrrev_i64 v[4:5], 1, v[4:5]
	v_lshl_add_u64 v[6:7], v[4:5], 3, s[12:13]
	global_load_dwordx2 v[6:7], v[6:7], off
	s_waitcnt vmcnt(0)
	v_subrev_co_u32_e32 v6, vcc, s28, v6
	s_nop 1
	v_subbrev_co_u32_e32 v7, vcc, 0, v7, vcc
	v_cmp_lt_i64_e32 vcc, v[8:9], v[6:7]
	s_nop 1
	v_cndmask_b32_e32 v15, v15, v5, vcc
	v_cndmask_b32_e32 v14, v14, v4, vcc
	;; [unrolled: 1-line block ×4, first 2 shown]
	v_lshl_add_u64 v[4:5], v[14:15], 0, -1
	v_cmp_ge_i64_e32 vcc, v[12:13], v[14:15]
	v_cmp_eq_u64_e64 s[2:3], v[12:13], v[4:5]
	s_or_b64 s[2:3], vcc, s[2:3]
	s_and_b64 s[2:3], exec, s[2:3]
	s_or_b64 s[48:49], s[2:3], s[48:49]
	s_andn2_b64 exec, exec, s[48:49]
	s_cbranch_execnz .LBB86_72
; %bb.73:                               ;   in Loop: Header=BB86_70 Depth=1
	s_or_b64 exec, exec, s[48:49]
.LBB86_74:                              ;   in Loop: Header=BB86_70 Depth=1
	v_lshl_add_u64 v[4:5], v[14:15], 3, s[12:13]
	global_load_dwordx2 v[6:7], v[4:5], off
	v_lshl_add_u64 v[4:5], v[8:9], 2, s[14:15]
	global_load_dword v2, v[4:5], off
	v_lshl_add_u64 v[4:5], s[46:47], 0, v[0:1]
	v_cmp_le_i64_e32 vcc, s[42:43], v[8:9]
	s_waitcnt vmcnt(1)
	v_subrev_co_u32_e64 v18, s[2:3], s28, v6
	s_nop 1
	v_subbrev_co_u32_e64 v19, s[2:3], 0, v7, s[2:3]
	s_waitcnt vmcnt(0)
	v_subrev_u32_e32 v6, s28, v2
	v_cmp_lt_i64_e64 s[2:3], v[8:9], v[18:19]
	v_ashrrev_i32_e32 v7, 31, v6
	v_lshlrev_b32_e32 v2, 3, v4
	v_cndmask_b32_e64 v13, v15, v13, s[2:3]
	v_cndmask_b32_e64 v12, v14, v12, s[2:3]
	v_cmp_eq_u64_e64 s[2:3], v[12:13], v[6:7]
	s_or_b64 s[2:3], s[2:3], vcc
                                        ; implicit-def: $vgpr8_vgpr9
	s_and_saveexec_b64 s[48:49], s[2:3]
	s_xor_b64 s[2:3], exec, s[48:49]
; %bb.75:                               ;   in Loop: Header=BB86_70 Depth=1
	ds_read_b64 v[8:9], v2
                                        ; implicit-def: $vgpr2
                                        ; implicit-def: $vgpr12_vgpr13
; %bb.76:                               ;   in Loop: Header=BB86_70 Depth=1
	s_andn2_saveexec_b64 s[48:49], s[2:3]
	s_cbranch_execz .LBB86_69
; %bb.77:                               ;   in Loop: Header=BB86_70 Depth=1
	v_cmp_gt_i64_e32 vcc, s[4:5], v[6:7]
	v_cmp_le_i64_e64 s[2:3], s[22:23], v[6:7]
	s_or_b64 s[2:3], vcc, s[2:3]
	v_lshl_add_u64 v[12:13], v[12:13], 3, s[18:19]
                                        ; implicit-def: $vgpr8_vgpr9
	s_and_saveexec_b64 s[50:51], s[2:3]
	s_xor_b64 s[2:3], exec, s[50:51]
	s_cbranch_execz .LBB86_79
; %bb.78:                               ;   in Loop: Header=BB86_70 Depth=1
	global_load_dwordx2 v[12:13], v[12:13], off
	s_waitcnt lgkmcnt(0)
	ds_read_b64 v[8:9], v2
	v_lshl_add_u64 v[14:15], v[6:7], 3, s[24:25]
	s_waitcnt vmcnt(0) lgkmcnt(0)
	v_mul_f32_e64 v2, v13, -v9
	v_mul_f32_e32 v5, v13, v8
	v_fmac_f32_e32 v2, v8, v12
	v_fmac_f32_e32 v5, v9, v12
	global_atomic_add_f32 v[14:15], v2, off
	global_atomic_add_f32 v[14:15], v5, off offset:4
                                        ; implicit-def: $vgpr2
                                        ; implicit-def: $vgpr12_vgpr13
.LBB86_79:                              ;   in Loop: Header=BB86_70 Depth=1
	s_andn2_saveexec_b64 s[2:3], s[2:3]
	s_cbranch_execz .LBB86_68
; %bb.80:                               ;   in Loop: Header=BB86_70 Depth=1
	global_load_dwordx2 v[12:13], v[12:13], off
	s_waitcnt lgkmcnt(0)
	ds_read_b64 v[8:9], v2
	v_subrev_u32_e32 v2, s4, v6
	v_lshl_add_u32 v2, v2, 3, v16
	s_waitcnt vmcnt(0) lgkmcnt(0)
	v_mul_f32_e64 v5, v13, -v9
	v_mul_f32_e32 v13, v13, v8
	v_fmac_f32_e32 v5, v8, v12
	v_fmac_f32_e32 v13, v9, v12
	ds_add_f32 v2, v5
	ds_add_f32 v2, v13 offset:4
	s_branch .LBB86_68
.LBB86_81:
	s_or_b64 exec, exec, s[38:39]
                                        ; implicit-def: $vgpr8_vgpr9
                                        ; implicit-def: $vgpr10_vgpr11
.LBB86_82:
	s_andn2_saveexec_b64 s[16:17], s[16:17]
	s_cbranch_execz .LBB86_124
; %bb.83:
	s_add_u32 s36, s22, -1
	s_addc_u32 s37, s23, -1
	s_add_u32 s0, s22, -2
	s_addc_u32 s1, s23, -1
	s_cmp_lg_u64 s[20:21], s[0:1]
	s_cselect_b64 s[2:3], -1, 0
	s_cmp_eq_u64 s[20:21], s[0:1]
	v_mov_b64_e32 v[4:5], s[20:21]
	v_mov_b64_e32 v[6:7], s[36:37]
	s_cbranch_scc1 .LBB86_87
; %bb.84:
	s_mov_b64 s[38:39], 0
	v_mov_b64_e32 v[4:5], s[20:21]
	v_mov_b64_e32 v[6:7], s[36:37]
	v_mov_b32_e32 v3, 0
.LBB86_85:                              ; =>This Inner Loop Header: Depth=1
	v_lshl_add_u64 v[12:13], v[6:7], 0, v[4:5]
	v_lshrrev_b32_e32 v2, 31, v13
	v_lshl_add_u64 v[12:13], v[12:13], 0, v[2:3]
	v_ashrrev_i64 v[12:13], 1, v[12:13]
	v_lshl_add_u64 v[14:15], v[12:13], 3, s[12:13]
	global_load_dwordx2 v[14:15], v[14:15], off
	s_waitcnt vmcnt(0)
	v_subrev_co_u32_e32 v14, vcc, s28, v14
	s_nop 1
	v_subbrev_co_u32_e32 v15, vcc, 0, v15, vcc
	v_cmp_lt_i64_e32 vcc, v[10:11], v[14:15]
	s_nop 1
	v_cndmask_b32_e32 v7, v7, v13, vcc
	v_cndmask_b32_e32 v6, v6, v12, vcc
	;; [unrolled: 1-line block ×4, first 2 shown]
	v_lshl_add_u64 v[12:13], v[6:7], 0, -1
	v_cmp_ge_i64_e32 vcc, v[4:5], v[6:7]
	v_cmp_eq_u64_e64 s[0:1], v[4:5], v[12:13]
	s_or_b64 s[0:1], vcc, s[0:1]
	s_and_b64 s[0:1], exec, s[0:1]
	s_or_b64 s[38:39], s[0:1], s[38:39]
	s_andn2_b64 exec, exec, s[38:39]
	s_cbranch_execnz .LBB86_85
; %bb.86:
	s_or_b64 exec, exec, s[38:39]
.LBB86_87:
	v_lshl_add_u64 v[2:3], v[6:7], 3, s[12:13]
	global_load_dwordx2 v[12:13], v[2:3], off
	v_lshl_add_u64 v[2:3], v[10:11], 2, s[14:15]
	global_load_dword v16, v[2:3], off
	s_lshl_b64 s[0:1], s[22:23], 3
	s_add_u32 s14, s12, s0
	s_addc_u32 s15, s13, s1
	s_waitcnt vmcnt(1)
	v_subrev_co_u32_e32 v14, vcc, s28, v12
	s_nop 1
	v_subbrev_co_u32_e32 v15, vcc, 0, v13, vcc
	s_waitcnt vmcnt(0)
	v_subrev_u32_e32 v12, s28, v16
	v_cmp_lt_i64_e32 vcc, v[10:11], v[14:15]
	v_ashrrev_i32_e32 v13, 31, v12
	s_nop 0
	v_cndmask_b32_e32 v5, v7, v5, vcc
	v_cndmask_b32_e32 v4, v6, v4, vcc
	v_cmp_ne_u64_e32 vcc, v[4:5], v[12:13]
	s_and_saveexec_b64 s[38:39], vcc
	s_cbranch_execz .LBB86_93
; %bb.88:
	s_load_dwordx2 s[0:1], s[14:15], 0x0
	s_waitcnt lgkmcnt(0)
	s_sub_u32 s0, s0, s28
	s_subb_u32 s1, s1, 0
	v_cmp_gt_i64_e32 vcc, s[0:1], v[10:11]
	s_and_b64 exec, exec, vcc
	s_cbranch_execz .LBB86_93
; %bb.89:
	v_cmp_gt_i64_e32 vcc, s[4:5], v[12:13]
	v_cmp_le_i64_e64 s[0:1], s[22:23], v[12:13]
	s_or_b64 s[0:1], vcc, s[0:1]
	v_lshl_add_u64 v[4:5], v[4:5], 3, s[18:19]
	s_and_saveexec_b64 s[40:41], s[0:1]
	s_xor_b64 s[0:1], exec, s[40:41]
	s_cbranch_execz .LBB86_91
; %bb.90:
	global_load_dwordx2 v[4:5], v[4:5], off
	ds_read_b64 v[6:7], v26
	v_lshl_add_u64 v[14:15], v[12:13], 3, s[24:25]
	s_waitcnt vmcnt(0) lgkmcnt(0)
	v_mul_f32_e64 v16, v5, -v7
	v_mul_f32_e32 v5, v5, v6
	v_fmac_f32_e32 v16, v6, v4
	v_fmac_f32_e32 v5, v7, v4
	global_atomic_add_f32 v[14:15], v16, off
	global_atomic_add_f32 v[14:15], v5, off offset:4
                                        ; implicit-def: $vgpr4_vgpr5
.LBB86_91:
	s_andn2_saveexec_b64 s[0:1], s[0:1]
	s_cbranch_execz .LBB86_93
; %bb.92:
	global_load_dwordx2 v[4:5], v[4:5], off
	ds_read_b64 v[6:7], v26
	v_subrev_u32_e32 v14, s4, v12
	v_mov_b32_e32 v15, 0x2000
	v_lshl_add_u32 v14, v14, 3, v15
	s_waitcnt vmcnt(0) lgkmcnt(0)
	v_mul_f32_e64 v15, v5, -v7
	v_mul_f32_e32 v5, v5, v6
	v_fmac_f32_e32 v15, v6, v4
	v_fmac_f32_e32 v5, v7, v4
	ds_add_f32 v14, v15
	ds_add_f32 v14, v5 offset:4
.LBB86_93:
	s_or_b64 exec, exec, s[38:39]
	v_lshl_add_u64 v[4:5], v[12:13], 3, s[18:19]
	global_load_dwordx2 v[12:13], v[4:5], off
	ds_read_b64 v[14:15], v26
	s_mov_b64 s[0:1], 0x100
	v_cndmask_b32_e64 v16, 0, 1, s[2:3]
	v_lshl_add_u64 v[4:5], v[10:11], 0, s[0:1]
	v_cmp_ne_u32_e64 s[0:1], 1, v16
	s_waitcnt lgkmcnt(0)
	v_xor_b32_e32 v16, 0x80000000, v15
	v_mov_b32_e32 v17, v14
	v_mov_b64_e32 v[6:7], s[20:21]
	s_andn2_b64 vcc, exec, s[2:3]
	s_waitcnt vmcnt(0)
	v_pk_mul_f32 v[16:17], v[12:13], v[16:17] op_sel:[1,0]
	s_nop 0
	v_pk_fma_f32 v[12:13], v[14:15], v[12:13], v[16:17] op_sel_hi:[1,0,1]
	v_mov_b64_e32 v[14:15], s[36:37]
	ds_write_b64 v26, v[12:13]
	s_cbranch_vccnz .LBB86_97
; %bb.94:
	s_mov_b64 s[38:39], 0
	v_mov_b64_e32 v[6:7], s[20:21]
	v_mov_b64_e32 v[14:15], s[36:37]
	v_mov_b32_e32 v13, 0
.LBB86_95:                              ; =>This Inner Loop Header: Depth=1
	v_lshl_add_u64 v[16:17], v[14:15], 0, v[6:7]
	v_lshrrev_b32_e32 v12, 31, v17
	v_lshl_add_u64 v[16:17], v[16:17], 0, v[12:13]
	v_ashrrev_i64 v[16:17], 1, v[16:17]
	v_lshl_add_u64 v[18:19], v[16:17], 3, s[12:13]
	global_load_dwordx2 v[18:19], v[18:19], off
	s_waitcnt vmcnt(0)
	v_subrev_co_u32_e32 v18, vcc, s28, v18
	s_nop 1
	v_subbrev_co_u32_e32 v19, vcc, 0, v19, vcc
	v_cmp_lt_i64_e32 vcc, v[4:5], v[18:19]
	s_nop 1
	v_cndmask_b32_e32 v15, v15, v17, vcc
	v_cndmask_b32_e32 v14, v14, v16, vcc
	;; [unrolled: 1-line block ×4, first 2 shown]
	v_lshl_add_u64 v[16:17], v[14:15], 0, -1
	v_cmp_ge_i64_e32 vcc, v[6:7], v[14:15]
	v_cmp_eq_u64_e64 s[2:3], v[6:7], v[16:17]
	s_or_b64 s[2:3], vcc, s[2:3]
	s_and_b64 s[2:3], exec, s[2:3]
	s_or_b64 s[38:39], s[2:3], s[38:39]
	s_andn2_b64 exec, exec, s[38:39]
	s_cbranch_execnz .LBB86_95
; %bb.96:
	s_or_b64 exec, exec, s[38:39]
.LBB86_97:
	v_lshl_add_u64 v[12:13], v[14:15], 3, s[12:13]
	global_load_dwordx2 v[16:17], v[12:13], off
	global_load_dword v18, v[2:3], off offset:1024
	s_waitcnt vmcnt(1)
	v_subrev_co_u32_e32 v16, vcc, s28, v16
	s_nop 1
	v_subbrev_co_u32_e32 v17, vcc, 0, v17, vcc
	s_waitcnt vmcnt(0)
	v_subrev_u32_e32 v12, s28, v18
	v_cmp_lt_i64_e32 vcc, v[4:5], v[16:17]
	v_ashrrev_i32_e32 v13, 31, v12
	s_nop 0
	v_cndmask_b32_e32 v7, v15, v7, vcc
	v_cndmask_b32_e32 v6, v14, v6, vcc
	v_cmp_ne_u64_e32 vcc, v[6:7], v[12:13]
	s_and_saveexec_b64 s[38:39], vcc
	s_cbranch_execz .LBB86_103
; %bb.98:
	s_load_dwordx2 s[2:3], s[14:15], 0x0
	s_waitcnt lgkmcnt(0)
	s_sub_u32 s2, s2, s28
	s_subb_u32 s3, s3, 0
	v_cmp_gt_i64_e32 vcc, s[2:3], v[4:5]
	s_and_b64 exec, exec, vcc
	s_cbranch_execz .LBB86_103
; %bb.99:
	v_cmp_gt_i64_e32 vcc, s[4:5], v[12:13]
	v_cmp_le_i64_e64 s[2:3], s[22:23], v[12:13]
	s_or_b64 s[2:3], vcc, s[2:3]
	v_lshl_add_u64 v[4:5], v[6:7], 3, s[18:19]
	s_and_saveexec_b64 s[40:41], s[2:3]
	s_xor_b64 s[2:3], exec, s[40:41]
	s_cbranch_execz .LBB86_101
; %bb.100:
	global_load_dwordx2 v[4:5], v[4:5], off
	ds_read_b64 v[6:7], v26 offset:2048
	v_lshl_add_u64 v[14:15], v[12:13], 3, s[24:25]
	s_waitcnt vmcnt(0) lgkmcnt(0)
	v_mul_f32_e64 v16, v5, -v7
	v_mul_f32_e32 v5, v5, v6
	v_fmac_f32_e32 v16, v6, v4
	v_fmac_f32_e32 v5, v7, v4
	global_atomic_add_f32 v[14:15], v16, off
	global_atomic_add_f32 v[14:15], v5, off offset:4
                                        ; implicit-def: $vgpr4_vgpr5
.LBB86_101:
	s_andn2_saveexec_b64 s[2:3], s[2:3]
	s_cbranch_execz .LBB86_103
; %bb.102:
	global_load_dwordx2 v[4:5], v[4:5], off
	ds_read_b64 v[6:7], v26 offset:2048
	v_subrev_u32_e32 v14, s4, v12
	v_mov_b32_e32 v15, 0x2000
	v_lshl_add_u32 v14, v14, 3, v15
	s_waitcnt vmcnt(0) lgkmcnt(0)
	v_mul_f32_e64 v15, v5, -v7
	v_mul_f32_e32 v5, v5, v6
	v_fmac_f32_e32 v15, v6, v4
	v_fmac_f32_e32 v5, v7, v4
	ds_add_f32 v14, v15
	ds_add_f32 v14, v5 offset:4
.LBB86_103:
	s_or_b64 exec, exec, s[38:39]
	v_lshl_add_u64 v[4:5], v[12:13], 3, s[18:19]
	global_load_dwordx2 v[12:13], v[4:5], off
	ds_read_b64 v[14:15], v26 offset:2048
	s_mov_b64 s[2:3], 0x200
	v_lshl_add_u64 v[4:5], v[10:11], 0, s[2:3]
	s_and_b64 vcc, exec, s[0:1]
	v_mov_b64_e32 v[6:7], s[20:21]
	s_waitcnt lgkmcnt(0)
	v_xor_b32_e32 v10, 0x80000000, v15
	v_mov_b32_e32 v11, v14
	s_waitcnt vmcnt(0)
	v_pk_mul_f32 v[10:11], v[12:13], v[10:11] op_sel:[1,0]
	s_nop 0
	v_pk_fma_f32 v[10:11], v[14:15], v[12:13], v[10:11] op_sel_hi:[1,0,1]
	v_mov_b64_e32 v[12:13], s[36:37]
	ds_write_b64 v26, v[10:11] offset:2048
	s_cbranch_vccnz .LBB86_107
; %bb.104:
	s_mov_b64 s[38:39], 0
	v_mov_b64_e32 v[6:7], s[20:21]
	v_mov_b64_e32 v[12:13], s[36:37]
	v_mov_b32_e32 v11, 0
.LBB86_105:                             ; =>This Inner Loop Header: Depth=1
	v_lshl_add_u64 v[14:15], v[12:13], 0, v[6:7]
	v_lshrrev_b32_e32 v10, 31, v15
	v_lshl_add_u64 v[14:15], v[14:15], 0, v[10:11]
	v_ashrrev_i64 v[14:15], 1, v[14:15]
	v_lshl_add_u64 v[16:17], v[14:15], 3, s[12:13]
	global_load_dwordx2 v[16:17], v[16:17], off
	s_waitcnt vmcnt(0)
	v_subrev_co_u32_e32 v16, vcc, s28, v16
	s_nop 1
	v_subbrev_co_u32_e32 v17, vcc, 0, v17, vcc
	v_cmp_lt_i64_e32 vcc, v[4:5], v[16:17]
	s_nop 1
	v_cndmask_b32_e32 v13, v13, v15, vcc
	v_cndmask_b32_e32 v12, v12, v14, vcc
	;; [unrolled: 1-line block ×4, first 2 shown]
	v_lshl_add_u64 v[14:15], v[12:13], 0, -1
	v_cmp_ge_i64_e32 vcc, v[6:7], v[12:13]
	v_cmp_eq_u64_e64 s[2:3], v[6:7], v[14:15]
	s_or_b64 s[2:3], vcc, s[2:3]
	s_and_b64 s[2:3], exec, s[2:3]
	s_or_b64 s[38:39], s[2:3], s[38:39]
	s_andn2_b64 exec, exec, s[38:39]
	s_cbranch_execnz .LBB86_105
; %bb.106:
	s_or_b64 exec, exec, s[38:39]
.LBB86_107:
	v_lshl_add_u64 v[10:11], v[12:13], 3, s[12:13]
	global_load_dwordx2 v[14:15], v[10:11], off
	global_load_dword v16, v[2:3], off offset:2048
	s_waitcnt vmcnt(1)
	v_subrev_co_u32_e32 v14, vcc, s28, v14
	s_nop 1
	v_subbrev_co_u32_e32 v15, vcc, 0, v15, vcc
	s_waitcnt vmcnt(0)
	v_subrev_u32_e32 v10, s28, v16
	v_cmp_lt_i64_e32 vcc, v[4:5], v[14:15]
	v_ashrrev_i32_e32 v11, 31, v10
	s_nop 0
	v_cndmask_b32_e32 v7, v13, v7, vcc
	v_cndmask_b32_e32 v6, v12, v6, vcc
	v_cmp_ne_u64_e32 vcc, v[6:7], v[10:11]
	s_and_saveexec_b64 s[38:39], vcc
	s_cbranch_execz .LBB86_113
; %bb.108:
	s_load_dwordx2 s[2:3], s[14:15], 0x0
	s_waitcnt lgkmcnt(0)
	s_sub_u32 s2, s2, s28
	s_subb_u32 s3, s3, 0
	v_cmp_gt_i64_e32 vcc, s[2:3], v[4:5]
	s_and_b64 exec, exec, vcc
	s_cbranch_execz .LBB86_113
; %bb.109:
	v_cmp_gt_i64_e32 vcc, s[4:5], v[10:11]
	v_cmp_le_i64_e64 s[2:3], s[22:23], v[10:11]
	s_or_b64 s[2:3], vcc, s[2:3]
	v_lshl_add_u64 v[4:5], v[6:7], 3, s[18:19]
	s_and_saveexec_b64 s[40:41], s[2:3]
	s_xor_b64 s[2:3], exec, s[40:41]
	s_cbranch_execz .LBB86_111
; %bb.110:
	global_load_dwordx2 v[4:5], v[4:5], off
	ds_read_b64 v[6:7], v26 offset:4096
	v_lshl_add_u64 v[12:13], v[10:11], 3, s[24:25]
	s_waitcnt vmcnt(0) lgkmcnt(0)
	v_mul_f32_e64 v14, v5, -v7
	v_mul_f32_e32 v5, v5, v6
	v_fmac_f32_e32 v14, v6, v4
	v_fmac_f32_e32 v5, v7, v4
	global_atomic_add_f32 v[12:13], v14, off
	global_atomic_add_f32 v[12:13], v5, off offset:4
                                        ; implicit-def: $vgpr4_vgpr5
.LBB86_111:
	s_andn2_saveexec_b64 s[2:3], s[2:3]
	s_cbranch_execz .LBB86_113
; %bb.112:
	global_load_dwordx2 v[4:5], v[4:5], off
	ds_read_b64 v[6:7], v26 offset:4096
	v_subrev_u32_e32 v12, s4, v10
	v_mov_b32_e32 v13, 0x2000
	v_lshl_add_u32 v12, v12, 3, v13
	s_waitcnt vmcnt(0) lgkmcnt(0)
	v_mul_f32_e64 v13, v5, -v7
	v_mul_f32_e32 v5, v5, v6
	v_fmac_f32_e32 v13, v6, v4
	v_fmac_f32_e32 v5, v7, v4
	ds_add_f32 v12, v13
	ds_add_f32 v12, v5 offset:4
.LBB86_113:
	s_or_b64 exec, exec, s[38:39]
	v_lshl_add_u64 v[4:5], v[10:11], 3, s[18:19]
	global_load_dwordx2 v[6:7], v[4:5], off
	ds_read_b64 v[10:11], v26 offset:4096
	s_and_b64 vcc, exec, s[0:1]
	v_mov_b64_e32 v[4:5], s[20:21]
	s_waitcnt lgkmcnt(0)
	v_xor_b32_e32 v12, 0x80000000, v11
	v_mov_b32_e32 v13, v10
	s_waitcnt vmcnt(0)
	v_pk_mul_f32 v[12:13], v[6:7], v[12:13] op_sel:[1,0]
	s_nop 0
	v_pk_fma_f32 v[6:7], v[10:11], v[6:7], v[12:13] op_sel_hi:[1,0,1]
	ds_write_b64 v26, v[6:7] offset:4096
	v_mov_b64_e32 v[6:7], s[36:37]
	s_cbranch_vccnz .LBB86_117
; %bb.114:
	s_mov_b64 s[2:3], 0
	v_mov_b64_e32 v[4:5], s[20:21]
	v_mov_b64_e32 v[6:7], s[36:37]
	v_mov_b32_e32 v11, 0
.LBB86_115:                             ; =>This Inner Loop Header: Depth=1
	v_lshl_add_u64 v[12:13], v[6:7], 0, v[4:5]
	v_lshrrev_b32_e32 v10, 31, v13
	v_lshl_add_u64 v[12:13], v[12:13], 0, v[10:11]
	v_ashrrev_i64 v[12:13], 1, v[12:13]
	v_lshl_add_u64 v[14:15], v[12:13], 3, s[12:13]
	global_load_dwordx2 v[14:15], v[14:15], off
	s_waitcnt vmcnt(0)
	v_subrev_co_u32_e32 v14, vcc, s28, v14
	s_nop 1
	v_subbrev_co_u32_e32 v15, vcc, 0, v15, vcc
	v_cmp_lt_i64_e32 vcc, v[8:9], v[14:15]
	s_nop 1
	v_cndmask_b32_e32 v7, v7, v13, vcc
	v_cndmask_b32_e32 v6, v6, v12, vcc
	;; [unrolled: 1-line block ×4, first 2 shown]
	v_lshl_add_u64 v[12:13], v[6:7], 0, -1
	v_cmp_ge_i64_e32 vcc, v[4:5], v[6:7]
	v_cmp_eq_u64_e64 s[0:1], v[4:5], v[12:13]
	s_or_b64 s[0:1], vcc, s[0:1]
	s_and_b64 s[0:1], exec, s[0:1]
	s_or_b64 s[2:3], s[0:1], s[2:3]
	s_andn2_b64 exec, exec, s[2:3]
	s_cbranch_execnz .LBB86_115
; %bb.116:
	s_or_b64 exec, exec, s[2:3]
.LBB86_117:
	global_load_dword v12, v[2:3], off offset:3072
	v_lshl_add_u64 v[2:3], v[6:7], 3, s[12:13]
	global_load_dwordx2 v[10:11], v[2:3], off
	s_waitcnt vmcnt(1)
	v_subrev_u32_e32 v2, s28, v12
	v_ashrrev_i32_e32 v3, 31, v2
	s_waitcnt vmcnt(0)
	v_subrev_co_u32_e32 v10, vcc, s28, v10
	s_nop 1
	v_subbrev_co_u32_e32 v11, vcc, 0, v11, vcc
	v_cmp_lt_i64_e32 vcc, v[8:9], v[10:11]
	s_nop 1
	v_cndmask_b32_e32 v5, v7, v5, vcc
	v_cndmask_b32_e32 v4, v6, v4, vcc
	v_cmp_ne_u64_e32 vcc, v[4:5], v[2:3]
	s_and_saveexec_b64 s[2:3], vcc
	s_cbranch_execz .LBB86_123
; %bb.118:
	s_load_dwordx2 s[0:1], s[14:15], 0x0
	s_waitcnt lgkmcnt(0)
	s_sub_u32 s0, s0, s28
	s_subb_u32 s1, s1, 0
	v_cmp_gt_i64_e32 vcc, s[0:1], v[8:9]
	s_and_b64 exec, exec, vcc
	s_cbranch_execz .LBB86_123
; %bb.119:
	v_cmp_gt_i64_e32 vcc, s[4:5], v[2:3]
	v_cmp_le_i64_e64 s[0:1], s[22:23], v[2:3]
	s_or_b64 s[0:1], vcc, s[0:1]
	v_lshl_add_u64 v[4:5], v[4:5], 3, s[18:19]
	s_and_saveexec_b64 s[14:15], s[0:1]
	s_xor_b64 s[0:1], exec, s[14:15]
	s_cbranch_execz .LBB86_121
; %bb.120:
	global_load_dwordx2 v[4:5], v[4:5], off
	ds_read_b64 v[6:7], v26 offset:6144
	v_lshl_add_u64 v[8:9], v[2:3], 3, s[24:25]
	s_waitcnt vmcnt(0) lgkmcnt(0)
	v_mul_f32_e64 v10, v5, -v7
	v_mul_f32_e32 v5, v5, v6
	v_fmac_f32_e32 v10, v6, v4
	v_fmac_f32_e32 v5, v7, v4
	global_atomic_add_f32 v[8:9], v10, off
	global_atomic_add_f32 v[8:9], v5, off offset:4
                                        ; implicit-def: $vgpr4_vgpr5
.LBB86_121:
	s_andn2_saveexec_b64 s[0:1], s[0:1]
	s_cbranch_execz .LBB86_123
; %bb.122:
	global_load_dwordx2 v[4:5], v[4:5], off
	ds_read_b64 v[6:7], v26 offset:6144
	v_subrev_u32_e32 v8, s4, v2
	v_mov_b32_e32 v9, 0x2000
	v_lshl_add_u32 v8, v8, 3, v9
	s_waitcnt vmcnt(0) lgkmcnt(0)
	v_mul_f32_e64 v9, v5, -v7
	v_mul_f32_e32 v5, v5, v6
	v_fmac_f32_e32 v9, v6, v4
	v_fmac_f32_e32 v5, v7, v4
	ds_add_f32 v8, v9
	ds_add_f32 v8, v5 offset:4
.LBB86_123:
	s_or_b64 exec, exec, s[2:3]
	v_lshl_add_u64 v[2:3], v[2:3], 3, s[18:19]
	global_load_dwordx2 v[2:3], v[2:3], off
	ds_read_b64 v[4:5], v26 offset:6144
	s_waitcnt lgkmcnt(0)
	v_xor_b32_e32 v6, 0x80000000, v5
	v_mov_b32_e32 v7, v4
	s_waitcnt vmcnt(0)
	v_pk_mul_f32 v[6:7], v[2:3], v[6:7] op_sel:[1,0]
	s_nop 0
	v_pk_fma_f32 v[2:3], v[4:5], v[2:3], v[6:7] op_sel_hi:[1,0,1]
	ds_write_b64 v26, v[2:3] offset:6144
.LBB86_124:
	s_or_b64 exec, exec, s[16:17]
	v_mov_b64_e32 v[2:3], s[6:7]
	v_cmp_lt_i64_e32 vcc, s[22:23], v[2:3]
	s_and_b64 s[0:1], vcc, exec
	s_cselect_b32 s16, s22, s6
	s_cselect_b32 s0, s23, s7
	s_sub_u32 s2, s16, s26
	s_subb_u32 s3, s0, s27
	v_cmp_gt_i64_e32 vcc, s[2:3], v[0:1]
	s_waitcnt lgkmcnt(0)
	s_barrier
	s_and_saveexec_b64 s[0:1], vcc
	s_cbranch_execz .LBB86_127
; %bb.125:
	v_mov_b64_e32 v[2:3], s[6:7]
	v_cmp_gt_i64_e32 vcc, s[22:23], v[2:3]
	s_and_b64 s[4:5], vcc, exec
	s_cselect_b32 s5, s23, s7
	s_cselect_b32 s4, s22, s6
	v_lshlrev_b32_e32 v2, 3, v0
	v_mov_b32_e32 v3, 0
	v_lshl_add_u64 v[2:3], s[4:5], 3, v[2:3]
	s_lshl_b64 s[4:5], s[6:7], 3
	v_mov_b32_e32 v4, s5
	v_subrev_co_u32_e32 v2, vcc, s4, v2
	v_or_b32_e32 v2, 4, v2
	s_nop 0
	v_subb_co_u32_e32 v3, vcc, v3, v4, vcc
	v_mov_b32_e32 v4, 0x2000
	v_lshl_add_u64 v[2:3], s[24:25], 0, v[2:3]
	v_lshl_add_u32 v6, v0, 3, v4
	s_mov_b64 s[4:5], 0
	s_mov_b64 s[6:7], 0x100
	;; [unrolled: 1-line block ×3, first 2 shown]
	v_mov_b64_e32 v[4:5], v[0:1]
.LBB86_126:                             ; =>This Inner Loop Header: Depth=1
	ds_read2_b32 v[8:9], v6 offset1:1
	v_lshl_add_u64 v[4:5], v[4:5], 0, s[6:7]
	v_cmp_le_i64_e32 vcc, s[2:3], v[4:5]
	v_add_u32_e32 v6, 0x800, v6
	s_or_b64 s[4:5], vcc, s[4:5]
	s_waitcnt lgkmcnt(0)
	global_atomic_add_f32 v[2:3], v8, off offset:-4
	global_atomic_add_f32 v[2:3], v9, off
	v_lshl_add_u64 v[2:3], v[2:3], 0, s[14:15]
	s_andn2_b64 exec, exec, s[4:5]
	s_cbranch_execnz .LBB86_126
.LBB86_127:
	s_or_b64 exec, exec, s[0:1]
	s_add_i32 s0, s34, -1
	s_ashr_i32 s1, s0, 1
	s_or_b32 s0, s1, s0
	s_ashr_i32 s1, s0, 2
	s_or_b32 s0, s1, s0
	;; [unrolled: 2-line block ×5, first 2 shown]
	s_add_i32 s0, s0, 1
	s_ashr_i32 s3, s0, 1
	v_lshl_add_u64 v[6:7], s[20:21], 0, v[0:1]
	s_cmp_gt_i32 s3, 1
	s_mov_b64 s[0:1], -1
	s_barrier
	s_cbranch_scc1 .LBB86_136
; %bb.128:
	v_cmp_gt_i64_e32 vcc, s[22:23], v[6:7]
	s_and_saveexec_b64 s[0:1], vcc
	s_cbranch_execz .LBB86_135
; %bb.129:
	s_sub_i32 s4, s16, s22
	s_lshl_b32 s4, s4, 3
	s_add_i32 s16, s4, 0x2000
	s_lshl_b32 s4, s8, 3
	s_sub_i32 s17, 0, s4
	s_mov_b64 s[4:5], 0
	v_mov_b64_e32 v[8:9], v[6:7]
	s_branch .LBB86_131
.LBB86_130:                             ;   in Loop: Header=BB86_131 Depth=1
	s_or_b64 exec, exec, s[6:7]
	v_lshl_add_u32 v2, v8, 3, s16
	ds_read2_b32 v[2:3], v2 offset1:1
	s_waitcnt lgkmcnt(0)
	v_add_f32_e32 v4, v10, v2
	v_add_f32_e32 v5, v11, v3
	v_lshl_add_u64 v[2:3], v[8:9], 3, s[24:25]
	global_atomic_add_f32 v[2:3], v4, off
	global_atomic_add_f32 v[2:3], v5, off offset:4
	v_lshl_add_u64 v[8:9], v[8:9], 0, s[30:31]
	v_cmp_le_i64_e32 vcc, s[22:23], v[8:9]
	s_or_b64 s[4:5], vcc, s[4:5]
	s_andn2_b64 exec, exec, s[4:5]
	s_cbranch_execz .LBB86_135
.LBB86_131:                             ; =>This Loop Header: Depth=1
                                        ;     Child Loop BB86_133 Depth 2
	v_lshl_add_u64 v[2:3], v[8:9], 3, s[12:13]
	global_load_dwordx4 v[2:5], v[2:3], off
	v_mov_b32_e32 v11, 0
	v_mov_b32_e32 v10, v11
	s_waitcnt vmcnt(0)
	v_cmp_lt_i64_e32 vcc, v[2:3], v[4:5]
	s_and_saveexec_b64 s[6:7], vcc
	s_cbranch_execz .LBB86_130
; %bb.132:                              ;   in Loop: Header=BB86_131 Depth=1
	v_mov_b32_e32 v10, s9
	v_subrev_co_u32_e32 v4, vcc, s8, v4
	s_mov_b64 s[14:15], 0
	s_nop 0
	v_subb_co_u32_e32 v5, vcc, v5, v10, vcc
	v_subrev_co_u32_e32 v12, vcc, s8, v2
	v_lshl_add_u32 v2, v2, 3, s17
	s_nop 0
	v_subb_co_u32_e32 v13, vcc, v3, v10, vcc
	v_mov_b32_e32 v10, 0
	v_mov_b32_e32 v11, v10
.LBB86_133:                             ;   Parent Loop BB86_131 Depth=1
                                        ; =>  This Inner Loop Header: Depth=2
	ds_read_b64 v[14:15], v2
	v_lshl_add_u64 v[12:13], v[12:13], 0, 1
	v_cmp_ge_i64_e32 vcc, v[12:13], v[4:5]
	v_add_u32_e32 v2, 8, v2
	s_or_b64 s[14:15], vcc, s[14:15]
	s_waitcnt lgkmcnt(0)
	v_pk_add_f32 v[10:11], v[10:11], v[14:15]
	s_andn2_b64 exec, exec, s[14:15]
	s_cbranch_execnz .LBB86_133
; %bb.134:                              ;   in Loop: Header=BB86_131 Depth=1
	s_or_b64 exec, exec, s[14:15]
	s_branch .LBB86_130
.LBB86_135:
	s_or_b64 exec, exec, s[0:1]
	s_mov_b64 s[0:1], 0
.LBB86_136:
	s_andn2_b64 vcc, exec, s[0:1]
	s_cbranch_vccnz .LBB86_153
; %bb.137:
	v_cvt_f32_u32_e32 v2, s3
	s_sub_i32 s12, 0, s3
	v_mov_b32_e32 v5, 0
	v_mov_b32_e32 v12, s9
	v_rcp_iflag_f32_e32 v2, v2
	s_nop 0
	v_mul_f32_e32 v2, 0x4f7ffffe, v2
	v_cvt_u32_f32_e32 v2, v2
	v_mul_lo_u32 v3, s12, v2
	v_mul_hi_u32 v3, v2, v3
	v_add_u32_e32 v2, v2, v3
	v_mul_hi_u32 v2, v0, v2
	v_mul_lo_u32 v3, v2, s3
	v_sub_u32_e32 v3, v0, v3
	v_add_u32_e32 v4, 1, v2
	v_cmp_le_u32_e32 vcc, s3, v3
	s_nop 1
	v_cndmask_b32_e32 v2, v2, v4, vcc
	v_subrev_u32_e32 v4, s3, v3
	v_cndmask_b32_e32 v3, v3, v4, vcc
	v_add_u32_e32 v4, 1, v2
	v_cmp_le_u32_e32 vcc, s3, v3
	s_nop 1
	v_cndmask_b32_e32 v4, v2, v4, vcc
	v_lshl_add_u64 v[2:3], v[4:5], 3, s[10:11]
	global_load_dwordx4 v[8:11], v[2:3], off
	v_mov_b32_e32 v3, s9
	s_waitcnt vmcnt(0)
	v_subrev_co_u32_e32 v2, vcc, s8, v8
	s_nop 1
	v_subb_co_u32_e32 v3, vcc, v9, v3, vcc
	v_subrev_co_u32_e32 v14, vcc, s8, v10
	v_mov_b32_e32 v10, v5
	s_nop 0
	v_subb_co_u32_e32 v15, vcc, v11, v12, vcc
	v_sub_co_u32_e32 v8, vcc, v14, v2
	s_nop 1
	v_subb_co_u32_e32 v9, vcc, v15, v3, vcc
	v_mov_b32_e32 v11, v9
	v_cmp_ne_u64_e32 vcc, 0, v[10:11]
                                        ; implicit-def: $vgpr10_vgpr11
	s_and_saveexec_b64 s[0:1], vcc
	s_xor_b64 s[4:5], exec, s[0:1]
	s_cbranch_execz .LBB86_139
; %bb.138:
	s_add_u32 s0, s3, 0
	s_addc_u32 s1, 0, 0
	s_xor_b64 s[6:7], s[0:1], 0
	v_cvt_f32_u32_e32 v10, s6
	v_cvt_f32_u32_e32 v11, s7
	s_sub_u32 s8, 0, s6
	s_subb_u32 s9, 0, s7
	v_ashrrev_i32_e32 v12, 31, v9
	v_fmamk_f32 v10, v11, 0x4f800000, v10
	v_rcp_f32_e32 v10, v10
	v_mov_b32_e32 v13, v12
	v_lshl_add_u64 v[8:9], v[8:9], 0, v[12:13]
	v_xor_b32_e32 v18, v8, v12
	v_mul_f32_e32 v10, 0x5f7ffffc, v10
	v_mul_f32_e32 v11, 0x2f800000, v10
	v_trunc_f32_e32 v11, v11
	v_fmamk_f32 v10, v11, 0xcf800000, v10
	v_cvt_u32_f32_e32 v11, v11
	v_cvt_u32_f32_e32 v10, v10
	v_xor_b32_e32 v13, v9, v12
	v_readfirstlane_b32 s10, v11
	v_readfirstlane_b32 s0, v10
	s_mul_i32 s1, s8, s10
	s_mul_hi_u32 s13, s8, s0
	s_mul_i32 s11, s9, s0
	s_add_i32 s1, s13, s1
	s_mul_i32 s14, s8, s0
	s_add_i32 s1, s1, s11
	s_mul_i32 s13, s0, s1
	s_mul_hi_u32 s15, s0, s14
	s_mul_hi_u32 s11, s0, s1
	s_add_u32 s13, s15, s13
	s_addc_u32 s11, 0, s11
	s_mul_hi_u32 s16, s10, s14
	s_mul_i32 s14, s10, s14
	s_add_u32 s13, s13, s14
	s_mul_hi_u32 s15, s10, s1
	s_addc_u32 s11, s11, s16
	s_addc_u32 s13, s15, 0
	s_mul_i32 s1, s10, s1
	s_add_u32 s1, s11, s1
	s_addc_u32 s11, 0, s13
	s_add_u32 s13, s0, s1
	s_cselect_b64 s[0:1], -1, 0
	s_cmp_lg_u64 s[0:1], 0
	s_addc_u32 s10, s10, s11
	s_mul_i32 s0, s8, s10
	s_mul_hi_u32 s1, s8, s13
	s_add_i32 s0, s1, s0
	s_mul_i32 s9, s9, s13
	s_add_i32 s0, s0, s9
	s_mul_i32 s8, s8, s13
	s_mul_hi_u32 s9, s10, s8
	s_mul_i32 s11, s10, s8
	s_mul_i32 s15, s13, s0
	s_mul_hi_u32 s8, s13, s8
	s_mul_hi_u32 s14, s13, s0
	s_add_u32 s8, s8, s15
	s_addc_u32 s14, 0, s14
	s_add_u32 s8, s8, s11
	s_mul_hi_u32 s1, s10, s0
	s_addc_u32 s8, s14, s9
	s_addc_u32 s1, s1, 0
	s_mul_i32 s0, s10, s0
	s_add_u32 s0, s8, s0
	s_addc_u32 s8, 0, s1
	s_add_u32 s9, s13, s0
	s_cselect_b64 s[0:1], -1, 0
	s_cmp_lg_u64 s[0:1], 0
	s_addc_u32 s8, s10, s8
	v_mad_u64_u32 v[8:9], s[0:1], v18, s8, 0
	v_mul_hi_u32 v10, v18, s9
	v_mov_b32_e32 v11, v5
	v_lshl_add_u64 v[8:9], v[10:11], 0, v[8:9]
	v_mad_u64_u32 v[16:17], s[0:1], v13, s9, 0
	v_add_co_u32_e32 v8, vcc, v8, v16
	v_mad_u64_u32 v[10:11], s[0:1], v13, s8, 0
	s_nop 0
	v_addc_co_u32_e32 v8, vcc, v9, v17, vcc
	v_mov_b32_e32 v9, v5
	s_nop 0
	v_addc_co_u32_e32 v11, vcc, 0, v11, vcc
	v_lshl_add_u64 v[8:9], v[8:9], 0, v[10:11]
	v_mul_lo_u32 v16, s7, v8
	v_mul_lo_u32 v17, s6, v9
	v_mad_u64_u32 v[10:11], s[0:1], s6, v8, 0
	v_add3_u32 v19, v11, v17, v16
	v_sub_u32_e32 v11, v13, v19
	v_mov_b32_e32 v16, s7
	v_sub_co_u32_e32 v18, vcc, v18, v10
	s_nop 1
	v_subb_co_u32_e64 v10, s[0:1], v11, v16, vcc
	v_subrev_co_u32_e64 v11, s[0:1], s6, v18
	v_subb_co_u32_e32 v13, vcc, v13, v19, vcc
	s_nop 0
	v_subbrev_co_u32_e64 v10, s[0:1], 0, v10, s[0:1]
	v_cmp_le_u32_e64 s[0:1], s7, v10
	v_cmp_le_u32_e32 vcc, s7, v13
	s_nop 0
	v_cndmask_b32_e64 v16, 0, -1, s[0:1]
	v_cmp_le_u32_e64 s[0:1], s6, v11
	s_nop 1
	v_cndmask_b32_e64 v11, 0, -1, s[0:1]
	v_cmp_eq_u32_e64 s[0:1], s7, v10
	s_nop 1
	v_cndmask_b32_e64 v20, v16, v11, s[0:1]
	v_lshl_add_u64 v[10:11], v[8:9], 0, 2
	v_lshl_add_u64 v[16:17], v[8:9], 0, 1
	v_cmp_ne_u32_e64 s[0:1], 0, v20
	s_nop 1
	v_cndmask_b32_e64 v11, v17, v11, s[0:1]
	v_cndmask_b32_e64 v17, 0, -1, vcc
	v_cmp_le_u32_e32 vcc, s6, v18
	v_cndmask_b32_e64 v10, v16, v10, s[0:1]
	s_nop 0
	v_cndmask_b32_e64 v18, 0, -1, vcc
	v_cmp_eq_u32_e32 vcc, s7, v13
	s_nop 1
	v_cndmask_b32_e32 v13, v17, v18, vcc
	v_cmp_ne_u32_e32 vcc, 0, v13
	s_nop 1
	v_cndmask_b32_e32 v8, v8, v10, vcc
	v_cndmask_b32_e32 v9, v9, v11, vcc
	v_xor_b32_e32 v8, v8, v12
	v_xor_b32_e32 v9, v9, v12
	v_sub_co_u32_e32 v10, vcc, v8, v12
                                        ; implicit-def: $vgpr8
	s_nop 1
	v_subb_co_u32_e32 v11, vcc, v9, v12, vcc
.LBB86_139:
	s_andn2_saveexec_b64 s[0:1], s[4:5]
	s_cbranch_execz .LBB86_141
; %bb.140:
	v_cvt_f32_u32_e32 v9, s3
	v_rcp_iflag_f32_e32 v9, v9
	s_nop 0
	v_mul_f32_e32 v9, 0x4f7ffffe, v9
	v_cvt_u32_f32_e32 v9, v9
	v_mul_lo_u32 v10, s12, v9
	v_mul_hi_u32 v10, v9, v10
	v_add_u32_e32 v9, v9, v10
	v_mul_hi_u32 v9, v8, v9
	v_mul_lo_u32 v10, v9, s3
	v_sub_u32_e32 v8, v8, v10
	v_add_u32_e32 v11, 1, v9
	v_subrev_u32_e32 v10, s3, v8
	v_cmp_le_u32_e32 vcc, s3, v8
	s_nop 1
	v_cndmask_b32_e32 v8, v8, v10, vcc
	v_cndmask_b32_e32 v9, v9, v11, vcc
	v_add_u32_e32 v10, 1, v9
	v_cmp_le_u32_e32 vcc, s3, v8
	v_mov_b32_e32 v11, 0
	s_nop 0
	v_cndmask_b32_e32 v10, v9, v10, vcc
.LBB86_141:
	s_or_b64 exec, exec, s[0:1]
	v_cmp_gt_i64_e32 vcc, s[26:27], v[4:5]
	v_mov_b32_e32 v5, 0
	v_mov_b32_e32 v4, 0
	s_and_saveexec_b64 s[0:1], vcc
	s_cbranch_execz .LBB86_149
; %bb.142:
	s_add_i32 s4, s3, -1
	v_and_b32_e32 v8, s4, v0
	v_mov_b32_e32 v5, 0
	s_mov_b64 s[4:5], 0
	v_cmp_lt_i64_e32 vcc, 0, v[10:11]
	v_lshlrev_b32_e32 v16, 3, v8
	v_mov_b32_e32 v4, v5
	s_and_saveexec_b64 s[6:7], vcc
	s_cbranch_execz .LBB86_146
; %bb.143:
	v_mov_b32_e32 v4, 0
	v_lshl_add_u32 v9, v2, 3, v16
	s_lshl_b32 s8, s3, 3
	v_mov_b64_e32 v[12:13], v[10:11]
	v_mov_b32_e32 v5, v4
.LBB86_144:                             ; =>This Inner Loop Header: Depth=1
	ds_read_b64 v[18:19], v9
	v_lshl_add_u64 v[12:13], v[12:13], 0, -1
	v_cmp_eq_u64_e32 vcc, 0, v[12:13]
	v_add_u32_e32 v9, s8, v9
	s_or_b64 s[4:5], vcc, s[4:5]
	s_waitcnt lgkmcnt(0)
	v_pk_add_f32 v[4:5], v[4:5], v[18:19]
	s_andn2_b64 exec, exec, s[4:5]
	s_cbranch_execnz .LBB86_144
; %bb.145:
	s_or_b64 exec, exec, s[4:5]
.LBB86_146:
	s_or_b64 exec, exec, s[6:7]
	v_mad_u64_u32 v[2:3], s[4:5], v10, s3, v[2:3]
	v_mov_b32_e32 v10, v3
	v_mad_u64_u32 v[10:11], s[4:5], v11, s3, v[10:11]
	v_sub_co_u32_e32 v12, vcc, v14, v2
	v_mov_b32_e32 v9, 0
	s_nop 0
	v_subb_co_u32_e32 v13, vcc, v15, v10, vcc
	v_cmp_gt_i64_e32 vcc, v[12:13], v[8:9]
	s_and_saveexec_b64 s[4:5], vcc
	s_cbranch_execz .LBB86_148
; %bb.147:
	v_lshl_add_u32 v2, v2, 3, v16
	ds_read_b64 v[2:3], v2
	s_waitcnt lgkmcnt(0)
	v_pk_add_f32 v[4:5], v[4:5], v[2:3]
.LBB86_148:
	s_or_b64 exec, exec, s[4:5]
.LBB86_149:
	s_or_b64 exec, exec, s[0:1]
	v_cmp_gt_i64_e32 vcc, s[26:27], v[0:1]
	s_barrier
	ds_write_b64 v26, v[4:5]
	s_waitcnt lgkmcnt(0)
	s_barrier
	s_and_b64 exec, exec, vcc
	s_cbranch_execz .LBB86_153
; %bb.150:
	v_mul_lo_u32 v1, s3, v0
	v_mov_b32_e32 v2, 0
	v_lshlrev_b32_e32 v1, 3, v1
	v_mov_b32_e32 v3, v2
.LBB86_151:                             ; =>This Inner Loop Header: Depth=1
	ds_read_b64 v[4:5], v1
	s_add_i32 s3, s3, -1
	v_add_u32_e32 v1, 8, v1
	s_cmp_eq_u32 s3, 0
	s_waitcnt lgkmcnt(0)
	v_pk_add_f32 v[2:3], v[2:3], v[4:5]
	s_cbranch_scc0 .LBB86_151
; %bb.152:
	s_lshl_b32 s0, s2, 3
	s_addk_i32 s0, 0x2000
	v_lshl_add_u32 v0, v0, 3, s0
	ds_read2_b32 v[0:1], v0 offset1:1
	s_waitcnt lgkmcnt(0)
	v_add_f32_e32 v2, v2, v0
	v_add_f32_e32 v3, v3, v1
	v_lshl_add_u64 v[0:1], v[6:7], 3, s[24:25]
	global_atomic_add_f32 v[0:1], v2, off
	global_atomic_add_f32 v[0:1], v3, off offset:4
.LBB86_153:
	s_endpgm
	.section	.rodata,"a",@progbits
	.p2align	6, 0x0
	.amdhsa_kernel _ZN9rocsparseL27csrmvn_symm_adaptive_kernelIlif21rocsparse_complex_numIfES2_S2_EEvbT_S3_PKS3_NS_24const_host_device_scalarIT4_EES5_PKT0_PKT1_PKT2_S8_PT3_21rocsparse_index_base_b
		.amdhsa_group_segment_fixed_size 8192
		.amdhsa_private_segment_fixed_size 0
		.amdhsa_kernarg_size 352
		.amdhsa_user_sgpr_count 2
		.amdhsa_user_sgpr_dispatch_ptr 0
		.amdhsa_user_sgpr_queue_ptr 0
		.amdhsa_user_sgpr_kernarg_segment_ptr 1
		.amdhsa_user_sgpr_dispatch_id 0
		.amdhsa_user_sgpr_kernarg_preload_length 0
		.amdhsa_user_sgpr_kernarg_preload_offset 0
		.amdhsa_user_sgpr_private_segment_size 0
		.amdhsa_uses_dynamic_stack 0
		.amdhsa_enable_private_segment 0
		.amdhsa_system_sgpr_workgroup_id_x 1
		.amdhsa_system_sgpr_workgroup_id_y 0
		.amdhsa_system_sgpr_workgroup_id_z 0
		.amdhsa_system_sgpr_workgroup_info 0
		.amdhsa_system_vgpr_workitem_id 0
		.amdhsa_next_free_vgpr 35
		.amdhsa_next_free_sgpr 52
		.amdhsa_accum_offset 36
		.amdhsa_reserve_vcc 1
		.amdhsa_float_round_mode_32 0
		.amdhsa_float_round_mode_16_64 0
		.amdhsa_float_denorm_mode_32 3
		.amdhsa_float_denorm_mode_16_64 3
		.amdhsa_dx10_clamp 1
		.amdhsa_ieee_mode 1
		.amdhsa_fp16_overflow 0
		.amdhsa_tg_split 0
		.amdhsa_exception_fp_ieee_invalid_op 0
		.amdhsa_exception_fp_denorm_src 0
		.amdhsa_exception_fp_ieee_div_zero 0
		.amdhsa_exception_fp_ieee_overflow 0
		.amdhsa_exception_fp_ieee_underflow 0
		.amdhsa_exception_fp_ieee_inexact 0
		.amdhsa_exception_int_div_zero 0
	.end_amdhsa_kernel
	.section	.text._ZN9rocsparseL27csrmvn_symm_adaptive_kernelIlif21rocsparse_complex_numIfES2_S2_EEvbT_S3_PKS3_NS_24const_host_device_scalarIT4_EES5_PKT0_PKT1_PKT2_S8_PT3_21rocsparse_index_base_b,"axG",@progbits,_ZN9rocsparseL27csrmvn_symm_adaptive_kernelIlif21rocsparse_complex_numIfES2_S2_EEvbT_S3_PKS3_NS_24const_host_device_scalarIT4_EES5_PKT0_PKT1_PKT2_S8_PT3_21rocsparse_index_base_b,comdat
.Lfunc_end86:
	.size	_ZN9rocsparseL27csrmvn_symm_adaptive_kernelIlif21rocsparse_complex_numIfES2_S2_EEvbT_S3_PKS3_NS_24const_host_device_scalarIT4_EES5_PKT0_PKT1_PKT2_S8_PT3_21rocsparse_index_base_b, .Lfunc_end86-_ZN9rocsparseL27csrmvn_symm_adaptive_kernelIlif21rocsparse_complex_numIfES2_S2_EEvbT_S3_PKS3_NS_24const_host_device_scalarIT4_EES5_PKT0_PKT1_PKT2_S8_PT3_21rocsparse_index_base_b
                                        ; -- End function
	.set _ZN9rocsparseL27csrmvn_symm_adaptive_kernelIlif21rocsparse_complex_numIfES2_S2_EEvbT_S3_PKS3_NS_24const_host_device_scalarIT4_EES5_PKT0_PKT1_PKT2_S8_PT3_21rocsparse_index_base_b.num_vgpr, 35
	.set _ZN9rocsparseL27csrmvn_symm_adaptive_kernelIlif21rocsparse_complex_numIfES2_S2_EEvbT_S3_PKS3_NS_24const_host_device_scalarIT4_EES5_PKT0_PKT1_PKT2_S8_PT3_21rocsparse_index_base_b.num_agpr, 0
	.set _ZN9rocsparseL27csrmvn_symm_adaptive_kernelIlif21rocsparse_complex_numIfES2_S2_EEvbT_S3_PKS3_NS_24const_host_device_scalarIT4_EES5_PKT0_PKT1_PKT2_S8_PT3_21rocsparse_index_base_b.numbered_sgpr, 52
	.set _ZN9rocsparseL27csrmvn_symm_adaptive_kernelIlif21rocsparse_complex_numIfES2_S2_EEvbT_S3_PKS3_NS_24const_host_device_scalarIT4_EES5_PKT0_PKT1_PKT2_S8_PT3_21rocsparse_index_base_b.num_named_barrier, 0
	.set _ZN9rocsparseL27csrmvn_symm_adaptive_kernelIlif21rocsparse_complex_numIfES2_S2_EEvbT_S3_PKS3_NS_24const_host_device_scalarIT4_EES5_PKT0_PKT1_PKT2_S8_PT3_21rocsparse_index_base_b.private_seg_size, 0
	.set _ZN9rocsparseL27csrmvn_symm_adaptive_kernelIlif21rocsparse_complex_numIfES2_S2_EEvbT_S3_PKS3_NS_24const_host_device_scalarIT4_EES5_PKT0_PKT1_PKT2_S8_PT3_21rocsparse_index_base_b.uses_vcc, 1
	.set _ZN9rocsparseL27csrmvn_symm_adaptive_kernelIlif21rocsparse_complex_numIfES2_S2_EEvbT_S3_PKS3_NS_24const_host_device_scalarIT4_EES5_PKT0_PKT1_PKT2_S8_PT3_21rocsparse_index_base_b.uses_flat_scratch, 0
	.set _ZN9rocsparseL27csrmvn_symm_adaptive_kernelIlif21rocsparse_complex_numIfES2_S2_EEvbT_S3_PKS3_NS_24const_host_device_scalarIT4_EES5_PKT0_PKT1_PKT2_S8_PT3_21rocsparse_index_base_b.has_dyn_sized_stack, 0
	.set _ZN9rocsparseL27csrmvn_symm_adaptive_kernelIlif21rocsparse_complex_numIfES2_S2_EEvbT_S3_PKS3_NS_24const_host_device_scalarIT4_EES5_PKT0_PKT1_PKT2_S8_PT3_21rocsparse_index_base_b.has_recursion, 0
	.set _ZN9rocsparseL27csrmvn_symm_adaptive_kernelIlif21rocsparse_complex_numIfES2_S2_EEvbT_S3_PKS3_NS_24const_host_device_scalarIT4_EES5_PKT0_PKT1_PKT2_S8_PT3_21rocsparse_index_base_b.has_indirect_call, 0
	.section	.AMDGPU.csdata,"",@progbits
; Kernel info:
; codeLenInByte = 8168
; TotalNumSgprs: 58
; NumVgprs: 35
; NumAgprs: 0
; TotalNumVgprs: 35
; ScratchSize: 0
; MemoryBound: 0
; FloatMode: 240
; IeeeMode: 1
; LDSByteSize: 8192 bytes/workgroup (compile time only)
; SGPRBlocks: 7
; VGPRBlocks: 4
; NumSGPRsForWavesPerEU: 58
; NumVGPRsForWavesPerEU: 35
; AccumOffset: 36
; Occupancy: 8
; WaveLimiterHint : 1
; COMPUTE_PGM_RSRC2:SCRATCH_EN: 0
; COMPUTE_PGM_RSRC2:USER_SGPR: 2
; COMPUTE_PGM_RSRC2:TRAP_HANDLER: 0
; COMPUTE_PGM_RSRC2:TGID_X_EN: 1
; COMPUTE_PGM_RSRC2:TGID_Y_EN: 0
; COMPUTE_PGM_RSRC2:TGID_Z_EN: 0
; COMPUTE_PGM_RSRC2:TIDIG_COMP_CNT: 0
; COMPUTE_PGM_RSRC3_GFX90A:ACCUM_OFFSET: 8
; COMPUTE_PGM_RSRC3_GFX90A:TG_SPLIT: 0
	.section	.text._ZL33csrmvn_symm_large_adaptive_kernelIlif21rocsparse_complex_numIfES1_S1_EvbT_PKS2_N9rocsparse24const_host_device_scalarIT4_EES4_PKT0_PKT1_PKT2_S8_PT3_21rocsparse_index_base_b,"axG",@progbits,_ZL33csrmvn_symm_large_adaptive_kernelIlif21rocsparse_complex_numIfES1_S1_EvbT_PKS2_N9rocsparse24const_host_device_scalarIT4_EES4_PKT0_PKT1_PKT2_S8_PT3_21rocsparse_index_base_b,comdat
	.globl	_ZL33csrmvn_symm_large_adaptive_kernelIlif21rocsparse_complex_numIfES1_S1_EvbT_PKS2_N9rocsparse24const_host_device_scalarIT4_EES4_PKT0_PKT1_PKT2_S8_PT3_21rocsparse_index_base_b ; -- Begin function _ZL33csrmvn_symm_large_adaptive_kernelIlif21rocsparse_complex_numIfES1_S1_EvbT_PKS2_N9rocsparse24const_host_device_scalarIT4_EES4_PKT0_PKT1_PKT2_S8_PT3_21rocsparse_index_base_b
	.p2align	8
	.type	_ZL33csrmvn_symm_large_adaptive_kernelIlif21rocsparse_complex_numIfES1_S1_EvbT_PKS2_N9rocsparse24const_host_device_scalarIT4_EES4_PKT0_PKT1_PKT2_S8_PT3_21rocsparse_index_base_b,@function
_ZL33csrmvn_symm_large_adaptive_kernelIlif21rocsparse_complex_numIfES1_S1_EvbT_PKS2_N9rocsparse24const_host_device_scalarIT4_EES4_PKT0_PKT1_PKT2_S8_PT3_21rocsparse_index_base_b: ; @_ZL33csrmvn_symm_large_adaptive_kernelIlif21rocsparse_complex_numIfES1_S1_EvbT_PKS2_N9rocsparse24const_host_device_scalarIT4_EES4_PKT0_PKT1_PKT2_S8_PT3_21rocsparse_index_base_b
; %bb.0:
	s_load_dwordx2 s[20:21], s[0:1], 0x50
	s_load_dwordx2 s[4:5], s[0:1], 0x18
	s_add_u32 s3, s0, 24
	s_addc_u32 s10, s1, 0
	s_waitcnt lgkmcnt(0)
	s_bitcmp1_b32 s21, 0
	s_cselect_b64 s[8:9], -1, 0
	s_and_b64 s[6:7], s[8:9], exec
	s_cselect_b32 s5, s10, s5
	s_cselect_b32 s3, s3, s4
	v_mov_b32_e32 v2, s3
	v_mov_b32_e32 v3, s5
	flat_load_dwordx2 v[2:3], v[2:3]
	s_waitcnt vmcnt(0) lgkmcnt(0)
	v_cmp_eq_f32_e32 vcc, 0, v2
	v_cmp_eq_f32_e64 s[4:5], 0, v3
	s_and_b64 s[10:11], vcc, s[4:5]
	s_mov_b64 s[4:5], -1
	s_and_saveexec_b64 s[6:7], s[10:11]
	s_cbranch_execz .LBB87_2
; %bb.1:
	s_load_dwordx2 s[4:5], s[0:1], 0x40
	s_add_u32 s3, s0, 64
	s_addc_u32 s10, s1, 0
	s_and_b64 s[8:9], s[8:9], exec
	s_waitcnt lgkmcnt(0)
	s_cselect_b32 s5, s10, s5
	s_cselect_b32 s3, s3, s4
	v_mov_b32_e32 v4, s3
	v_mov_b32_e32 v5, s5
	flat_load_dwordx2 v[4:5], v[4:5]
	s_waitcnt vmcnt(0) lgkmcnt(0)
	v_cmp_neq_f32_e32 vcc, 1.0, v4
	v_cmp_neq_f32_e64 s[4:5], 0, v5
	s_or_b64 s[4:5], vcc, s[4:5]
	s_orn2_b64 s[4:5], s[4:5], exec
.LBB87_2:
	s_or_b64 exec, exec, s[6:7]
	s_and_saveexec_b64 s[6:7], s[4:5]
	s_cbranch_execz .LBB87_36
; %bb.3:
	s_load_dwordx2 s[4:5], s[0:1], 0x10
	s_ashr_i32 s3, s2, 31
	s_mov_b32 s6, 0
	s_lshl_b64 s[2:3], s[2:3], 3
	s_mov_b32 s7, s6
	s_waitcnt lgkmcnt(0)
	s_add_u32 s2, s4, s2
	v_lshlrev_b32_e32 v18, 3, v0
	v_mov_b64_e32 v[4:5], s[6:7]
	s_addc_u32 s3, s5, s3
	ds_write2st64_b64 v18, v[4:5], v[4:5] offset1:4
	ds_write2st64_b64 v18, v[4:5], v[4:5] offset0:8 offset1:12
	s_waitcnt lgkmcnt(0)
	s_barrier
	s_load_dwordx4 s[16:19], s[2:3], 0x0
	s_load_dwordx8 s[8:15], s[0:1], 0x20
	s_load_dwordx2 s[22:23], s[0:1], 0x48
	v_mov_b32_e32 v1, 0
	s_waitcnt lgkmcnt(0)
	v_mov_b64_e32 v[4:5], s[18:19]
	v_cmp_ge_i64_e32 vcc, s[16:17], v[4:5]
	v_subrev_co_u32_e64 v4, s[0:1], s20, v0
	s_nop 1
	v_subb_co_u32_e64 v5, s[0:1], 0, 0, s[0:1]
	s_cbranch_vccnz .LBB87_27
; %bb.4:
	v_cmp_gt_u32_e64 s[0:1], 64, v0
	v_cmp_gt_u32_e64 s[2:3], 16, v0
	;; [unrolled: 1-line block ×3, first 2 shown]
	v_cmp_eq_u32_e64 s[6:7], 0, v0
	v_bfrev_b32_e32 v6, 1
	s_mov_b64 s[24:25], 0x100
	s_mov_b64 s[26:27], 0x400
	v_mov_b64_e32 v[8:9], s[18:19]
	s_mov_b64 s[28:29], s[16:17]
	s_branch .LBB87_6
.LBB87_5:                               ;   in Loop: Header=BB87_6 Depth=1
	s_or_b64 exec, exec, s[34:35]
	s_add_u32 s28, s28, 1
	s_addc_u32 s29, s29, 0
	v_cmp_ge_i64_e32 vcc, s[28:29], v[8:9]
	s_cbranch_vccnz .LBB87_27
.LBB87_6:                               ; =>This Loop Header: Depth=1
                                        ;     Child Loop BB87_8 Depth 2
                                        ;     Child Loop BB87_20 Depth 2
	;; [unrolled: 1-line block ×3, first 2 shown]
	s_lshl_b64 s[30:31], s[28:29], 3
	s_add_u32 s34, s8, s30
	s_addc_u32 s35, s9, s31
	s_load_dwordx4 s[40:43], s[34:35], 0x0
	v_mov_b32_e32 v11, 0
	v_mov_b32_e32 v10, v11
	s_waitcnt lgkmcnt(0)
	s_sub_u32 s36, s42, s20
	v_lshl_add_u64 v[12:13], s[40:41], 0, v[4:5]
	s_subb_u32 s37, s43, 0
	v_cmp_gt_i64_e32 vcc, s[36:37], v[12:13]
	s_and_saveexec_b64 s[34:35], vcc
	s_cbranch_execz .LBB87_10
; %bb.7:                                ;   in Loop: Header=BB87_6 Depth=1
	v_lshlrev_b64 v[10:11], 2, v[12:13]
	v_lshl_add_u64 v[14:15], s[10:11], 0, v[10:11]
	v_lshl_add_u64 v[16:17], s[12:13], 0, v[10:11]
	v_mov_b32_e32 v10, 0
	s_mov_b64 s[38:39], 0
	v_mov_b32_e32 v11, v10
.LBB87_8:                               ;   Parent Loop BB87_6 Depth=1
                                        ; =>  This Inner Loop Header: Depth=2
	global_load_dword v7, v[14:15], off
	global_load_dword v0, v[16:17], off
	v_lshl_add_u64 v[12:13], v[12:13], 0, s[24:25]
	v_cmp_le_i64_e32 vcc, s[36:37], v[12:13]
	v_lshl_add_u64 v[14:15], v[14:15], 0, s[26:27]
	v_lshl_add_u64 v[16:17], v[16:17], 0, s[26:27]
	s_or_b64 s[38:39], vcc, s[38:39]
	s_waitcnt vmcnt(1)
	v_subrev_u32_e32 v20, s20, v7
	v_ashrrev_i32_e32 v21, 31, v20
	v_lshl_add_u64 v[20:21], v[20:21], 3, s[14:15]
	global_load_dwordx2 v[20:21], v[20:21], off
	s_waitcnt vmcnt(1)
	v_mov_b32_e32 v7, v0
	s_waitcnt vmcnt(0)
	v_pk_fma_f32 v[10:11], v[20:21], v[0:1], v[10:11] op_sel_hi:[0,1,1]
	v_pk_fma_f32 v[10:11], v[20:21], v[6:7], v[10:11] op_sel:[1,0,0]
	s_andn2_b64 exec, exec, s[38:39]
	s_cbranch_execnz .LBB87_8
; %bb.9:                                ;   in Loop: Header=BB87_6 Depth=1
	s_or_b64 exec, exec, s[38:39]
.LBB87_10:                              ;   in Loop: Header=BB87_6 Depth=1
	s_or_b64 exec, exec, s[34:35]
	ds_write_b64 v18, v[10:11]
	s_waitcnt lgkmcnt(0)
	s_barrier
	ds_read2st64_b64 v[10:13], v18 offset1:4
	ds_read2st64_b64 v[14:17], v18 offset0:8 offset1:12
	s_waitcnt lgkmcnt(0)
	v_pk_add_f32 v[12:13], v[14:15], v[12:13]
	s_nop 0
	v_pk_add_f32 v[12:13], v[16:17], v[12:13]
	s_nop 0
	v_pk_add_f32 v[10:11], v[12:13], v[10:11]
	ds_write_b64 v18, v[10:11]
	s_waitcnt lgkmcnt(0)
	s_barrier
	s_and_saveexec_b64 s[34:35], s[0:1]
	s_cbranch_execz .LBB87_12
; %bb.11:                               ;   in Loop: Header=BB87_6 Depth=1
	ds_read2st64_b64 v[10:13], v18 offset1:1
	ds_read2st64_b64 v[14:17], v18 offset0:2 offset1:3
	s_waitcnt lgkmcnt(0)
	v_pk_add_f32 v[12:13], v[14:15], v[12:13]
	s_nop 0
	v_pk_add_f32 v[12:13], v[16:17], v[12:13]
	s_nop 0
	v_pk_add_f32 v[10:11], v[12:13], v[10:11]
	ds_write_b64 v18, v[10:11]
.LBB87_12:                              ;   in Loop: Header=BB87_6 Depth=1
	s_or_b64 exec, exec, s[34:35]
	s_waitcnt lgkmcnt(0)
	s_barrier
	s_and_saveexec_b64 s[34:35], s[2:3]
	s_cbranch_execz .LBB87_14
; %bb.13:                               ;   in Loop: Header=BB87_6 Depth=1
	ds_read2_b64 v[10:13], v18 offset1:16
	ds_read2_b64 v[14:17], v18 offset0:32 offset1:48
	s_waitcnt lgkmcnt(0)
	v_pk_add_f32 v[12:13], v[14:15], v[12:13]
	s_nop 0
	v_pk_add_f32 v[12:13], v[16:17], v[12:13]
	s_nop 0
	v_pk_add_f32 v[10:11], v[12:13], v[10:11]
	ds_write_b64 v18, v[10:11]
.LBB87_14:                              ;   in Loop: Header=BB87_6 Depth=1
	s_or_b64 exec, exec, s[34:35]
	s_waitcnt lgkmcnt(0)
	s_barrier
	s_and_saveexec_b64 s[34:35], s[4:5]
	s_cbranch_execz .LBB87_16
; %bb.15:                               ;   in Loop: Header=BB87_6 Depth=1
	ds_read2_b64 v[10:13], v18 offset1:4
	ds_read2_b64 v[14:17], v18 offset0:8 offset1:12
	s_waitcnt lgkmcnt(0)
	v_pk_add_f32 v[12:13], v[14:15], v[12:13]
	s_nop 0
	v_pk_add_f32 v[12:13], v[16:17], v[12:13]
	s_nop 0
	v_pk_add_f32 v[10:11], v[12:13], v[10:11]
	ds_write_b64 v18, v[10:11]
.LBB87_16:                              ;   in Loop: Header=BB87_6 Depth=1
	s_or_b64 exec, exec, s[34:35]
	s_waitcnt lgkmcnt(0)
	s_barrier
	s_and_saveexec_b64 s[34:35], s[6:7]
	s_cbranch_execz .LBB87_18
; %bb.17:                               ;   in Loop: Header=BB87_6 Depth=1
	ds_read_b128 v[10:13], v1 offset:16
	ds_read_b64 v[14:15], v1 offset:8
	ds_read_b64 v[16:17], v18
	s_waitcnt lgkmcnt(1)
	v_pk_add_f32 v[10:11], v[10:11], v[14:15]
	s_nop 0
	v_pk_add_f32 v[10:11], v[12:13], v[10:11]
	s_waitcnt lgkmcnt(0)
	v_pk_add_f32 v[10:11], v[10:11], v[16:17]
	ds_write_b64 v18, v[10:11]
.LBB87_18:                              ;   in Loop: Header=BB87_6 Depth=1
	s_or_b64 exec, exec, s[34:35]
	s_waitcnt lgkmcnt(0)
	s_barrier
	s_and_saveexec_b64 s[34:35], s[6:7]
	s_cbranch_execz .LBB87_5
; %bb.19:                               ;   in Loop: Header=BB87_6 Depth=1
	ds_read_b64 v[10:11], v1
	s_mov_b64 s[36:37], exec
	v_bfrev_b32_e32 v0, 1
	s_waitcnt lgkmcnt(0)
	v_mul_f32_e64 v7, v11, -v3
	v_fmac_f32_e32 v7, v2, v10
.LBB87_20:                              ;   Parent Loop BB87_6 Depth=1
                                        ; =>  This Inner Loop Header: Depth=2
	s_ff1_i32_b64 s21, s[36:37]
	s_lshl_b64 s[38:39], 1, s21
	v_readlane_b32 s33, v7, s21
	s_andn2_b64 s[36:37], s[36:37], s[38:39]
	s_cmp_lg_u64 s[36:37], 0
	v_add_f32_e32 v0, s33, v0
	s_cbranch_scc1 .LBB87_20
; %bb.21:                               ;   in Loop: Header=BB87_6 Depth=1
	v_mbcnt_lo_u32_b32 v7, exec_lo, 0
	s_add_u32 s30, s22, s30
	v_mbcnt_hi_u32_b32 v7, exec_hi, v7
	s_addc_u32 s31, s23, s31
	v_cmp_eq_u32_e32 vcc, 0, v7
	s_and_saveexec_b64 s[36:37], vcc
	s_xor_b64 s[36:37], exec, s[36:37]
	s_cbranch_execz .LBB87_23
; %bb.22:                               ;   in Loop: Header=BB87_6 Depth=1
	global_atomic_add_f32 v1, v0, s[30:31]
.LBB87_23:                              ;   in Loop: Header=BB87_6 Depth=1
	s_or_b64 exec, exec, s[36:37]
	v_mul_f32_e32 v7, v2, v11
	s_mov_b64 s[36:37], exec
	v_fmac_f32_e32 v7, v3, v10
	v_bfrev_b32_e32 v0, 1
.LBB87_24:                              ;   Parent Loop BB87_6 Depth=1
                                        ; =>  This Inner Loop Header: Depth=2
	s_ff1_i32_b64 s21, s[36:37]
	s_lshl_b64 s[38:39], 1, s21
	v_readlane_b32 s33, v7, s21
	s_andn2_b64 s[36:37], s[36:37], s[38:39]
	s_cmp_lg_u64 s[36:37], 0
	v_add_f32_e32 v0, s33, v0
	s_cbranch_scc1 .LBB87_24
; %bb.25:                               ;   in Loop: Header=BB87_6 Depth=1
	v_mbcnt_lo_u32_b32 v7, exec_lo, 0
	v_mbcnt_hi_u32_b32 v7, exec_hi, v7
	v_cmp_eq_u32_e32 vcc, 0, v7
	s_and_saveexec_b64 s[36:37], vcc
	s_xor_b64 s[36:37], exec, s[36:37]
	s_cbranch_execz .LBB87_5
; %bb.26:                               ;   in Loop: Header=BB87_6 Depth=1
	global_atomic_add_f32 v1, v0, s[30:31] offset:4
	s_branch .LBB87_5
.LBB87_27:
	s_lshl_b64 s[0:1], s[16:17], 3
	s_add_u32 s0, s8, s0
	s_addc_u32 s1, s9, s1
	s_lshl_b64 s[2:3], s[18:19], 3
	s_add_u32 s2, s8, s2
	s_addc_u32 s3, s9, s3
	s_load_dwordx2 s[4:5], s[2:3], 0x0
	s_load_dwordx2 s[6:7], s[0:1], 0x0
	s_waitcnt lgkmcnt(0)
	s_sub_u32 s4, s4, s20
	s_subb_u32 s5, s5, 0
	v_lshl_add_u64 v[0:1], s[6:7], 0, v[4:5]
	v_cmp_gt_i64_e32 vcc, s[4:5], v[0:1]
	s_and_b64 exec, exec, vcc
	s_cbranch_execz .LBB87_36
; %bb.28:
	s_add_u32 s6, s18, -1
	s_addc_u32 s7, s19, -1
	s_add_u32 s0, s18, -2
	s_addc_u32 s1, s19, -1
	v_mov_b64_e32 v[4:5], s[6:7]
	s_cmp_lg_u64 s[16:17], s[0:1]
	v_cmp_lt_i64_e32 vcc, s[16:17], v[4:5]
	s_cselect_b64 s[0:1], -1, 0
	s_and_b64 s[0:1], vcc, s[0:1]
	v_cndmask_b32_e64 v4, 0, 1, s[0:1]
	v_mul_f32_e32 v12, 0x80000000, v3
	v_mul_f32_e32 v13, 0, v2
	s_mov_b64 s[18:19], 0
	v_cmp_ne_u32_e64 s[0:1], 1, v4
	v_mov_b32_e32 v5, 0
	s_mov_b64 s[24:25], 0x100
	s_branch .LBB87_30
.LBB87_29:                              ;   in Loop: Header=BB87_30 Depth=1
	s_or_b64 exec, exec, s[2:3]
	v_lshl_add_u64 v[0:1], v[0:1], 0, s[24:25]
	v_cmp_le_i64_e32 vcc, s[4:5], v[0:1]
	s_or_b64 s[18:19], vcc, s[18:19]
	s_andn2_b64 exec, exec, s[18:19]
	s_cbranch_execz .LBB87_36
.LBB87_30:                              ; =>This Loop Header: Depth=1
                                        ;     Child Loop BB87_32 Depth 2
	s_and_b64 vcc, exec, s[0:1]
	v_mov_b64_e32 v[6:7], s[16:17]
	v_mov_b64_e32 v[8:9], s[6:7]
	s_cbranch_vccnz .LBB87_34
; %bb.31:                               ;   in Loop: Header=BB87_30 Depth=1
	s_mov_b64 s[26:27], 0
	v_mov_b64_e32 v[6:7], s[16:17]
	v_mov_b64_e32 v[8:9], s[6:7]
.LBB87_32:                              ;   Parent Loop BB87_30 Depth=1
                                        ; =>  This Inner Loop Header: Depth=2
	v_lshl_add_u64 v[10:11], v[8:9], 0, v[6:7]
	v_lshrrev_b32_e32 v4, 31, v11
	v_lshl_add_u64 v[10:11], v[10:11], 0, v[4:5]
	v_ashrrev_i64 v[10:11], 1, v[10:11]
	v_lshl_add_u64 v[14:15], v[10:11], 3, s[8:9]
	global_load_dwordx2 v[14:15], v[14:15], off
	s_waitcnt vmcnt(0)
	v_subrev_co_u32_e32 v14, vcc, s20, v14
	s_nop 1
	v_subbrev_co_u32_e32 v15, vcc, 0, v15, vcc
	v_cmp_lt_i64_e32 vcc, v[0:1], v[14:15]
	s_nop 1
	v_cndmask_b32_e32 v9, v9, v11, vcc
	v_cndmask_b32_e32 v8, v8, v10, vcc
	;; [unrolled: 1-line block ×4, first 2 shown]
	v_lshl_add_u64 v[10:11], v[8:9], 0, -1
	v_cmp_ge_i64_e32 vcc, v[6:7], v[8:9]
	v_cmp_eq_u64_e64 s[2:3], v[6:7], v[10:11]
	s_or_b64 s[2:3], vcc, s[2:3]
	s_and_b64 s[2:3], exec, s[2:3]
	s_or_b64 s[26:27], s[2:3], s[26:27]
	s_andn2_b64 exec, exec, s[26:27]
	s_cbranch_execnz .LBB87_32
; %bb.33:                               ;   in Loop: Header=BB87_30 Depth=1
	s_or_b64 exec, exec, s[26:27]
.LBB87_34:                              ;   in Loop: Header=BB87_30 Depth=1
	v_lshl_add_u64 v[10:11], v[8:9], 3, s[8:9]
	global_load_dwordx2 v[10:11], v[10:11], off
	v_lshl_add_u64 v[14:15], v[0:1], 2, s[10:11]
	global_load_dword v4, v[14:15], off
	s_waitcnt vmcnt(1)
	v_subrev_co_u32_e32 v14, vcc, s20, v10
	s_nop 1
	v_subbrev_co_u32_e32 v15, vcc, 0, v11, vcc
	s_waitcnt vmcnt(0)
	v_subrev_u32_e32 v10, s20, v4
	v_cmp_lt_i64_e32 vcc, v[0:1], v[14:15]
	v_ashrrev_i32_e32 v11, 31, v10
	s_nop 0
	v_cndmask_b32_e32 v7, v9, v7, vcc
	v_cndmask_b32_e32 v6, v8, v6, vcc
	v_cmp_ne_u64_e32 vcc, v[6:7], v[10:11]
	s_and_saveexec_b64 s[2:3], vcc
	s_cbranch_execz .LBB87_29
; %bb.35:                               ;   in Loop: Header=BB87_30 Depth=1
	v_lshl_add_u64 v[8:9], v[0:1], 2, s[12:13]
	global_load_dword v4, v[8:9], off
	v_lshl_add_u64 v[6:7], v[6:7], 3, s[14:15]
	global_load_dwordx2 v[6:7], v[6:7], off
	v_lshl_add_u64 v[8:9], v[10:11], 3, s[22:23]
	s_waitcnt vmcnt(1)
	v_fma_f32 v10, v2, v4, v12
	v_fma_f32 v4, v3, v4, v13
	s_waitcnt vmcnt(0)
	v_mul_f32_e64 v11, v7, -v4
	v_mul_f32_e32 v7, v10, v7
	v_fmac_f32_e32 v11, v10, v6
	v_fmac_f32_e32 v7, v4, v6
	global_atomic_add_f32 v[8:9], v11, off
	global_atomic_add_f32 v[8:9], v7, off offset:4
	s_branch .LBB87_29
.LBB87_36:
	s_endpgm
	.section	.rodata,"a",@progbits
	.p2align	6, 0x0
	.amdhsa_kernel _ZL33csrmvn_symm_large_adaptive_kernelIlif21rocsparse_complex_numIfES1_S1_EvbT_PKS2_N9rocsparse24const_host_device_scalarIT4_EES4_PKT0_PKT1_PKT2_S8_PT3_21rocsparse_index_base_b
		.amdhsa_group_segment_fixed_size 8192
		.amdhsa_private_segment_fixed_size 0
		.amdhsa_kernarg_size 88
		.amdhsa_user_sgpr_count 2
		.amdhsa_user_sgpr_dispatch_ptr 0
		.amdhsa_user_sgpr_queue_ptr 0
		.amdhsa_user_sgpr_kernarg_segment_ptr 1
		.amdhsa_user_sgpr_dispatch_id 0
		.amdhsa_user_sgpr_kernarg_preload_length 0
		.amdhsa_user_sgpr_kernarg_preload_offset 0
		.amdhsa_user_sgpr_private_segment_size 0
		.amdhsa_uses_dynamic_stack 0
		.amdhsa_enable_private_segment 0
		.amdhsa_system_sgpr_workgroup_id_x 1
		.amdhsa_system_sgpr_workgroup_id_y 0
		.amdhsa_system_sgpr_workgroup_id_z 0
		.amdhsa_system_sgpr_workgroup_info 0
		.amdhsa_system_vgpr_workitem_id 0
		.amdhsa_next_free_vgpr 22
		.amdhsa_next_free_sgpr 44
		.amdhsa_accum_offset 24
		.amdhsa_reserve_vcc 1
		.amdhsa_float_round_mode_32 0
		.amdhsa_float_round_mode_16_64 0
		.amdhsa_float_denorm_mode_32 3
		.amdhsa_float_denorm_mode_16_64 3
		.amdhsa_dx10_clamp 1
		.amdhsa_ieee_mode 1
		.amdhsa_fp16_overflow 0
		.amdhsa_tg_split 0
		.amdhsa_exception_fp_ieee_invalid_op 0
		.amdhsa_exception_fp_denorm_src 0
		.amdhsa_exception_fp_ieee_div_zero 0
		.amdhsa_exception_fp_ieee_overflow 0
		.amdhsa_exception_fp_ieee_underflow 0
		.amdhsa_exception_fp_ieee_inexact 0
		.amdhsa_exception_int_div_zero 0
	.end_amdhsa_kernel
	.section	.text._ZL33csrmvn_symm_large_adaptive_kernelIlif21rocsparse_complex_numIfES1_S1_EvbT_PKS2_N9rocsparse24const_host_device_scalarIT4_EES4_PKT0_PKT1_PKT2_S8_PT3_21rocsparse_index_base_b,"axG",@progbits,_ZL33csrmvn_symm_large_adaptive_kernelIlif21rocsparse_complex_numIfES1_S1_EvbT_PKS2_N9rocsparse24const_host_device_scalarIT4_EES4_PKT0_PKT1_PKT2_S8_PT3_21rocsparse_index_base_b,comdat
.Lfunc_end87:
	.size	_ZL33csrmvn_symm_large_adaptive_kernelIlif21rocsparse_complex_numIfES1_S1_EvbT_PKS2_N9rocsparse24const_host_device_scalarIT4_EES4_PKT0_PKT1_PKT2_S8_PT3_21rocsparse_index_base_b, .Lfunc_end87-_ZL33csrmvn_symm_large_adaptive_kernelIlif21rocsparse_complex_numIfES1_S1_EvbT_PKS2_N9rocsparse24const_host_device_scalarIT4_EES4_PKT0_PKT1_PKT2_S8_PT3_21rocsparse_index_base_b
                                        ; -- End function
	.set _ZL33csrmvn_symm_large_adaptive_kernelIlif21rocsparse_complex_numIfES1_S1_EvbT_PKS2_N9rocsparse24const_host_device_scalarIT4_EES4_PKT0_PKT1_PKT2_S8_PT3_21rocsparse_index_base_b.num_vgpr, 22
	.set _ZL33csrmvn_symm_large_adaptive_kernelIlif21rocsparse_complex_numIfES1_S1_EvbT_PKS2_N9rocsparse24const_host_device_scalarIT4_EES4_PKT0_PKT1_PKT2_S8_PT3_21rocsparse_index_base_b.num_agpr, 0
	.set _ZL33csrmvn_symm_large_adaptive_kernelIlif21rocsparse_complex_numIfES1_S1_EvbT_PKS2_N9rocsparse24const_host_device_scalarIT4_EES4_PKT0_PKT1_PKT2_S8_PT3_21rocsparse_index_base_b.numbered_sgpr, 44
	.set _ZL33csrmvn_symm_large_adaptive_kernelIlif21rocsparse_complex_numIfES1_S1_EvbT_PKS2_N9rocsparse24const_host_device_scalarIT4_EES4_PKT0_PKT1_PKT2_S8_PT3_21rocsparse_index_base_b.num_named_barrier, 0
	.set _ZL33csrmvn_symm_large_adaptive_kernelIlif21rocsparse_complex_numIfES1_S1_EvbT_PKS2_N9rocsparse24const_host_device_scalarIT4_EES4_PKT0_PKT1_PKT2_S8_PT3_21rocsparse_index_base_b.private_seg_size, 0
	.set _ZL33csrmvn_symm_large_adaptive_kernelIlif21rocsparse_complex_numIfES1_S1_EvbT_PKS2_N9rocsparse24const_host_device_scalarIT4_EES4_PKT0_PKT1_PKT2_S8_PT3_21rocsparse_index_base_b.uses_vcc, 1
	.set _ZL33csrmvn_symm_large_adaptive_kernelIlif21rocsparse_complex_numIfES1_S1_EvbT_PKS2_N9rocsparse24const_host_device_scalarIT4_EES4_PKT0_PKT1_PKT2_S8_PT3_21rocsparse_index_base_b.uses_flat_scratch, 0
	.set _ZL33csrmvn_symm_large_adaptive_kernelIlif21rocsparse_complex_numIfES1_S1_EvbT_PKS2_N9rocsparse24const_host_device_scalarIT4_EES4_PKT0_PKT1_PKT2_S8_PT3_21rocsparse_index_base_b.has_dyn_sized_stack, 0
	.set _ZL33csrmvn_symm_large_adaptive_kernelIlif21rocsparse_complex_numIfES1_S1_EvbT_PKS2_N9rocsparse24const_host_device_scalarIT4_EES4_PKT0_PKT1_PKT2_S8_PT3_21rocsparse_index_base_b.has_recursion, 0
	.set _ZL33csrmvn_symm_large_adaptive_kernelIlif21rocsparse_complex_numIfES1_S1_EvbT_PKS2_N9rocsparse24const_host_device_scalarIT4_EES4_PKT0_PKT1_PKT2_S8_PT3_21rocsparse_index_base_b.has_indirect_call, 0
	.section	.AMDGPU.csdata,"",@progbits
; Kernel info:
; codeLenInByte = 1776
; TotalNumSgprs: 50
; NumVgprs: 22
; NumAgprs: 0
; TotalNumVgprs: 22
; ScratchSize: 0
; MemoryBound: 0
; FloatMode: 240
; IeeeMode: 1
; LDSByteSize: 8192 bytes/workgroup (compile time only)
; SGPRBlocks: 6
; VGPRBlocks: 2
; NumSGPRsForWavesPerEU: 50
; NumVGPRsForWavesPerEU: 22
; AccumOffset: 24
; Occupancy: 8
; WaveLimiterHint : 1
; COMPUTE_PGM_RSRC2:SCRATCH_EN: 0
; COMPUTE_PGM_RSRC2:USER_SGPR: 2
; COMPUTE_PGM_RSRC2:TRAP_HANDLER: 0
; COMPUTE_PGM_RSRC2:TGID_X_EN: 1
; COMPUTE_PGM_RSRC2:TGID_Y_EN: 0
; COMPUTE_PGM_RSRC2:TGID_Z_EN: 0
; COMPUTE_PGM_RSRC2:TIDIG_COMP_CNT: 0
; COMPUTE_PGM_RSRC3_GFX90A:ACCUM_OFFSET: 5
; COMPUTE_PGM_RSRC3_GFX90A:TG_SPLIT: 0
	.section	.text._ZN9rocsparseL22csrmvn_adaptive_kernelIllf21rocsparse_complex_numIfES2_S2_EEvbT_PKS3_PjPKT0_NS_24const_host_device_scalarIT4_EES5_S9_PKT1_PKT2_SC_PT3_21rocsparse_index_base_b,"axG",@progbits,_ZN9rocsparseL22csrmvn_adaptive_kernelIllf21rocsparse_complex_numIfES2_S2_EEvbT_PKS3_PjPKT0_NS_24const_host_device_scalarIT4_EES5_S9_PKT1_PKT2_SC_PT3_21rocsparse_index_base_b,comdat
	.globl	_ZN9rocsparseL22csrmvn_adaptive_kernelIllf21rocsparse_complex_numIfES2_S2_EEvbT_PKS3_PjPKT0_NS_24const_host_device_scalarIT4_EES5_S9_PKT1_PKT2_SC_PT3_21rocsparse_index_base_b ; -- Begin function _ZN9rocsparseL22csrmvn_adaptive_kernelIllf21rocsparse_complex_numIfES2_S2_EEvbT_PKS3_PjPKT0_NS_24const_host_device_scalarIT4_EES5_S9_PKT1_PKT2_SC_PT3_21rocsparse_index_base_b
	.p2align	8
	.type	_ZN9rocsparseL22csrmvn_adaptive_kernelIllf21rocsparse_complex_numIfES2_S2_EEvbT_PKS3_PjPKT0_NS_24const_host_device_scalarIT4_EES5_S9_PKT1_PKT2_SC_PT3_21rocsparse_index_base_b,@function
_ZN9rocsparseL22csrmvn_adaptive_kernelIllf21rocsparse_complex_numIfES2_S2_EEvbT_PKS3_PjPKT0_NS_24const_host_device_scalarIT4_EES5_S9_PKT1_PKT2_SC_PT3_21rocsparse_index_base_b: ; @_ZN9rocsparseL22csrmvn_adaptive_kernelIllf21rocsparse_complex_numIfES2_S2_EEvbT_PKS3_PjPKT0_NS_24const_host_device_scalarIT4_EES5_S9_PKT1_PKT2_SC_PT3_21rocsparse_index_base_b
; %bb.0:
	s_load_dwordx2 s[4:5], s[0:1], 0x28
	s_load_dwordx2 s[44:45], s[0:1], 0x60
	s_add_u32 s3, s0, 40
	s_addc_u32 s8, s1, 0
	s_load_dwordx2 s[6:7], s[0:1], 0x50
	s_add_u32 s9, s0, 0x50
	s_addc_u32 s10, s1, 0
	s_waitcnt lgkmcnt(0)
	s_bitcmp1_b32 s45, 0
	s_cselect_b32 s3, s3, s4
	s_cselect_b32 s5, s8, s5
	v_mov_b32_e32 v2, s3
	s_cselect_b32 s3, s10, s7
	s_cselect_b32 s4, s9, s6
	v_mov_b32_e32 v3, s5
	v_mov_b32_e32 v4, s4
	;; [unrolled: 1-line block ×3, first 2 shown]
	flat_load_dwordx2 v[2:3], v[2:3]
	s_waitcnt vmcnt(0) lgkmcnt(0)
	v_cmp_neq_f32_e32 vcc, 0, v2
	flat_load_dwordx2 v[6:7], v[4:5]
	v_cmp_neq_f32_e64 s[6:7], 0, v3
	s_or_b64 s[6:7], vcc, s[6:7]
	s_waitcnt vmcnt(0) lgkmcnt(0)
	v_cmp_neq_f32_e64 s[8:9], 1.0, v6
	v_cmp_neq_f32_e64 s[4:5], 0, v7
	s_or_b64 s[8:9], s[8:9], s[4:5]
	s_or_b64 s[6:7], s[6:7], s[8:9]
	s_and_saveexec_b64 s[8:9], s[6:7]
	s_cbranch_execz .LBB88_112
; %bb.1:
	s_load_dwordx2 s[6:7], s[0:1], 0x10
	s_load_dwordx2 s[8:9], s[0:1], 0x20
	s_ashr_i32 s3, s2, 31
	s_lshl_b64 s[10:11], s[2:3], 3
	s_waitcnt lgkmcnt(0)
	s_add_u32 s6, s6, s10
	s_addc_u32 s7, s7, s11
	s_load_dwordx4 s[36:39], s[6:7], 0x0
	s_load_dwordx2 s[22:23], s[0:1], 0x58
	s_load_dwordx8 s[24:31], s[0:1], 0x30
	s_waitcnt lgkmcnt(0)
	s_sub_u32 s6, s38, s36
	s_subb_u32 s7, s39, s37
	s_add_u32 s8, s8, s10
	s_addc_u32 s9, s9, s11
	s_lshl_b64 s[46:47], s[36:37], 3
	s_add_u32 s42, s24, s46
	s_addc_u32 s43, s25, s47
	s_load_dwordx2 s[34:35], s[8:9], 0x0
	s_load_dwordx2 s[40:41], s[42:43], 0x0
	v_cmp_lt_i64_e64 s[10:11], s[6:7], 2
	s_mov_b64 s[8:9], -1
	s_and_b64 vcc, exec, s[10:11]
	s_cbranch_vccz .LBB88_68
; %bb.2:
	s_cmp_lg_u64 s[6:7], 1
	s_cselect_b64 s[6:7], -1, 0
	s_waitcnt lgkmcnt(0)
	s_cmp_lg_u64 s[34:35], 0
	s_cselect_b64 s[8:9], -1, 0
	s_or_b64 s[6:7], s[6:7], s[8:9]
	s_mov_b64 s[20:21], -1
	s_and_b64 vcc, exec, s[6:7]
	v_cmp_gt_u32_e64 s[6:7], 64, v0
	v_cmp_gt_u32_e64 s[8:9], 32, v0
	;; [unrolled: 1-line block ×6, first 2 shown]
	v_cmp_eq_u32_e64 s[18:19], 0, v0
	s_cbranch_vccnz .LBB88_30
; %bb.3:
	s_mov_b32 s20, 0
	s_brev_b32 s21, 1
	v_subrev_co_u32_e32 v4, vcc, s44, v0
	v_pk_mul_f32 v[8:9], v[2:3], s[20:21]
	s_nop 0
	v_subb_co_u32_e64 v5, s[48:49], 0, 0, vcc
	s_movk_i32 s20, 0x80
	v_cmp_neq_f32_e32 vcc, 0, v6
	v_mov_b32_e32 v1, 0
	v_pk_mov_b32 v[8:9], v[8:9], v[8:9] op_sel:[1,0]
	v_lshlrev_b32_e32 v22, 3, v0
	v_cmp_gt_u32_e64 s[20:21], s20, v0
	s_or_b64 s[48:49], vcc, s[4:5]
	v_xor_b32_e32 v10, 0x80000000, v7
	v_mov_b32_e32 v11, v6
	s_mov_b64 s[50:51], 0x100
	s_mov_b64 s[52:53], 0x400
	s_mov_b64 s[54:55], 0x800
	v_mov_b64_e32 v[12:13], s[38:39]
	s_mov_b64 s[56:57], s[36:37]
	s_branch .LBB88_6
.LBB88_4:                               ;   in Loop: Header=BB88_6 Depth=1
	s_or_b64 exec, exec, s[62:63]
	s_add_u32 s58, s22, s58
	s_addc_u32 s59, s23, s59
	s_waitcnt lgkmcnt(0)
	global_store_dwordx2 v1, v[14:15], s[58:59]
.LBB88_5:                               ;   in Loop: Header=BB88_6 Depth=1
	s_or_b64 exec, exec, s[60:61]
	s_add_u32 s56, s56, 1
	s_addc_u32 s57, s57, 0
	v_cmp_ge_i64_e32 vcc, s[56:57], v[12:13]
	s_cbranch_vccnz .LBB88_29
.LBB88_6:                               ; =>This Loop Header: Depth=1
                                        ;     Child Loop BB88_8 Depth 2
	s_lshl_b64 s[58:59], s[56:57], 3
	s_add_u32 s64, s24, s58
	s_addc_u32 s65, s25, s59
	s_load_dwordx4 s[60:63], s[64:65], 0x0
	v_mov_b32_e32 v15, 0
	v_mov_b32_e32 v14, 0
	s_waitcnt lgkmcnt(0)
	s_sub_u32 s62, s62, s44
	v_lshl_add_u64 v[16:17], s[60:61], 0, v[4:5]
	s_subb_u32 s63, s63, 0
	v_cmp_gt_i64_e32 vcc, s[62:63], v[16:17]
	s_and_saveexec_b64 s[60:61], vcc
	s_cbranch_execz .LBB88_10
; %bb.7:                                ;   in Loop: Header=BB88_6 Depth=1
	v_mov_b32_e32 v14, 0
	v_lshl_add_u64 v[18:19], v[16:17], 2, s[28:29]
	v_lshl_add_u64 v[20:21], v[16:17], 3, s[26:27]
	s_mov_b64 s[64:65], 0
	v_mov_b32_e32 v15, v14
.LBB88_8:                               ;   Parent Loop BB88_6 Depth=1
                                        ; =>  This Inner Loop Header: Depth=2
	global_load_dwordx2 v[24:25], v[20:21], off
	global_load_dword v26, v[18:19], off
	v_lshl_add_u64 v[16:17], v[16:17], 0, s[50:51]
	v_lshl_add_u64 v[18:19], v[18:19], 0, s[52:53]
	;; [unrolled: 1-line block ×3, first 2 shown]
	s_waitcnt vmcnt(1)
	v_subrev_co_u32_e32 v24, vcc, s44, v24
	s_nop 1
	v_subbrev_co_u32_e32 v25, vcc, 0, v25, vcc
	v_lshl_add_u64 v[24:25], v[24:25], 3, s[30:31]
	global_load_dwordx2 v[24:25], v[24:25], off
	s_waitcnt vmcnt(1)
	v_pk_fma_f32 v[26:27], v[2:3], v[26:27], v[8:9] op_sel_hi:[1,0,1]
	v_cmp_le_i64_e32 vcc, s[62:63], v[16:17]
	v_xor_b32_e32 v28, 0x80000000, v27
	v_mov_b32_e32 v29, v26
	s_or_b64 s[64:65], vcc, s[64:65]
	s_waitcnt vmcnt(0)
	v_pk_fma_f32 v[14:15], v[26:27], v[24:25], v[14:15] op_sel_hi:[1,0,1]
	s_nop 0
	v_pk_fma_f32 v[14:15], v[28:29], v[24:25], v[14:15] op_sel:[0,1,0]
	s_andn2_b64 exec, exec, s[64:65]
	s_cbranch_execnz .LBB88_8
; %bb.9:                                ;   in Loop: Header=BB88_6 Depth=1
	s_or_b64 exec, exec, s[64:65]
.LBB88_10:                              ;   in Loop: Header=BB88_6 Depth=1
	s_or_b64 exec, exec, s[60:61]
	ds_write_b64 v22, v[14:15]
	s_waitcnt lgkmcnt(0)
	s_barrier
	s_and_saveexec_b64 s[60:61], s[20:21]
	s_cbranch_execz .LBB88_12
; %bb.11:                               ;   in Loop: Header=BB88_6 Depth=1
	ds_read2st64_b64 v[14:17], v22 offset1:2
	s_waitcnt lgkmcnt(0)
	v_pk_add_f32 v[14:15], v[16:17], v[14:15]
	ds_write_b64 v22, v[14:15]
.LBB88_12:                              ;   in Loop: Header=BB88_6 Depth=1
	s_or_b64 exec, exec, s[60:61]
	s_waitcnt lgkmcnt(0)
	s_barrier
	s_and_saveexec_b64 s[60:61], s[6:7]
	s_cbranch_execz .LBB88_14
; %bb.13:                               ;   in Loop: Header=BB88_6 Depth=1
	ds_read2st64_b64 v[14:17], v22 offset1:1
	s_waitcnt lgkmcnt(0)
	v_pk_add_f32 v[14:15], v[16:17], v[14:15]
	ds_write_b64 v22, v[14:15]
.LBB88_14:                              ;   in Loop: Header=BB88_6 Depth=1
	s_or_b64 exec, exec, s[60:61]
	s_waitcnt lgkmcnt(0)
	s_barrier
	s_and_saveexec_b64 s[60:61], s[8:9]
	s_cbranch_execz .LBB88_16
; %bb.15:                               ;   in Loop: Header=BB88_6 Depth=1
	ds_read2_b64 v[14:17], v22 offset1:32
	s_waitcnt lgkmcnt(0)
	v_pk_add_f32 v[14:15], v[16:17], v[14:15]
	ds_write_b64 v22, v[14:15]
.LBB88_16:                              ;   in Loop: Header=BB88_6 Depth=1
	s_or_b64 exec, exec, s[60:61]
	s_waitcnt lgkmcnt(0)
	s_barrier
	s_and_saveexec_b64 s[60:61], s[10:11]
	s_cbranch_execz .LBB88_18
; %bb.17:                               ;   in Loop: Header=BB88_6 Depth=1
	ds_read2_b64 v[14:17], v22 offset1:16
	s_waitcnt lgkmcnt(0)
	v_pk_add_f32 v[14:15], v[16:17], v[14:15]
	ds_write_b64 v22, v[14:15]
.LBB88_18:                              ;   in Loop: Header=BB88_6 Depth=1
	;; [unrolled: 11-line block ×6, first 2 shown]
	s_or_b64 exec, exec, s[60:61]
	s_waitcnt lgkmcnt(0)
	s_barrier
	s_and_saveexec_b64 s[60:61], s[18:19]
	s_cbranch_execz .LBB88_5
; %bb.27:                               ;   in Loop: Header=BB88_6 Depth=1
	ds_read_b64 v[14:15], v1
	s_and_saveexec_b64 s[62:63], s[48:49]
	s_cbranch_execz .LBB88_4
; %bb.28:                               ;   in Loop: Header=BB88_6 Depth=1
	s_add_u32 s64, s22, s58
	s_addc_u32 s65, s23, s59
	global_load_dwordx2 v[16:17], v1, s[64:65]
	s_waitcnt vmcnt(0) lgkmcnt(0)
	v_pk_fma_f32 v[14:15], v[6:7], v[16:17], v[14:15] op_sel_hi:[1,0,1]
	s_nop 0
	v_pk_fma_f32 v[14:15], v[10:11], v[16:17], v[14:15] op_sel:[0,1,0]
	s_branch .LBB88_4
.LBB88_29:
	s_mov_b64 s[20:21], 0
.LBB88_30:
	s_and_b64 vcc, exec, s[20:21]
	s_cbranch_vccz .LBB88_67
; %bb.31:
	s_load_dwordx2 s[8:9], s[0:1], 0x18
	s_sub_u32 s10, s2, s34
	s_subb_u32 s11, s3, s35
	s_lshl_b64 s[2:3], s[2:3], 2
	v_mov_b32_e32 v1, 0
	s_waitcnt lgkmcnt(0)
	s_add_u32 s6, s8, s2
	s_addc_u32 s7, s9, s3
	global_load_dword v16, v1, s[6:7]
	s_cmp_lg_u64 s[34:35], 0
	s_cselect_b64 s[12:13], -1, 0
	s_cmp_eq_u64 s[34:35], 0
	s_cselect_b64 s[2:3], -1, 0
	v_cmp_eq_u32_e32 vcc, 0, v0
	s_and_b64 s[2:3], vcc, s[2:3]
	v_mov_b32_e32 v4, v1
	v_mov_b32_e32 v5, v1
	s_and_saveexec_b64 s[14:15], s[2:3]
	s_cbranch_execz .LBB88_35
; %bb.32:
	s_add_u32 s2, s22, s46
	s_addc_u32 s3, s23, s47
	global_load_dwordx2 v[4:5], v1, s[2:3]
	s_mov_b64 s[16:17], exec
	v_mbcnt_lo_u32_b32 v12, s16, 0
	v_add_f32_e32 v11, -1.0, v6
	v_xor_b32_e32 v10, 0x80000000, v7
	v_mbcnt_hi_u32_b32 v12, s17, v12
	v_mov_b32_e32 v9, v7
	v_mov_b32_e32 v8, v11
	v_cmp_eq_u32_e64 s[2:3], 0, v12
	s_waitcnt vmcnt(0) expcnt(0) lgkmcnt(0)
	v_pk_mul_f32 v[10:11], v[4:5], v[10:11] op_sel:[1,0]
	s_and_saveexec_b64 s[18:19], s[2:3]
	s_cbranch_execz .LBB88_34
; %bb.33:
	s_lshl_b64 s[2:3], s[10:11], 2
	s_add_u32 s2, s8, s2
	s_addc_u32 s3, s9, s3
	s_bcnt1_i32_b64 s16, s[16:17]
	s_and_b32 s16, s16, 1
	v_mov_b32_e32 v12, 0
	v_mov_b32_e32 v13, s16
	global_atomic_xor v12, v13, s[2:3]
.LBB88_34:
	s_or_b64 exec, exec, s[18:19]
	v_pk_fma_f32 v[4:5], v[8:9], v[4:5], v[10:11] op_sel_hi:[1,0,1]
.LBB88_35:
	s_or_b64 exec, exec, s[14:15]
	s_mul_i32 s2, s35, 0xc00
	s_mul_hi_u32 s3, s34, 0xc00
	s_add_i32 s14, s3, s2
	s_load_dwordx2 s[2:3], s[42:43], 0x8
	s_sub_u32 s16, s40, s44
	s_mul_i32 s15, s34, 0xc00
	s_subb_u32 s17, s41, 0
	s_add_u32 s18, s16, s15
	s_addc_u32 s19, s17, s14
	s_waitcnt lgkmcnt(0)
	s_sub_u32 s16, s2, s44
	s_subb_u32 s17, s3, 0
	v_lshl_add_u64 v[8:9], s[18:19], 0, v[0:1]
	v_cmp_gt_i64_e64 s[2:3], s[16:17], v[8:9]
	s_and_saveexec_b64 s[14:15], s[2:3]
	s_cbranch_execz .LBB88_39
; %bb.36:
	s_add_u32 s18, s18, 0xc00
	s_addc_u32 s19, s19, 0
	v_mov_b64_e32 v[10:11], s[16:17]
	v_cmp_lt_i64_e64 s[2:3], s[18:19], v[10:11]
	s_and_b64 s[2:3], s[2:3], exec
	s_mov_b32 s2, 0
	s_brev_b32 s3, 1
	v_pk_mul_f32 v[10:11], v[2:3], s[2:3]
	s_cselect_b32 s17, s19, s17
	s_cselect_b32 s16, s18, s16
	v_pk_mov_b32 v[10:11], v[10:11], v[10:11] op_sel:[1,0]
	v_lshl_add_u64 v[12:13], v[8:9], 2, s[28:29]
	v_lshl_add_u64 v[14:15], v[8:9], 3, s[26:27]
	s_mov_b64 s[18:19], 0
	s_mov_b64 s[20:21], 0x100
	;; [unrolled: 1-line block ×4, first 2 shown]
.LBB88_37:                              ; =>This Inner Loop Header: Depth=1
	global_load_dwordx2 v[18:19], v[14:15], off
	global_load_dword v20, v[12:13], off
	v_lshl_add_u64 v[8:9], v[8:9], 0, s[20:21]
	v_lshl_add_u64 v[12:13], v[12:13], 0, s[48:49]
	;; [unrolled: 1-line block ×3, first 2 shown]
	s_waitcnt vmcnt(1)
	v_subrev_co_u32_e64 v18, s[2:3], s44, v18
	s_nop 1
	v_subbrev_co_u32_e64 v19, s[2:3], 0, v19, s[2:3]
	v_lshl_add_u64 v[18:19], v[18:19], 3, s[30:31]
	global_load_dwordx2 v[18:19], v[18:19], off
	s_waitcnt vmcnt(1)
	v_pk_fma_f32 v[20:21], v[2:3], v[20:21], v[10:11] op_sel_hi:[1,0,1]
	v_cmp_le_i64_e64 s[2:3], s[16:17], v[8:9]
	v_xor_b32_e32 v22, 0x80000000, v21
	v_mov_b32_e32 v23, v20
	s_or_b64 s[18:19], s[2:3], s[18:19]
	s_waitcnt vmcnt(0)
	v_pk_fma_f32 v[4:5], v[20:21], v[18:19], v[4:5] op_sel_hi:[1,0,1]
	s_nop 0
	v_pk_fma_f32 v[4:5], v[22:23], v[18:19], v[4:5] op_sel:[0,1,0]
	s_andn2_b64 exec, exec, s[18:19]
	s_cbranch_execnz .LBB88_37
; %bb.38:
	s_or_b64 exec, exec, s[18:19]
.LBB88_39:
	s_or_b64 exec, exec, s[14:15]
	s_movk_i32 s2, 0x80
	v_lshlrev_b32_e32 v1, 3, v0
	v_cmp_gt_u32_e64 s[2:3], s2, v0
	ds_write_b64 v1, v[4:5]
	s_waitcnt lgkmcnt(0)
	s_barrier
	s_and_saveexec_b64 s[14:15], s[2:3]
	s_cbranch_execz .LBB88_41
; %bb.40:
	ds_read2st64_b64 v[8:11], v1 offset1:2
	s_waitcnt lgkmcnt(0)
	v_pk_add_f32 v[4:5], v[10:11], v[8:9]
	ds_write_b64 v1, v[4:5]
.LBB88_41:
	s_or_b64 exec, exec, s[14:15]
	v_cmp_gt_u32_e64 s[2:3], 64, v0
	s_waitcnt lgkmcnt(0)
	s_barrier
	s_and_saveexec_b64 s[14:15], s[2:3]
	s_cbranch_execz .LBB88_43
; %bb.42:
	ds_read2st64_b64 v[8:11], v1 offset1:1
	s_waitcnt lgkmcnt(0)
	v_pk_add_f32 v[4:5], v[10:11], v[8:9]
	ds_write_b64 v1, v[4:5]
.LBB88_43:
	s_or_b64 exec, exec, s[14:15]
	v_cmp_gt_u32_e64 s[2:3], 32, v0
	s_waitcnt lgkmcnt(0)
	s_barrier
	s_and_saveexec_b64 s[14:15], s[2:3]
	s_cbranch_execz .LBB88_45
; %bb.44:
	ds_read2_b64 v[8:11], v1 offset1:32
	s_waitcnt lgkmcnt(0)
	v_pk_add_f32 v[4:5], v[10:11], v[8:9]
	ds_write_b64 v1, v[4:5]
.LBB88_45:
	s_or_b64 exec, exec, s[14:15]
	v_cmp_gt_u32_e64 s[2:3], 16, v0
	s_waitcnt lgkmcnt(0)
	s_barrier
	s_and_saveexec_b64 s[14:15], s[2:3]
	s_cbranch_execz .LBB88_47
; %bb.46:
	ds_read2_b64 v[8:11], v1 offset1:16
	s_waitcnt lgkmcnt(0)
	v_pk_add_f32 v[4:5], v[10:11], v[8:9]
	ds_write_b64 v1, v[4:5]
.LBB88_47:
	;; [unrolled: 12-line block ×5, first 2 shown]
	s_or_b64 exec, exec, s[14:15]
	s_waitcnt lgkmcnt(0)
	s_barrier
	s_and_saveexec_b64 s[2:3], vcc
	s_cbranch_execz .LBB88_55
; %bb.54:
	v_mov_b32_e32 v1, 0
	ds_read2_b64 v[8:11], v1 offset1:1
	s_waitcnt lgkmcnt(0)
	v_pk_add_f32 v[4:5], v[10:11], v[8:9]
	ds_write_b64 v1, v[4:5]
.LBB88_55:
	s_or_b64 exec, exec, s[2:3]
	s_waitcnt lgkmcnt(0)
	s_barrier
	s_and_saveexec_b64 s[2:3], vcc
	s_cbranch_execz .LBB88_66
; %bb.56:
	s_andn2_b64 vcc, exec, s[12:13]
	s_cbranch_vccnz .LBB88_62
; %bb.57:
	s_lshl_b64 s[10:11], s[10:11], 2
	s_add_u32 s8, s8, s10
	s_addc_u32 s9, s9, s11
	v_mov_b32_e32 v1, 0
	s_branch .LBB88_59
.LBB88_58:                              ;   in Loop: Header=BB88_59 Depth=1
	s_or_b64 exec, exec, s[10:11]
	s_waitcnt vmcnt(0)
	v_readfirstlane_b32 s10, v4
	s_nop 1
	v_cmp_eq_u32_e32 vcc, s10, v16
	s_cbranch_vccz .LBB88_61
.LBB88_59:                              ; =>This Inner Loop Header: Depth=1
	v_mbcnt_lo_u32_b32 v4, exec_lo, 0
	v_mbcnt_hi_u32_b32 v4, exec_hi, v4
	v_cmp_eq_u32_e32 vcc, 0, v4
                                        ; implicit-def: $vgpr4
	s_and_saveexec_b64 s[10:11], vcc
	s_cbranch_execz .LBB88_58
; %bb.60:                               ;   in Loop: Header=BB88_59 Depth=1
	global_load_dword v4, v1, s[8:9] sc1
	s_branch .LBB88_58
.LBB88_61:
	v_mov_b32_e32 v1, 0
	global_load_ushort v4, v1, s[6:7]
	s_waitcnt vmcnt(0)
	v_xor_b32_e32 v4, 1, v4
	global_store_short v1, v4, s[6:7]
.LBB88_62:
	v_mov_b32_e32 v1, 0
	ds_read_b64 v[4:5], v1
	s_mov_b64 s[8:9], exec
	v_mbcnt_lo_u32_b32 v8, s8, 0
	s_add_u32 s6, s22, s46
	v_mbcnt_hi_u32_b32 v8, s9, v8
	s_addc_u32 s7, s23, s47
	v_cmp_eq_u32_e32 vcc, 0, v8
	s_and_saveexec_b64 s[10:11], vcc
	s_cbranch_execz .LBB88_64
; %bb.63:
	s_bcnt1_i32_b64 s8, s[8:9]
	v_cvt_f32_ubyte0_e32 v8, s8
	s_waitcnt lgkmcnt(0)
	v_mul_f32_e32 v4, v4, v8
	global_atomic_add_f32 v1, v4, s[6:7]
.LBB88_64:
	s_or_b64 exec, exec, s[10:11]
	s_mov_b64 s[8:9], exec
	v_mbcnt_lo_u32_b32 v1, s8, 0
	v_mbcnt_hi_u32_b32 v1, s9, v1
	v_cmp_eq_u32_e32 vcc, 0, v1
	s_and_b64 s[10:11], exec, vcc
	s_mov_b64 exec, s[10:11]
	s_cbranch_execz .LBB88_66
; %bb.65:
	s_bcnt1_i32_b64 s8, s[8:9]
	v_cvt_f32_ubyte0_e32 v1, s8
	s_waitcnt lgkmcnt(0)
	v_mul_f32_e32 v1, v5, v1
	v_mov_b32_e32 v4, 0
	global_atomic_add_f32 v4, v1, s[6:7] offset:4
.LBB88_66:
	s_or_b64 exec, exec, s[2:3]
.LBB88_67:
	s_mov_b64 s[8:9], 0
.LBB88_68:
	s_andn2_b64 vcc, exec, s[8:9]
	s_cbranch_vccnz .LBB88_112
; %bb.69:
	s_load_dwordx2 s[0:1], s[0:1], 0x8
	s_waitcnt lgkmcnt(0)
	v_subrev_co_u32_e32 v4, vcc, s44, v0
	v_mov_b32_e32 v1, 0
	s_nop 0
	v_subb_co_u32_e64 v5, s[2:3], 0, 0, vcc
	v_lshl_add_u64 v[4:5], s[40:41], 0, v[4:5]
	s_mov_b64 s[2:3], 0x300
	v_lshl_add_u64 v[8:9], v[4:5], 0, s[2:3]
	v_cmp_le_i64_e32 vcc, s[0:1], v[8:9]
	s_and_saveexec_b64 s[0:1], vcc
	s_xor_b64 s[0:1], exec, s[0:1]
	s_cbranch_execz .LBB88_74
; %bb.70:
	s_lshl_b64 s[2:3], s[38:39], 3
	s_add_u32 s2, s24, s2
	s_addc_u32 s3, s25, s3
	s_load_dwordx2 s[2:3], s[2:3], 0x0
	s_waitcnt lgkmcnt(0)
	s_sub_u32 s2, s2, s44
	s_subb_u32 s3, s3, 0
	v_cmp_gt_i64_e32 vcc, s[2:3], v[4:5]
	s_and_saveexec_b64 s[6:7], vcc
	s_cbranch_execz .LBB88_73
; %bb.71:
	s_mov_b32 s8, 0
	s_brev_b32 s9, 1
	v_pk_mul_f32 v[8:9], v[2:3], s[8:9]
	v_lshlrev_b32_e32 v14, 3, v0
	v_pk_mov_b32 v[8:9], v[8:9], v[8:9] op_sel:[1,0]
	v_lshl_add_u64 v[10:11], v[4:5], 2, s[28:29]
	v_lshl_add_u64 v[12:13], v[4:5], 3, s[26:27]
	s_mov_b64 s[8:9], 0
	s_mov_b64 s[10:11], 0x100
	;; [unrolled: 1-line block ×4, first 2 shown]
.LBB88_72:                              ; =>This Inner Loop Header: Depth=1
	global_load_dwordx2 v[16:17], v[12:13], off
	global_load_dword v18, v[10:11], off
	v_lshl_add_u64 v[4:5], v[4:5], 0, s[10:11]
	v_lshl_add_u64 v[10:11], v[10:11], 0, s[12:13]
	;; [unrolled: 1-line block ×3, first 2 shown]
	s_waitcnt vmcnt(1)
	v_subrev_co_u32_e32 v16, vcc, s44, v16
	s_nop 1
	v_subbrev_co_u32_e32 v17, vcc, 0, v17, vcc
	v_lshl_add_u64 v[16:17], v[16:17], 3, s[30:31]
	global_load_dwordx2 v[16:17], v[16:17], off
	s_waitcnt vmcnt(1)
	v_pk_fma_f32 v[18:19], v[2:3], v[18:19], v[8:9] op_sel_hi:[1,0,1]
	v_cmp_le_i64_e32 vcc, s[2:3], v[4:5]
	v_xor_b32_e32 v20, 0x80000000, v19
	v_mov_b32_e32 v21, v18
	s_or_b64 s[8:9], vcc, s[8:9]
	s_waitcnt vmcnt(0)
	v_pk_mul_f32 v[20:21], v[16:17], v[20:21] op_sel:[1,0]
	s_nop 0
	v_pk_fma_f32 v[16:17], v[18:19], v[16:17], v[20:21] op_sel_hi:[1,0,1]
	ds_write_b64 v14, v[16:17]
	v_add_u32_e32 v14, 0x800, v14
	s_andn2_b64 exec, exec, s[8:9]
	s_cbranch_execnz .LBB88_72
.LBB88_73:
	s_or_b64 exec, exec, s[6:7]
                                        ; implicit-def: $vgpr2_vgpr3
                                        ; implicit-def: $vgpr4_vgpr5
.LBB88_74:
	s_or_saveexec_b64 s[0:1], s[0:1]
	s_waitcnt vmcnt(0)
	v_lshlrev_b32_e32 v16, 3, v0
	s_xor_b64 exec, exec, s[0:1]
	s_cbranch_execz .LBB88_76
; %bb.75:
	v_lshl_add_u64 v[8:9], v[4:5], 3, s[26:27]
	global_load_dwordx2 v[10:11], v[8:9], off
	global_load_dwordx2 v[12:13], v[8:9], off offset:2048
	s_movk_i32 s2, 0x1000
	v_add_co_u32_e32 v8, vcc, s2, v8
	v_lshl_add_u64 v[4:5], v[4:5], 2, s[28:29]
	s_nop 0
	v_addc_co_u32_e32 v9, vcc, 0, v9, vcc
	global_load_dwordx2 v[14:15], v[8:9], off
	global_load_dwordx2 v[18:19], v[8:9], off offset:2048
	s_nop 0
	global_load_dword v8, v[4:5], off
	global_load_dword v20, v[4:5], off offset:1024
	global_load_dword v22, v[4:5], off offset:2048
	;; [unrolled: 1-line block ×3, first 2 shown]
	s_mov_b32 s2, 0
	s_brev_b32 s3, 1
	s_waitcnt vmcnt(7)
	v_subrev_co_u32_e32 v4, vcc, s44, v10
	s_nop 1
	v_subbrev_co_u32_e32 v5, vcc, 0, v11, vcc
	s_waitcnt vmcnt(6)
	v_subrev_co_u32_e32 v10, vcc, s44, v12
	v_lshl_add_u64 v[4:5], v[4:5], 3, s[30:31]
	s_nop 0
	v_subbrev_co_u32_e32 v11, vcc, 0, v13, vcc
	s_waitcnt vmcnt(5)
	v_subrev_co_u32_e32 v12, vcc, s44, v14
	v_lshl_add_u64 v[10:11], v[10:11], 3, s[30:31]
	s_nop 0
	v_subbrev_co_u32_e32 v13, vcc, 0, v15, vcc
	s_waitcnt vmcnt(4)
	v_subrev_co_u32_e32 v14, vcc, s44, v18
	s_nop 1
	v_subbrev_co_u32_e32 v15, vcc, 0, v19, vcc
	global_load_dwordx2 v[18:19], v[4:5], off
	global_load_dwordx2 v[26:27], v[10:11], off
	v_lshl_add_u64 v[4:5], v[12:13], 3, s[30:31]
	v_lshl_add_u64 v[10:11], v[14:15], 3, s[30:31]
	global_load_dwordx2 v[12:13], v[4:5], off
	global_load_dwordx2 v[14:15], v[10:11], off
	v_pk_mul_f32 v[4:5], v[2:3], s[2:3]
	s_waitcnt vmcnt(7)
	v_pk_fma_f32 v[8:9], v[2:3], v[8:9], v[4:5] op_sel:[0,0,1] op_sel_hi:[1,0,0]
	s_waitcnt vmcnt(6)
	v_pk_fma_f32 v[10:11], v[2:3], v[20:21], v[4:5] op_sel:[0,0,1] op_sel_hi:[1,0,0]
	;; [unrolled: 2-line block ×4, first 2 shown]
	v_xor_b32_e32 v4, 0x80000000, v9
	v_mov_b32_e32 v5, v8
	v_xor_b32_e32 v22, 0x80000000, v11
	v_mov_b32_e32 v23, v10
	;; [unrolled: 2-line block ×4, first 2 shown]
	s_waitcnt vmcnt(3)
	v_pk_mul_f32 v[4:5], v[18:19], v[4:5] op_sel:[1,0]
	s_waitcnt vmcnt(2)
	v_pk_mul_f32 v[22:23], v[26:27], v[22:23] op_sel:[1,0]
	v_pk_fma_f32 v[4:5], v[8:9], v[18:19], v[4:5] op_sel_hi:[1,0,1]
	v_pk_fma_f32 v[8:9], v[10:11], v[26:27], v[22:23] op_sel_hi:[1,0,1]
	s_waitcnt vmcnt(1)
	v_pk_mul_f32 v[10:11], v[12:13], v[24:25] op_sel:[1,0]
	s_waitcnt vmcnt(0)
	v_pk_mul_f32 v[18:19], v[14:15], v[28:29] op_sel:[1,0]
	ds_write2st64_b64 v16, v[4:5], v[8:9] offset1:4
	v_pk_fma_f32 v[4:5], v[20:21], v[12:13], v[10:11] op_sel_hi:[1,0,1]
	v_pk_fma_f32 v[2:3], v[2:3], v[14:15], v[18:19] op_sel_hi:[1,0,1]
	ds_write2st64_b64 v16, v[4:5], v[2:3] offset0:8 offset1:12
.LBB88_76:
	s_or_b64 exec, exec, s[0:1]
	v_cmp_lt_i64_e64 s[2:3], s[34:35], 2
	s_mov_b64 s[0:1], -1
	s_and_b64 vcc, exec, s[2:3]
	s_waitcnt lgkmcnt(0)
	s_barrier
	s_cbranch_vccz .LBB88_87
; %bb.77:
	v_lshl_add_u64 v[8:9], s[36:37], 0, v[0:1]
	v_cmp_gt_i64_e32 vcc, s[38:39], v[8:9]
	s_and_saveexec_b64 s[0:1], vcc
	s_cbranch_execz .LBB88_86
; %bb.78:
	v_cmp_neq_f32_e32 vcc, 0, v6
	s_lshl_b32 s6, s40, 3
	s_or_b64 s[2:3], vcc, s[4:5]
	v_xor_b32_e32 v10, 0x80000000, v7
	v_mov_b32_e32 v11, v6
	s_sub_i32 s14, 0, s6
	s_mov_b64 s[6:7], 0
	v_mov_b32_e32 v18, 0
	s_mov_b64 s[8:9], 0x100
	s_branch .LBB88_80
.LBB88_79:                              ;   in Loop: Header=BB88_80 Depth=1
	s_or_b64 exec, exec, s[10:11]
	v_lshl_add_u64 v[8:9], v[8:9], 0, s[8:9]
	v_cmp_le_i64_e32 vcc, s[38:39], v[8:9]
	s_or_b64 s[6:7], vcc, s[6:7]
	global_store_dwordx2 v[2:3], v[12:13], off
	s_andn2_b64 exec, exec, s[6:7]
	s_cbranch_execz .LBB88_86
.LBB88_80:                              ; =>This Loop Header: Depth=1
                                        ;     Child Loop BB88_82 Depth 2
	v_lshl_add_u64 v[2:3], v[8:9], 3, s[24:25]
	global_load_dwordx4 v[2:5], v[2:3], off
	v_mov_b32_e32 v19, v18
	v_mov_b64_e32 v[12:13], v[18:19]
	s_waitcnt vmcnt(0)
	v_cmp_lt_i64_e32 vcc, v[2:3], v[4:5]
	s_and_saveexec_b64 s[10:11], vcc
	s_cbranch_execz .LBB88_84
; %bb.81:                               ;   in Loop: Header=BB88_80 Depth=1
	v_mov_b32_e32 v1, s41
	v_subrev_co_u32_e32 v4, vcc, s40, v4
	v_mov_b32_e32 v12, 0
	s_nop 0
	v_subb_co_u32_e32 v5, vcc, v5, v1, vcc
	v_subrev_co_u32_e32 v14, vcc, s40, v2
	s_mov_b64 s[12:13], 0
	s_nop 0
	v_subb_co_u32_e32 v15, vcc, v3, v1, vcc
	v_lshl_add_u32 v1, v2, 3, s14
	v_mov_b32_e32 v13, v12
.LBB88_82:                              ;   Parent Loop BB88_80 Depth=1
                                        ; =>  This Inner Loop Header: Depth=2
	ds_read_b64 v[2:3], v1
	v_lshl_add_u64 v[14:15], v[14:15], 0, 1
	v_cmp_ge_i64_e32 vcc, v[14:15], v[4:5]
	v_add_u32_e32 v1, 8, v1
	s_or_b64 s[12:13], vcc, s[12:13]
	s_waitcnt lgkmcnt(0)
	v_pk_add_f32 v[12:13], v[12:13], v[2:3]
	s_andn2_b64 exec, exec, s[12:13]
	s_cbranch_execnz .LBB88_82
; %bb.83:                               ;   in Loop: Header=BB88_80 Depth=1
	s_or_b64 exec, exec, s[12:13]
.LBB88_84:                              ;   in Loop: Header=BB88_80 Depth=1
	s_or_b64 exec, exec, s[10:11]
	v_lshl_add_u64 v[2:3], v[8:9], 3, s[22:23]
	s_and_saveexec_b64 s[10:11], s[2:3]
	s_cbranch_execz .LBB88_79
; %bb.85:                               ;   in Loop: Header=BB88_80 Depth=1
	global_load_dwordx2 v[4:5], v[2:3], off
	s_waitcnt vmcnt(0)
	v_pk_fma_f32 v[12:13], v[6:7], v[4:5], v[12:13] op_sel_hi:[1,0,1]
	s_nop 0
	v_pk_fma_f32 v[12:13], v[10:11], v[4:5], v[12:13] op_sel:[0,1,0]
	s_branch .LBB88_79
.LBB88_86:
	s_or_b64 exec, exec, s[0:1]
	s_mov_b64 s[0:1], 0
.LBB88_87:
	s_andn2_b64 vcc, exec, s[0:1]
	s_cbranch_vccnz .LBB88_112
; %bb.88:
	s_flbit_i32_b32 s0, s34
	s_min_u32 s0, s0, 32
	s_sub_i32 s0, 31, s0
	v_lshrrev_b32_e32 v8, s0, v0
	v_mov_b32_e32 v9, 0
	v_lshl_add_u64 v[2:3], s[36:37], 0, v[8:9]
	s_add_i32 s0, s34, -1
	v_and_b32_e32 v0, s0, v0
	v_mov_b32_e32 v1, v9
	v_cmp_le_i64_e64 s[0:1], s[38:39], v[2:3]
	v_cmp_gt_i64_e32 vcc, s[38:39], v[2:3]
	v_mov_b32_e32 v4, v9
	v_mov_b32_e32 v5, v9
	s_and_saveexec_b64 s[2:3], vcc
	s_cbranch_execz .LBB88_94
; %bb.89:
	v_lshlrev_b32_e32 v4, 3, v8
	global_load_dwordx4 v[10:13], v4, s[42:43]
	v_mov_b32_e32 v4, s41
	v_subrev_co_u32_e32 v14, vcc, s40, v0
	v_mov_b32_e32 v5, s41
	s_nop 0
	v_subb_co_u32_e32 v15, vcc, 0, v4, vcc
	v_mov_b32_e32 v8, v9
	s_waitcnt vmcnt(0)
	v_subrev_co_u32_e32 v4, vcc, s40, v12
	s_nop 1
	v_subb_co_u32_e32 v5, vcc, v13, v5, vcc
	v_lshl_add_u64 v[10:11], v[10:11], 0, v[14:15]
	v_cmp_lt_i64_e32 vcc, v[10:11], v[4:5]
	s_and_saveexec_b64 s[6:7], vcc
	s_cbranch_execz .LBB88_93
; %bb.90:
	v_mov_b32_e32 v8, 0
	v_lshlrev_b32_e32 v12, 3, v10
	s_lshl_b32 s10, s34, 3
	s_mov_b64 s[8:9], 0
	v_mov_b32_e32 v9, v8
.LBB88_91:                              ; =>This Inner Loop Header: Depth=1
	ds_read_b64 v[14:15], v12
	v_lshl_add_u64 v[10:11], v[10:11], 0, s[34:35]
	v_cmp_ge_i64_e32 vcc, v[10:11], v[4:5]
	v_add_u32_e32 v12, s10, v12
	s_or_b64 s[8:9], vcc, s[8:9]
	s_waitcnt lgkmcnt(0)
	v_pk_add_f32 v[8:9], v[8:9], v[14:15]
	s_andn2_b64 exec, exec, s[8:9]
	s_cbranch_execnz .LBB88_91
; %bb.92:
	s_or_b64 exec, exec, s[8:9]
.LBB88_93:
	s_or_b64 exec, exec, s[6:7]
	v_mov_b64_e32 v[4:5], v[8:9]
.LBB88_94:
	s_or_b64 exec, exec, s[2:3]
	v_mov_b64_e32 v[8:9], 0x81
	v_cmp_lt_u64_e32 vcc, s[34:35], v[8:9]
	s_and_b64 vcc, exec, vcc
	s_barrier
	ds_write_b64 v16, v[4:5]
	s_waitcnt lgkmcnt(0)
	s_barrier
	s_cbranch_vccnz .LBB88_96
; %bb.95:
	ds_read_b64 v[8:9], v16 offset:1024
	s_waitcnt lgkmcnt(0)
	s_barrier
	v_pk_add_f32 v[4:5], v[4:5], v[8:9]
	ds_write_b64 v16, v[4:5]
.LBB88_96:
	v_mov_b64_e32 v[8:9], 0x41
	v_cmp_lt_u64_e32 vcc, s[34:35], v[8:9]
	s_waitcnt lgkmcnt(0)
	s_barrier
	s_cbranch_vccnz .LBB88_98
; %bb.97:
	ds_read_b64 v[8:9], v16 offset:512
	s_waitcnt lgkmcnt(0)
	s_barrier
	v_pk_add_f32 v[4:5], v[4:5], v[8:9]
	ds_write_b64 v16, v[4:5]
.LBB88_98:
	v_cmp_lt_u64_e64 s[2:3], s[34:35], 33
	s_and_b64 vcc, exec, s[2:3]
	s_waitcnt lgkmcnt(0)
	s_barrier
	s_cbranch_vccnz .LBB88_100
; %bb.99:
	ds_read_b64 v[8:9], v16 offset:256
	s_waitcnt lgkmcnt(0)
	s_barrier
	v_pk_add_f32 v[4:5], v[4:5], v[8:9]
	ds_write_b64 v16, v[4:5]
.LBB88_100:
	v_cmp_lt_u64_e64 s[2:3], s[34:35], 17
	s_and_b64 vcc, exec, s[2:3]
	;; [unrolled: 12-line block ×4, first 2 shown]
	s_waitcnt lgkmcnt(0)
	s_barrier
	s_cbranch_vccnz .LBB88_106
; %bb.105:
	ds_read_b64 v[8:9], v16 offset:32
	s_waitcnt lgkmcnt(0)
	s_barrier
	v_pk_add_f32 v[4:5], v[4:5], v[8:9]
	ds_write_b64 v16, v[4:5]
.LBB88_106:
	s_cmp_eq_u64 s[34:35], 2
	s_waitcnt lgkmcnt(0)
	s_barrier
	s_cbranch_scc1 .LBB88_108
; %bb.107:
	ds_read_b64 v[8:9], v16 offset:16
	s_waitcnt lgkmcnt(0)
	s_barrier
	v_pk_add_f32 v[4:5], v[4:5], v[8:9]
	ds_write_b64 v16, v[4:5]
.LBB88_108:
	s_waitcnt lgkmcnt(0)
	s_barrier
	ds_read_b64 v[8:9], v16 offset:8
	v_cmp_eq_u64_e32 vcc, 0, v[0:1]
	s_xor_b64 s[0:1], s[0:1], -1
	s_and_b64 s[0:1], vcc, s[0:1]
	s_waitcnt lgkmcnt(0)
	v_pk_add_f32 v[4:5], v[4:5], v[8:9]
	s_barrier
	ds_write_b64 v16, v[4:5]
	s_and_b64 exec, exec, s[0:1]
	s_cbranch_execz .LBB88_112
; %bb.109:
	v_cmp_neq_f32_e32 vcc, 0, v6
	s_or_b64 s[2:3], vcc, s[4:5]
	v_lshl_add_u64 v[0:1], v[2:3], 3, s[22:23]
	s_and_saveexec_b64 s[0:1], s[2:3]
	s_cbranch_execz .LBB88_111
; %bb.110:
	global_load_dwordx2 v[2:3], v[0:1], off
	v_xor_b32_e32 v8, 0x80000000, v7
	v_mov_b32_e32 v9, v6
	s_waitcnt vmcnt(0)
	v_pk_fma_f32 v[4:5], v[6:7], v[2:3], v[4:5] op_sel_hi:[1,0,1]
	s_nop 0
	v_pk_fma_f32 v[4:5], v[8:9], v[2:3], v[4:5] op_sel:[0,1,0]
.LBB88_111:
	s_or_b64 exec, exec, s[0:1]
	global_store_dwordx2 v[0:1], v[4:5], off
.LBB88_112:
	s_endpgm
	.section	.rodata,"a",@progbits
	.p2align	6, 0x0
	.amdhsa_kernel _ZN9rocsparseL22csrmvn_adaptive_kernelIllf21rocsparse_complex_numIfES2_S2_EEvbT_PKS3_PjPKT0_NS_24const_host_device_scalarIT4_EES5_S9_PKT1_PKT2_SC_PT3_21rocsparse_index_base_b
		.amdhsa_group_segment_fixed_size 8192
		.amdhsa_private_segment_fixed_size 0
		.amdhsa_kernarg_size 104
		.amdhsa_user_sgpr_count 2
		.amdhsa_user_sgpr_dispatch_ptr 0
		.amdhsa_user_sgpr_queue_ptr 0
		.amdhsa_user_sgpr_kernarg_segment_ptr 1
		.amdhsa_user_sgpr_dispatch_id 0
		.amdhsa_user_sgpr_kernarg_preload_length 0
		.amdhsa_user_sgpr_kernarg_preload_offset 0
		.amdhsa_user_sgpr_private_segment_size 0
		.amdhsa_uses_dynamic_stack 0
		.amdhsa_enable_private_segment 0
		.amdhsa_system_sgpr_workgroup_id_x 1
		.amdhsa_system_sgpr_workgroup_id_y 0
		.amdhsa_system_sgpr_workgroup_id_z 0
		.amdhsa_system_sgpr_workgroup_info 0
		.amdhsa_system_vgpr_workitem_id 0
		.amdhsa_next_free_vgpr 30
		.amdhsa_next_free_sgpr 66
		.amdhsa_accum_offset 32
		.amdhsa_reserve_vcc 1
		.amdhsa_float_round_mode_32 0
		.amdhsa_float_round_mode_16_64 0
		.amdhsa_float_denorm_mode_32 3
		.amdhsa_float_denorm_mode_16_64 3
		.amdhsa_dx10_clamp 1
		.amdhsa_ieee_mode 1
		.amdhsa_fp16_overflow 0
		.amdhsa_tg_split 0
		.amdhsa_exception_fp_ieee_invalid_op 0
		.amdhsa_exception_fp_denorm_src 0
		.amdhsa_exception_fp_ieee_div_zero 0
		.amdhsa_exception_fp_ieee_overflow 0
		.amdhsa_exception_fp_ieee_underflow 0
		.amdhsa_exception_fp_ieee_inexact 0
		.amdhsa_exception_int_div_zero 0
	.end_amdhsa_kernel
	.section	.text._ZN9rocsparseL22csrmvn_adaptive_kernelIllf21rocsparse_complex_numIfES2_S2_EEvbT_PKS3_PjPKT0_NS_24const_host_device_scalarIT4_EES5_S9_PKT1_PKT2_SC_PT3_21rocsparse_index_base_b,"axG",@progbits,_ZN9rocsparseL22csrmvn_adaptive_kernelIllf21rocsparse_complex_numIfES2_S2_EEvbT_PKS3_PjPKT0_NS_24const_host_device_scalarIT4_EES5_S9_PKT1_PKT2_SC_PT3_21rocsparse_index_base_b,comdat
.Lfunc_end88:
	.size	_ZN9rocsparseL22csrmvn_adaptive_kernelIllf21rocsparse_complex_numIfES2_S2_EEvbT_PKS3_PjPKT0_NS_24const_host_device_scalarIT4_EES5_S9_PKT1_PKT2_SC_PT3_21rocsparse_index_base_b, .Lfunc_end88-_ZN9rocsparseL22csrmvn_adaptive_kernelIllf21rocsparse_complex_numIfES2_S2_EEvbT_PKS3_PjPKT0_NS_24const_host_device_scalarIT4_EES5_S9_PKT1_PKT2_SC_PT3_21rocsparse_index_base_b
                                        ; -- End function
	.set _ZN9rocsparseL22csrmvn_adaptive_kernelIllf21rocsparse_complex_numIfES2_S2_EEvbT_PKS3_PjPKT0_NS_24const_host_device_scalarIT4_EES5_S9_PKT1_PKT2_SC_PT3_21rocsparse_index_base_b.num_vgpr, 30
	.set _ZN9rocsparseL22csrmvn_adaptive_kernelIllf21rocsparse_complex_numIfES2_S2_EEvbT_PKS3_PjPKT0_NS_24const_host_device_scalarIT4_EES5_S9_PKT1_PKT2_SC_PT3_21rocsparse_index_base_b.num_agpr, 0
	.set _ZN9rocsparseL22csrmvn_adaptive_kernelIllf21rocsparse_complex_numIfES2_S2_EEvbT_PKS3_PjPKT0_NS_24const_host_device_scalarIT4_EES5_S9_PKT1_PKT2_SC_PT3_21rocsparse_index_base_b.numbered_sgpr, 66
	.set _ZN9rocsparseL22csrmvn_adaptive_kernelIllf21rocsparse_complex_numIfES2_S2_EEvbT_PKS3_PjPKT0_NS_24const_host_device_scalarIT4_EES5_S9_PKT1_PKT2_SC_PT3_21rocsparse_index_base_b.num_named_barrier, 0
	.set _ZN9rocsparseL22csrmvn_adaptive_kernelIllf21rocsparse_complex_numIfES2_S2_EEvbT_PKS3_PjPKT0_NS_24const_host_device_scalarIT4_EES5_S9_PKT1_PKT2_SC_PT3_21rocsparse_index_base_b.private_seg_size, 0
	.set _ZN9rocsparseL22csrmvn_adaptive_kernelIllf21rocsparse_complex_numIfES2_S2_EEvbT_PKS3_PjPKT0_NS_24const_host_device_scalarIT4_EES5_S9_PKT1_PKT2_SC_PT3_21rocsparse_index_base_b.uses_vcc, 1
	.set _ZN9rocsparseL22csrmvn_adaptive_kernelIllf21rocsparse_complex_numIfES2_S2_EEvbT_PKS3_PjPKT0_NS_24const_host_device_scalarIT4_EES5_S9_PKT1_PKT2_SC_PT3_21rocsparse_index_base_b.uses_flat_scratch, 0
	.set _ZN9rocsparseL22csrmvn_adaptive_kernelIllf21rocsparse_complex_numIfES2_S2_EEvbT_PKS3_PjPKT0_NS_24const_host_device_scalarIT4_EES5_S9_PKT1_PKT2_SC_PT3_21rocsparse_index_base_b.has_dyn_sized_stack, 0
	.set _ZN9rocsparseL22csrmvn_adaptive_kernelIllf21rocsparse_complex_numIfES2_S2_EEvbT_PKS3_PjPKT0_NS_24const_host_device_scalarIT4_EES5_S9_PKT1_PKT2_SC_PT3_21rocsparse_index_base_b.has_recursion, 0
	.set _ZN9rocsparseL22csrmvn_adaptive_kernelIllf21rocsparse_complex_numIfES2_S2_EEvbT_PKS3_PjPKT0_NS_24const_host_device_scalarIT4_EES5_S9_PKT1_PKT2_SC_PT3_21rocsparse_index_base_b.has_indirect_call, 0
	.section	.AMDGPU.csdata,"",@progbits
; Kernel info:
; codeLenInByte = 4488
; TotalNumSgprs: 72
; NumVgprs: 30
; NumAgprs: 0
; TotalNumVgprs: 30
; ScratchSize: 0
; MemoryBound: 0
; FloatMode: 240
; IeeeMode: 1
; LDSByteSize: 8192 bytes/workgroup (compile time only)
; SGPRBlocks: 8
; VGPRBlocks: 3
; NumSGPRsForWavesPerEU: 72
; NumVGPRsForWavesPerEU: 30
; AccumOffset: 32
; Occupancy: 8
; WaveLimiterHint : 1
; COMPUTE_PGM_RSRC2:SCRATCH_EN: 0
; COMPUTE_PGM_RSRC2:USER_SGPR: 2
; COMPUTE_PGM_RSRC2:TRAP_HANDLER: 0
; COMPUTE_PGM_RSRC2:TGID_X_EN: 1
; COMPUTE_PGM_RSRC2:TGID_Y_EN: 0
; COMPUTE_PGM_RSRC2:TGID_Z_EN: 0
; COMPUTE_PGM_RSRC2:TIDIG_COMP_CNT: 0
; COMPUTE_PGM_RSRC3_GFX90A:ACCUM_OFFSET: 7
; COMPUTE_PGM_RSRC3_GFX90A:TG_SPLIT: 0
	.section	.text._ZN9rocsparseL27csrmvn_symm_adaptive_kernelIllf21rocsparse_complex_numIfES2_S2_EEvbT_S3_PKS3_NS_24const_host_device_scalarIT4_EES5_PKT0_PKT1_PKT2_S8_PT3_21rocsparse_index_base_b,"axG",@progbits,_ZN9rocsparseL27csrmvn_symm_adaptive_kernelIllf21rocsparse_complex_numIfES2_S2_EEvbT_S3_PKS3_NS_24const_host_device_scalarIT4_EES5_PKT0_PKT1_PKT2_S8_PT3_21rocsparse_index_base_b,comdat
	.globl	_ZN9rocsparseL27csrmvn_symm_adaptive_kernelIllf21rocsparse_complex_numIfES2_S2_EEvbT_S3_PKS3_NS_24const_host_device_scalarIT4_EES5_PKT0_PKT1_PKT2_S8_PT3_21rocsparse_index_base_b ; -- Begin function _ZN9rocsparseL27csrmvn_symm_adaptive_kernelIllf21rocsparse_complex_numIfES2_S2_EEvbT_S3_PKS3_NS_24const_host_device_scalarIT4_EES5_PKT0_PKT1_PKT2_S8_PT3_21rocsparse_index_base_b
	.p2align	8
	.type	_ZN9rocsparseL27csrmvn_symm_adaptive_kernelIllf21rocsparse_complex_numIfES2_S2_EEvbT_S3_PKS3_NS_24const_host_device_scalarIT4_EES5_PKT0_PKT1_PKT2_S8_PT3_21rocsparse_index_base_b,@function
_ZN9rocsparseL27csrmvn_symm_adaptive_kernelIllf21rocsparse_complex_numIfES2_S2_EEvbT_S3_PKS3_NS_24const_host_device_scalarIT4_EES5_PKT0_PKT1_PKT2_S8_PT3_21rocsparse_index_base_b: ; @_ZN9rocsparseL27csrmvn_symm_adaptive_kernelIllf21rocsparse_complex_numIfES2_S2_EEvbT_S3_PKS3_NS_24const_host_device_scalarIT4_EES5_PKT0_PKT1_PKT2_S8_PT3_21rocsparse_index_base_b
; %bb.0:
	s_load_dwordx2 s[28:29], s[0:1], 0x58
	s_load_dwordx2 s[4:5], s[0:1], 0x20
	s_add_u32 s3, s0, 32
	s_addc_u32 s10, s1, 0
	s_waitcnt lgkmcnt(0)
	s_bitcmp1_b32 s29, 0
	s_cselect_b64 s[8:9], -1, 0
	s_and_b64 s[6:7], s[8:9], exec
	s_cselect_b32 s5, s10, s5
	s_cselect_b32 s3, s3, s4
	v_mov_b32_e32 v2, s3
	v_mov_b32_e32 v3, s5
	flat_load_dwordx2 v[2:3], v[2:3]
	s_waitcnt vmcnt(0) lgkmcnt(0)
	v_cmp_eq_f32_e32 vcc, 0, v2
	v_cmp_eq_f32_e64 s[4:5], 0, v3
	s_and_b64 s[10:11], vcc, s[4:5]
	s_mov_b64 s[4:5], -1
	s_and_saveexec_b64 s[6:7], s[10:11]
	s_cbranch_execz .LBB89_2
; %bb.1:
	s_load_dwordx2 s[4:5], s[0:1], 0x48
	s_add_u32 s3, s0, 0x48
	s_addc_u32 s10, s1, 0
	s_and_b64 s[8:9], s[8:9], exec
	s_waitcnt lgkmcnt(0)
	s_cselect_b32 s5, s10, s5
	s_cselect_b32 s3, s3, s4
	v_mov_b32_e32 v4, s3
	v_mov_b32_e32 v5, s5
	flat_load_dwordx2 v[4:5], v[4:5]
	s_waitcnt vmcnt(0) lgkmcnt(0)
	v_cmp_neq_f32_e32 vcc, 1.0, v4
	v_cmp_neq_f32_e64 s[4:5], 0, v5
	s_or_b64 s[4:5], vcc, s[4:5]
	s_orn2_b64 s[4:5], s[4:5], exec
.LBB89_2:
	s_or_b64 exec, exec, s[6:7]
	s_and_saveexec_b64 s[6:7], s[4:5]
	s_cbranch_execz .LBB89_153
; %bb.3:
	s_load_dwordx2 s[4:5], s[0:1], 0x18
	s_ashr_i32 s3, s2, 31
	s_mov_b32 s6, 0
	s_lshl_b64 s[2:3], s[2:3], 3
	s_mov_b32 s7, s6
	s_waitcnt lgkmcnt(0)
	s_add_u32 s2, s4, s2
	v_lshlrev_b32_e32 v26, 3, v0
	v_mov_b64_e32 v[4:5], s[6:7]
	s_addc_u32 s3, s5, s3
	ds_write2st64_b64 v26, v[4:5], v[4:5] offset1:4
	ds_write2st64_b64 v26, v[4:5], v[4:5] offset0:8 offset1:12
	s_waitcnt lgkmcnt(0)
	s_barrier
	s_load_dwordx4 s[20:23], s[2:3], 0x0
	s_load_dwordx8 s[12:19], s[0:1], 0x28
	s_load_dwordx2 s[24:25], s[0:1], 0x50
	s_mov_b64 s[2:3], -1
	s_waitcnt lgkmcnt(0)
	s_sub_u32 s26, s22, s20
	s_subb_u32 s27, s23, s21
	v_cmp_gt_i64_e64 s[4:5], s[26:27], 2
	s_and_b64 vcc, exec, s[4:5]
	s_cbranch_vccnz .LBB89_40
; %bb.4:
	v_mov_b64_e32 v[4:5], s[20:21]
	v_cmp_le_i64_e32 vcc, s[22:23], v[4:5]
	v_subrev_co_u32_e64 v4, s[2:3], s28, v0
	v_mov_b32_e32 v7, 0
	s_nop 0
	v_subb_co_u32_e64 v5, s[2:3], 0, 0, s[2:3]
	s_cbranch_vccnz .LBB89_30
; %bb.5:
	s_movk_i32 s2, 0x100
	v_cmp_gt_u32_e64 s[2:3], s2, v0
	v_cmp_gt_u32_e64 s[4:5], 64, v0
	;; [unrolled: 1-line block ×4, first 2 shown]
	v_cmp_eq_u32_e64 s[10:11], 0, v0
	v_bfrev_b32_e32 v8, 1
	s_mov_b64 s[30:31], 0x100
	s_mov_b64 s[34:35], 0x800
	;; [unrolled: 1-line block ×3, first 2 shown]
	v_mov_b64_e32 v[10:11], s[22:23]
	s_mov_b64 s[38:39], s[20:21]
	s_branch .LBB89_7
.LBB89_6:                               ;   in Loop: Header=BB89_7 Depth=1
	s_or_b64 exec, exec, s[42:43]
	s_add_u32 s38, s38, 1
	s_addc_u32 s39, s39, 0
	v_cmp_ge_i64_e32 vcc, s[38:39], v[10:11]
	s_cbranch_vccnz .LBB89_30
.LBB89_7:                               ; =>This Loop Header: Depth=1
                                        ;     Child Loop BB89_9 Depth 2
                                        ;     Child Loop BB89_23 Depth 2
	;; [unrolled: 1-line block ×3, first 2 shown]
	s_lshl_b64 s[40:41], s[38:39], 3
	s_add_u32 s42, s12, s40
	s_addc_u32 s43, s13, s41
	s_load_dwordx4 s[48:51], s[42:43], 0x0
	v_mov_b32_e32 v13, 0
	v_mov_b32_e32 v12, v13
	s_waitcnt lgkmcnt(0)
	s_sub_u32 s44, s50, s28
	v_lshl_add_u64 v[14:15], s[48:49], 0, v[4:5]
	s_subb_u32 s45, s51, 0
	v_cmp_gt_i64_e32 vcc, s[44:45], v[14:15]
	s_and_saveexec_b64 s[42:43], vcc
	s_cbranch_execz .LBB89_11
; %bb.8:                                ;   in Loop: Header=BB89_7 Depth=1
	v_mov_b32_e32 v12, 0
	v_lshl_add_u64 v[16:17], v[14:15], 3, s[14:15]
	v_lshl_add_u64 v[18:19], v[14:15], 2, s[16:17]
	s_mov_b64 s[46:47], 0
	v_mov_b32_e32 v13, v12
.LBB89_9:                               ;   Parent Loop BB89_7 Depth=1
                                        ; =>  This Inner Loop Header: Depth=2
	global_load_dwordx2 v[20:21], v[16:17], off
	global_load_dword v6, v[18:19], off
	v_lshl_add_u64 v[14:15], v[14:15], 0, s[30:31]
	v_lshl_add_u64 v[16:17], v[16:17], 0, s[34:35]
	;; [unrolled: 1-line block ×3, first 2 shown]
	s_waitcnt vmcnt(1)
	v_subrev_co_u32_e32 v20, vcc, s28, v20
	s_nop 1
	v_subbrev_co_u32_e32 v21, vcc, 0, v21, vcc
	v_lshl_add_u64 v[20:21], v[20:21], 3, s[18:19]
	global_load_dwordx2 v[20:21], v[20:21], off
	v_cmp_le_i64_e32 vcc, s[44:45], v[14:15]
	s_waitcnt vmcnt(1)
	v_mov_b32_e32 v9, v6
	s_or_b64 s[46:47], vcc, s[46:47]
	s_waitcnt vmcnt(0)
	v_pk_fma_f32 v[12:13], v[20:21], v[6:7], v[12:13] op_sel_hi:[0,1,1]
	v_pk_fma_f32 v[12:13], v[20:21], v[8:9], v[12:13] op_sel:[1,0,0]
	s_andn2_b64 exec, exec, s[46:47]
	s_cbranch_execnz .LBB89_9
; %bb.10:                               ;   in Loop: Header=BB89_7 Depth=1
	s_or_b64 exec, exec, s[46:47]
.LBB89_11:                              ;   in Loop: Header=BB89_7 Depth=1
	s_or_b64 exec, exec, s[42:43]
	ds_write_b64 v26, v[12:13]
	s_waitcnt lgkmcnt(0)
	s_barrier
	s_and_saveexec_b64 s[42:43], s[2:3]
	s_cbranch_execz .LBB89_13
; %bb.12:                               ;   in Loop: Header=BB89_7 Depth=1
	ds_read2st64_b64 v[12:15], v26 offset1:4
	ds_read2st64_b64 v[16:19], v26 offset0:8 offset1:12
	s_waitcnt lgkmcnt(0)
	v_pk_add_f32 v[14:15], v[16:17], v[14:15]
	s_nop 0
	v_pk_add_f32 v[14:15], v[18:19], v[14:15]
	s_nop 0
	v_pk_add_f32 v[12:13], v[14:15], v[12:13]
	ds_write_b64 v26, v[12:13]
.LBB89_13:                              ;   in Loop: Header=BB89_7 Depth=1
	s_or_b64 exec, exec, s[42:43]
	s_waitcnt lgkmcnt(0)
	s_barrier
	s_and_saveexec_b64 s[42:43], s[4:5]
	s_cbranch_execz .LBB89_15
; %bb.14:                               ;   in Loop: Header=BB89_7 Depth=1
	ds_read2st64_b64 v[12:15], v26 offset1:1
	ds_read2st64_b64 v[16:19], v26 offset0:2 offset1:3
	s_waitcnt lgkmcnt(0)
	v_pk_add_f32 v[14:15], v[16:17], v[14:15]
	s_nop 0
	v_pk_add_f32 v[14:15], v[18:19], v[14:15]
	s_nop 0
	v_pk_add_f32 v[12:13], v[14:15], v[12:13]
	ds_write_b64 v26, v[12:13]
.LBB89_15:                              ;   in Loop: Header=BB89_7 Depth=1
	s_or_b64 exec, exec, s[42:43]
	s_waitcnt lgkmcnt(0)
	s_barrier
	s_and_saveexec_b64 s[42:43], s[6:7]
	s_cbranch_execz .LBB89_17
; %bb.16:                               ;   in Loop: Header=BB89_7 Depth=1
	ds_read2_b64 v[12:15], v26 offset1:16
	ds_read2_b64 v[16:19], v26 offset0:32 offset1:48
	s_waitcnt lgkmcnt(0)
	v_pk_add_f32 v[14:15], v[16:17], v[14:15]
	s_nop 0
	v_pk_add_f32 v[14:15], v[18:19], v[14:15]
	s_nop 0
	v_pk_add_f32 v[12:13], v[14:15], v[12:13]
	ds_write_b64 v26, v[12:13]
.LBB89_17:                              ;   in Loop: Header=BB89_7 Depth=1
	s_or_b64 exec, exec, s[42:43]
	s_waitcnt lgkmcnt(0)
	s_barrier
	s_and_saveexec_b64 s[42:43], s[8:9]
	s_cbranch_execz .LBB89_19
; %bb.18:                               ;   in Loop: Header=BB89_7 Depth=1
	ds_read2_b64 v[12:15], v26 offset1:4
	ds_read2_b64 v[16:19], v26 offset0:8 offset1:12
	s_waitcnt lgkmcnt(0)
	v_pk_add_f32 v[14:15], v[16:17], v[14:15]
	s_nop 0
	v_pk_add_f32 v[14:15], v[18:19], v[14:15]
	s_nop 0
	v_pk_add_f32 v[12:13], v[14:15], v[12:13]
	ds_write_b64 v26, v[12:13]
.LBB89_19:                              ;   in Loop: Header=BB89_7 Depth=1
	s_or_b64 exec, exec, s[42:43]
	s_waitcnt lgkmcnt(0)
	s_barrier
	s_and_saveexec_b64 s[42:43], s[10:11]
	s_cbranch_execz .LBB89_21
; %bb.20:                               ;   in Loop: Header=BB89_7 Depth=1
	ds_read_b128 v[12:15], v7 offset:16
	ds_read_b64 v[16:17], v7 offset:8
	ds_read_b64 v[18:19], v26
	s_waitcnt lgkmcnt(1)
	v_pk_add_f32 v[12:13], v[12:13], v[16:17]
	s_nop 0
	v_pk_add_f32 v[12:13], v[14:15], v[12:13]
	s_waitcnt lgkmcnt(0)
	v_pk_add_f32 v[12:13], v[12:13], v[18:19]
	ds_write_b64 v26, v[12:13]
.LBB89_21:                              ;   in Loop: Header=BB89_7 Depth=1
	s_or_b64 exec, exec, s[42:43]
	s_waitcnt lgkmcnt(0)
	s_barrier
	s_and_saveexec_b64 s[42:43], s[10:11]
	s_cbranch_execz .LBB89_6
; %bb.22:                               ;   in Loop: Header=BB89_7 Depth=1
	ds_read_b64 v[12:13], v7
	s_mov_b64 s[44:45], exec
	v_bfrev_b32_e32 v1, 1
	s_waitcnt lgkmcnt(0)
	v_mul_f32_e64 v6, v13, -v3
	v_fmac_f32_e32 v6, v2, v12
.LBB89_23:                              ;   Parent Loop BB89_7 Depth=1
                                        ; =>  This Inner Loop Header: Depth=2
	s_ff1_i32_b64 s29, s[44:45]
	s_lshl_b64 s[46:47], 1, s29
	v_readlane_b32 s33, v6, s29
	s_andn2_b64 s[44:45], s[44:45], s[46:47]
	s_cmp_lg_u64 s[44:45], 0
	v_add_f32_e32 v1, s33, v1
	s_cbranch_scc1 .LBB89_23
; %bb.24:                               ;   in Loop: Header=BB89_7 Depth=1
	v_mbcnt_lo_u32_b32 v6, exec_lo, 0
	s_add_u32 s40, s24, s40
	v_mbcnt_hi_u32_b32 v6, exec_hi, v6
	s_addc_u32 s41, s25, s41
	v_cmp_eq_u32_e32 vcc, 0, v6
	s_and_saveexec_b64 s[44:45], vcc
	s_xor_b64 s[44:45], exec, s[44:45]
	s_cbranch_execz .LBB89_26
; %bb.25:                               ;   in Loop: Header=BB89_7 Depth=1
	global_atomic_add_f32 v7, v1, s[40:41]
.LBB89_26:                              ;   in Loop: Header=BB89_7 Depth=1
	s_or_b64 exec, exec, s[44:45]
	v_mul_f32_e32 v6, v2, v13
	s_mov_b64 s[44:45], exec
	v_fmac_f32_e32 v6, v3, v12
	v_bfrev_b32_e32 v1, 1
.LBB89_27:                              ;   Parent Loop BB89_7 Depth=1
                                        ; =>  This Inner Loop Header: Depth=2
	s_ff1_i32_b64 s29, s[44:45]
	s_lshl_b64 s[46:47], 1, s29
	v_readlane_b32 s33, v6, s29
	s_andn2_b64 s[44:45], s[44:45], s[46:47]
	s_cmp_lg_u64 s[44:45], 0
	v_add_f32_e32 v1, s33, v1
	s_cbranch_scc1 .LBB89_27
; %bb.28:                               ;   in Loop: Header=BB89_7 Depth=1
	v_mbcnt_lo_u32_b32 v6, exec_lo, 0
	v_mbcnt_hi_u32_b32 v6, exec_hi, v6
	v_cmp_eq_u32_e32 vcc, 0, v6
	s_and_saveexec_b64 s[44:45], vcc
	s_xor_b64 s[44:45], exec, s[44:45]
	s_cbranch_execz .LBB89_6
; %bb.29:                               ;   in Loop: Header=BB89_7 Depth=1
	global_atomic_add_f32 v7, v1, s[40:41] offset:4
	s_branch .LBB89_6
.LBB89_30:
	s_lshl_b64 s[2:3], s[20:21], 3
	s_add_u32 s2, s12, s2
	s_addc_u32 s3, s13, s3
	s_lshl_b64 s[4:5], s[22:23], 3
	s_add_u32 s4, s12, s4
	s_addc_u32 s5, s13, s5
	s_load_dwordx2 s[6:7], s[4:5], 0x0
	s_load_dwordx2 s[8:9], s[2:3], 0x0
	s_waitcnt lgkmcnt(0)
	s_sub_u32 s6, s6, s28
	s_subb_u32 s7, s7, 0
	v_lshl_add_u64 v[4:5], s[8:9], 0, v[4:5]
	v_cmp_gt_i64_e32 vcc, s[6:7], v[4:5]
	s_and_saveexec_b64 s[8:9], vcc
	s_cbranch_execz .LBB89_39
; %bb.31:
	s_add_u32 s10, s22, -1
	s_addc_u32 s11, s23, -1
	s_add_u32 s2, s22, -2
	s_addc_u32 s3, s23, -1
	v_mov_b64_e32 v[6:7], s[10:11]
	s_cmp_lg_u64 s[20:21], s[2:3]
	v_cmp_lt_i64_e32 vcc, s[20:21], v[6:7]
	s_cselect_b64 s[2:3], -1, 0
	s_and_b64 s[2:3], vcc, s[2:3]
	v_cndmask_b32_e64 v6, 0, 1, s[2:3]
	v_mul_f32_e32 v1, 0x80000000, v3
	v_mul_f32_e32 v12, 0, v2
	s_mov_b64 s[30:31], 0
	v_cmp_ne_u32_e64 s[2:3], 1, v6
	v_mov_b32_e32 v7, 0
	s_mov_b64 s[34:35], 0x100
	s_branch .LBB89_33
.LBB89_32:                              ;   in Loop: Header=BB89_33 Depth=1
	s_or_b64 exec, exec, s[4:5]
	v_lshl_add_u64 v[4:5], v[4:5], 0, s[34:35]
	v_cmp_le_i64_e32 vcc, s[6:7], v[4:5]
	s_or_b64 s[30:31], vcc, s[30:31]
	s_andn2_b64 exec, exec, s[30:31]
	s_cbranch_execz .LBB89_39
.LBB89_33:                              ; =>This Loop Header: Depth=1
                                        ;     Child Loop BB89_35 Depth 2
	s_and_b64 vcc, exec, s[2:3]
	v_mov_b64_e32 v[8:9], s[20:21]
	v_mov_b64_e32 v[10:11], s[10:11]
	s_cbranch_vccnz .LBB89_37
; %bb.34:                               ;   in Loop: Header=BB89_33 Depth=1
	s_mov_b64 s[36:37], 0
	v_mov_b64_e32 v[8:9], s[20:21]
	v_mov_b64_e32 v[10:11], s[10:11]
.LBB89_35:                              ;   Parent Loop BB89_33 Depth=1
                                        ; =>  This Inner Loop Header: Depth=2
	v_lshl_add_u64 v[14:15], v[10:11], 0, v[8:9]
	v_lshrrev_b32_e32 v6, 31, v15
	v_lshl_add_u64 v[14:15], v[14:15], 0, v[6:7]
	v_ashrrev_i64 v[14:15], 1, v[14:15]
	v_lshl_add_u64 v[16:17], v[14:15], 3, s[12:13]
	global_load_dwordx2 v[16:17], v[16:17], off
	s_waitcnt vmcnt(0)
	v_subrev_co_u32_e32 v16, vcc, s28, v16
	s_nop 1
	v_subbrev_co_u32_e32 v17, vcc, 0, v17, vcc
	v_cmp_lt_i64_e32 vcc, v[4:5], v[16:17]
	s_nop 1
	v_cndmask_b32_e32 v11, v11, v15, vcc
	v_cndmask_b32_e32 v10, v10, v14, vcc
	v_cndmask_b32_e32 v9, v15, v9, vcc
	v_cndmask_b32_e32 v8, v14, v8, vcc
	v_lshl_add_u64 v[14:15], v[10:11], 0, -1
	v_cmp_ge_i64_e32 vcc, v[8:9], v[10:11]
	v_cmp_eq_u64_e64 s[4:5], v[8:9], v[14:15]
	s_or_b64 s[4:5], vcc, s[4:5]
	s_and_b64 s[4:5], exec, s[4:5]
	s_or_b64 s[36:37], s[4:5], s[36:37]
	s_andn2_b64 exec, exec, s[36:37]
	s_cbranch_execnz .LBB89_35
; %bb.36:                               ;   in Loop: Header=BB89_33 Depth=1
	s_or_b64 exec, exec, s[36:37]
.LBB89_37:                              ;   in Loop: Header=BB89_33 Depth=1
	v_lshl_add_u64 v[14:15], v[10:11], 3, s[12:13]
	global_load_dwordx2 v[14:15], v[14:15], off
	v_lshl_add_u64 v[16:17], v[4:5], 3, s[14:15]
	global_load_dwordx2 v[16:17], v[16:17], off
	s_waitcnt vmcnt(1)
	v_subrev_co_u32_e32 v14, vcc, s28, v14
	s_nop 1
	v_subbrev_co_u32_e32 v15, vcc, 0, v15, vcc
	v_cmp_lt_i64_e32 vcc, v[4:5], v[14:15]
	s_nop 1
	v_cndmask_b32_e32 v11, v11, v9, vcc
	v_cndmask_b32_e32 v10, v10, v8, vcc
	s_waitcnt vmcnt(0)
	v_subrev_co_u32_e32 v8, vcc, s28, v16
	s_nop 1
	v_subbrev_co_u32_e32 v9, vcc, 0, v17, vcc
	v_cmp_ne_u64_e32 vcc, v[8:9], v[10:11]
	s_and_saveexec_b64 s[4:5], vcc
	s_cbranch_execz .LBB89_32
; %bb.38:                               ;   in Loop: Header=BB89_33 Depth=1
	v_lshl_add_u64 v[14:15], v[4:5], 2, s[16:17]
	global_load_dword v6, v[14:15], off
	v_lshl_add_u64 v[10:11], v[10:11], 3, s[18:19]
	global_load_dwordx2 v[10:11], v[10:11], off
	v_lshl_add_u64 v[8:9], v[8:9], 3, s[24:25]
	s_waitcnt vmcnt(1)
	v_fma_f32 v13, v2, v6, v1
	v_fma_f32 v6, v3, v6, v12
	s_waitcnt vmcnt(0)
	v_mul_f32_e64 v14, v11, -v6
	v_mul_f32_e32 v11, v13, v11
	v_fmac_f32_e32 v14, v13, v10
	v_fmac_f32_e32 v11, v6, v10
	global_atomic_add_f32 v[8:9], v14, off
	global_atomic_add_f32 v[8:9], v11, off offset:4
	s_branch .LBB89_32
.LBB89_39:
	s_or_b64 exec, exec, s[8:9]
	s_mov_b64 s[2:3], 0
.LBB89_40:
	s_and_b64 vcc, exec, s[2:3]
	s_cbranch_vccz .LBB89_153
; %bb.41:
	s_load_dword s2, s[0:1], 0x6c
	s_mov_b32 s31, 0
	v_mov_b64_e32 v[4:5], s[26:27]
	s_mov_b64 s[34:35], 0
	s_waitcnt lgkmcnt(0)
	s_and_b32 s30, s2, 0xffff
	v_cmp_lt_u64_e32 vcc, s[30:31], v[4:5]
	s_cbranch_vccnz .LBB89_43
; %bb.42:
	v_cvt_f32_u32_e32 v1, s26
	s_sub_i32 s2, 0, s26
	v_rcp_iflag_f32_e32 v1, v1
	s_nop 0
	v_mul_f32_e32 v1, 0x4f7ffffe, v1
	v_cvt_u32_f32_e32 v1, v1
	s_nop 0
	v_readfirstlane_b32 s3, v1
	s_mul_i32 s2, s2, s3
	s_mul_hi_u32 s2, s3, s2
	s_add_i32 s3, s3, s2
	s_mul_hi_u32 s2, s30, s3
	s_mul_i32 s4, s2, s26
	s_sub_i32 s4, s30, s4
	s_add_i32 s3, s2, 1
	s_sub_i32 s5, s4, s26
	s_cmp_ge_u32 s4, s26
	s_cselect_b32 s2, s3, s2
	s_cselect_b32 s4, s5, s4
	s_add_i32 s3, s2, 1
	s_cmp_ge_u32 s4, s26
	s_cselect_b32 s34, s3, s2
.LBB89_43:
	s_load_dwordx4 s[4:7], s[0:1], 0x8
	s_lshl_b64 s[0:1], s[20:21], 3
	s_add_u32 s10, s12, s0
	s_addc_u32 s11, s13, s1
	s_load_dwordx2 s[8:9], s[10:11], 0x0
	v_subrev_co_u32_e32 v4, vcc, s28, v0
	v_mov_b32_e32 v1, 0
	s_nop 0
	v_subb_co_u32_e64 v5, s[0:1], 0, 0, vcc
	s_waitcnt lgkmcnt(0)
	v_lshl_add_u64 v[10:11], s[8:9], 0, v[4:5]
	s_mov_b64 s[0:1], 0x300
	v_lshl_add_u64 v[8:9], v[10:11], 0, s[0:1]
	v_cmp_le_i64_e32 vcc, s[4:5], v[8:9]
	s_and_saveexec_b64 s[0:1], vcc
	s_xor_b64 s[36:37], exec, s[0:1]
	s_cbranch_execnz .LBB89_46
; %bb.44:
	s_andn2_saveexec_b64 s[0:1], s[36:37]
	s_cbranch_execnz .LBB89_57
.LBB89_45:
	s_or_b64 exec, exec, s[0:1]
	v_cmp_gt_i64_e64 s[0:1], s[6:7], v[0:1]
	s_and_saveexec_b64 s[2:3], s[0:1]
	s_cbranch_execnz .LBB89_58
	s_branch .LBB89_65
.LBB89_46:
	s_lshl_b64 s[0:1], s[22:23], 3
	s_add_u32 s0, s12, s0
	s_addc_u32 s1, s13, s1
	s_load_dwordx2 s[2:3], s[0:1], 0x0
	s_waitcnt lgkmcnt(0)
	s_sub_u32 s38, s2, s8
	s_subb_u32 s39, s3, s9
	v_cmp_gt_i64_e64 s[0:1], s[38:39], v[0:1]
	s_and_saveexec_b64 s[40:41], s[0:1]
	s_cbranch_execz .LBB89_56
; %bb.47:
	s_not_b64 s[0:1], s[8:9]
	s_add_u32 s0, s2, s0
	s_addc_u32 s1, s3, s1
	v_mov_b32_e32 v7, s1
	v_sub_co_u32_e64 v6, s[0:1], s0, v0
	s_brev_b32 s5, 1
	s_nop 0
	v_subbrev_co_u32_e64 v7, s[0:1], 0, v7, s[0:1]
	s_mov_b64 s[0:1], 0x1300
	s_mov_b32 s4, 0
	v_cmp_gt_u64_e64 s[42:43], s[0:1], v[6:7]
	s_mov_b64 s[0:1], 0x12ff
	v_pk_mul_f32 v[4:5], v[2:3], s[4:5]
	v_cmp_lt_u64_e64 s[0:1], s[0:1], v[6:7]
	v_mov_b64_e32 v[14:15], 0
	s_and_saveexec_b64 s[44:45], s[0:1]
	s_cbranch_execz .LBB89_53
; %bb.48:
	v_alignbit_b32 v12, v7, v6, 8
	s_mov_b32 s0, 0x200000
	s_movk_i32 s5, 0x100
	v_cmp_gt_u32_e64 s[0:1], s0, v12
	v_lshl_or_b32 v12, v12, 11, v26
	v_cmp_gt_u64_e64 s[4:5], s[4:5], v[6:7]
	v_cmp_ge_u32_e64 s[2:3], v12, v26
	s_and_b64 s[0:1], s[0:1], s[4:5]
	s_and_b64 s[4:5], s[0:1], s[2:3]
	s_mov_b64 s[0:1], -1
	v_mov_b64_e32 v[14:15], 0
	s_and_saveexec_b64 s[2:3], s[4:5]
	s_cbranch_execz .LBB89_52
; %bb.49:
	v_lshrrev_b64 v[6:7], 8, v[6:7]
	v_lshl_add_u64 v[6:7], v[6:7], 0, 1
	v_and_b32_e32 v12, -2, v6
	v_mov_b32_e32 v13, v7
	v_lshl_add_u64 v[22:23], v[10:11], 2, s[16:17]
	s_mov_b64 s[0:1], 0x400
	v_mov_b32_e32 v14, v5
	v_mov_b32_e32 v15, v5
	;; [unrolled: 1-line block ×8, first 2 shown]
	v_lshl_add_u64 v[22:23], v[22:23], 0, s[0:1]
	s_mov_b64 s[46:47], 0x100
	s_mov_b64 s[4:5], 0
	;; [unrolled: 1-line block ×3, first 2 shown]
	v_mov_b64_e32 v[24:25], v[12:13]
	s_mov_b64 s[50:51], 0
.LBB89_50:                              ; =>This Inner Loop Header: Depth=1
	global_load_dword v28, v[22:23], off offset:-1024
	global_load_dword v29, v[22:23], off
	v_lshl_add_u32 v27, s50, 3, v26
	s_add_u32 s50, s50, 0x200
	s_addc_u32 s51, s51, 0
	v_lshl_add_u32 v34, s46, 3, v26
	v_lshl_add_u64 v[24:25], v[24:25], 0, -2
	s_add_u32 s46, s46, 0x200
	v_cmp_eq_u64_e64 s[0:1], 0, v[24:25]
	s_addc_u32 s47, s47, 0
	v_lshl_add_u64 v[22:23], v[22:23], 0, s[48:49]
	s_or_b64 s[4:5], s[0:1], s[4:5]
	s_waitcnt vmcnt(0)
	v_pk_fma_f32 v[30:31], v[18:19], v[28:29], v[14:15]
	v_pk_fma_f32 v[28:29], v[20:21], v[28:29], v[16:17]
	v_mov_b32_e32 v32, v30
	v_mov_b32_e32 v33, v28
	v_mov_b32_e32 v28, v31
	ds_write_b64 v27, v[32:33]
	ds_write_b64 v34, v[28:29]
	s_andn2_b64 exec, exec, s[4:5]
	s_cbranch_execnz .LBB89_50
; %bb.51:
	s_or_b64 exec, exec, s[4:5]
	v_cmp_ne_u64_e64 s[0:1], v[6:7], v[12:13]
	v_lshlrev_b64 v[14:15], 8, v[12:13]
	s_orn2_b64 s[0:1], s[0:1], exec
.LBB89_52:
	s_or_b64 exec, exec, s[2:3]
	s_andn2_b64 s[2:3], s[42:43], exec
	s_and_b64 s[0:1], s[0:1], exec
	s_or_b64 s[42:43], s[2:3], s[0:1]
.LBB89_53:
	s_or_b64 exec, exec, s[44:45]
	s_and_b64 exec, exec, s[42:43]
	s_cbranch_execz .LBB89_56
; %bb.54:
	v_lshlrev_b64 v[6:7], 2, v[10:11]
	v_lshl_add_u64 v[6:7], v[14:15], 2, v[6:7]
	v_lshl_add_u64 v[12:13], v[14:15], 0, v[0:1]
	v_lshlrev_b32_e32 v14, 3, v14
	v_pk_mov_b32 v[4:5], v[4:5], v[4:5] op_sel:[1,0]
	v_lshl_add_u64 v[6:7], s[16:17], 0, v[6:7]
	v_lshl_add_u32 v14, v0, 3, v14
	s_mov_b64 s[2:3], 0
	s_mov_b64 s[4:5], 0x400
	;; [unrolled: 1-line block ×3, first 2 shown]
.LBB89_55:                              ; =>This Inner Loop Header: Depth=1
	global_load_dword v16, v[6:7], off
	v_lshl_add_u64 v[12:13], v[12:13], 0, s[42:43]
	v_cmp_le_i64_e64 s[0:1], s[38:39], v[12:13]
	v_lshl_add_u64 v[6:7], v[6:7], 0, s[4:5]
	s_or_b64 s[2:3], s[0:1], s[2:3]
	s_waitcnt vmcnt(0)
	v_pk_fma_f32 v[16:17], v[2:3], v[16:17], v[4:5] op_sel_hi:[1,0,1]
	ds_write_b64 v14, v[16:17]
	v_add_u32_e32 v14, 0x800, v14
	s_andn2_b64 exec, exec, s[2:3]
	s_cbranch_execnz .LBB89_55
.LBB89_56:
	s_or_b64 exec, exec, s[40:41]
                                        ; implicit-def: $vgpr2_vgpr3
	s_andn2_saveexec_b64 s[0:1], s[36:37]
	s_cbranch_execz .LBB89_45
.LBB89_57:
	v_lshl_add_u64 v[4:5], v[10:11], 2, s[16:17]
	global_load_dword v6, v[4:5], off
	global_load_dword v12, v[4:5], off offset:1024
	global_load_dword v14, v[4:5], off offset:2048
	;; [unrolled: 1-line block ×3, first 2 shown]
	s_mov_b32 s2, 0
	s_brev_b32 s3, 1
	v_pk_mul_f32 v[4:5], v[2:3], s[2:3]
	s_waitcnt vmcnt(3)
	v_pk_fma_f32 v[6:7], v[2:3], v[6:7], v[4:5] op_sel:[0,0,1] op_sel_hi:[1,0,0]
	s_waitcnt vmcnt(2)
	v_pk_fma_f32 v[12:13], v[2:3], v[12:13], v[4:5] op_sel:[0,0,1] op_sel_hi:[1,0,0]
	;; [unrolled: 2-line block ×4, first 2 shown]
	ds_write2st64_b64 v26, v[6:7], v[12:13] offset1:4
	ds_write2st64_b64 v26, v[14:15], v[2:3] offset0:8 offset1:12
	s_or_b64 exec, exec, s[0:1]
	v_cmp_gt_i64_e64 s[0:1], s[6:7], v[0:1]
	s_and_saveexec_b64 s[2:3], s[0:1]
	s_cbranch_execz .LBB89_65
.LBB89_58:
	v_mov_b32_e32 v3, -1
	v_not_b32_e32 v2, v0
	v_lshl_add_u64 v[4:5], s[6:7], 0, v[2:3]
	s_mov_b64 s[0:1], 0xff
	v_cmp_lt_u64_e64 s[0:1], s[0:1], v[4:5]
	s_mov_b64 s[16:17], -1
	v_mov_b64_e32 v[2:3], v[0:1]
	s_and_saveexec_b64 s[4:5], s[0:1]
	s_cbranch_execz .LBB89_62
; %bb.59:
	v_lshrrev_b64 v[2:3], 8, v[4:5]
	v_lshl_add_u64 v[12:13], v[2:3], 0, 1
	v_mov_b32_e32 v3, 0
	v_or_b32_e32 v4, 0x100, v0
	v_mov_b32_e32 v5, v3
	v_and_b32_e32 v14, -2, v12
	v_mov_b32_e32 v15, v13
	v_mov_b32_e32 v2, v0
	v_mov_b64_e32 v[6:7], v[4:5]
	s_mov_b64 s[16:17], 0
	v_mov_b32_e32 v18, 0x2000
	s_mov_b64 s[36:37], 0x200
	v_mov_b64_e32 v[16:17], v[14:15]
	v_mov_b64_e32 v[4:5], v[2:3]
.LBB89_60:                              ; =>This Inner Loop Header: Depth=1
	v_lshl_add_u64 v[16:17], v[16:17], 0, -2
	v_cmp_eq_u64_e64 s[0:1], 0, v[16:17]
	v_lshl_add_u32 v2, v4, 3, v18
	v_lshl_add_u32 v19, v6, 3, v18
	v_lshl_add_u64 v[6:7], v[6:7], 0, s[36:37]
	v_lshl_add_u64 v[4:5], v[4:5], 0, s[36:37]
	s_or_b64 s[16:17], s[0:1], s[16:17]
	ds_write2_b32 v2, v3, v3 offset1:1
	ds_write2_b32 v19, v3, v3 offset1:1
	s_andn2_b64 exec, exec, s[16:17]
	s_cbranch_execnz .LBB89_60
; %bb.61:
	s_or_b64 exec, exec, s[16:17]
	v_lshlrev_b64 v[2:3], 8, v[14:15]
	v_cmp_ne_u64_e64 s[0:1], v[12:13], v[14:15]
	v_or_b32_e32 v2, v2, v0
	s_orn2_b64 s[16:17], s[0:1], exec
.LBB89_62:
	s_or_b64 exec, exec, s[4:5]
	s_and_b64 exec, exec, s[16:17]
	s_cbranch_execz .LBB89_65
; %bb.63:
	v_mov_b32_e32 v4, 0x2000
	v_lshl_add_u32 v4, v2, 3, v4
	s_mov_b64 s[4:5], 0
	v_mov_b32_e32 v5, 0
	s_mov_b64 s[16:17], 0x100
.LBB89_64:                              ; =>This Inner Loop Header: Depth=1
	v_lshl_add_u64 v[2:3], v[2:3], 0, s[16:17]
	v_cmp_le_i64_e64 s[0:1], s[6:7], v[2:3]
	ds_write2_b32 v4, v5, v5 offset1:1
	s_or_b64 s[4:5], s[0:1], s[4:5]
	v_add_u32_e32 v4, 0x800, v4
	s_andn2_b64 exec, exec, s[4:5]
	s_cbranch_execnz .LBB89_64
.LBB89_65:
	s_or_b64 exec, exec, s[2:3]
	s_sub_u32 s2, s22, s6
	v_mov_b64_e32 v[2:3], s[6:7]
	s_subb_u32 s3, s23, s7
	v_cmp_ge_i64_e64 s[0:1], s[22:23], v[2:3]
	s_and_b64 s[0:1], s[0:1], exec
	s_cselect_b32 s5, s3, 0
	s_cselect_b32 s4, s2, 0
	s_waitcnt lgkmcnt(0)
	s_barrier
	s_and_saveexec_b64 s[0:1], vcc
	s_xor_b64 s[16:17], exec, s[0:1]
	s_cbranch_execz .LBB89_82
; %bb.66:
	s_lshl_b64 s[0:1], s[22:23], 3
	s_add_u32 s0, s12, s0
	s_addc_u32 s1, s13, s1
	s_load_dwordx2 s[0:1], s[0:1], 0x0
	s_waitcnt lgkmcnt(0)
	s_sub_u32 s36, s0, s8
	s_subb_u32 s37, s1, s9
	v_cmp_gt_i64_e32 vcc, s[36:37], v[0:1]
	s_and_saveexec_b64 s[38:39], vcc
	s_cbranch_execz .LBB89_81
; %bb.67:
	s_add_u32 s40, s22, -1
	s_addc_u32 s41, s23, -1
	s_add_u32 s2, s22, -2
	s_addc_u32 s3, s23, -1
	s_cmp_lg_u64 s[20:21], s[2:3]
	s_cselect_b64 s[2:3], -1, 0
	s_sub_u32 s42, s0, s28
	v_cndmask_b32_e64 v2, 0, 1, s[2:3]
	s_subb_u32 s43, s1, 0
	s_mov_b64 s[44:45], 0
	v_cmp_ne_u32_e64 s[0:1], 1, v2
	v_mov_b32_e32 v3, 0
	v_mov_b32_e32 v16, 0x2000
	s_mov_b64 s[46:47], 0
	s_branch .LBB89_70
.LBB89_68:                              ;   in Loop: Header=BB89_70 Depth=1
	s_or_b64 exec, exec, s[2:3]
.LBB89_69:                              ;   in Loop: Header=BB89_70 Depth=1
	s_or_b64 exec, exec, s[48:49]
	v_lshl_add_u64 v[6:7], v[6:7], 3, s[18:19]
	global_load_dwordx2 v[6:7], v[6:7], off
	s_add_u32 s46, s46, 0x100
	s_addc_u32 s47, s47, 0
	v_lshlrev_b32_e32 v2, 3, v4
	s_waitcnt lgkmcnt(0)
	v_xor_b32_e32 v4, 0x80000000, v9
	v_mov_b32_e32 v5, v8
	v_lshl_add_u64 v[12:13], s[46:47], 0, v[0:1]
	v_cmp_le_i64_e32 vcc, s[36:37], v[12:13]
	s_or_b64 s[44:45], vcc, s[44:45]
	s_waitcnt vmcnt(0)
	v_pk_mul_f32 v[4:5], v[6:7], v[4:5] op_sel:[1,0]
	s_nop 0
	v_pk_fma_f32 v[4:5], v[8:9], v[6:7], v[4:5] op_sel_hi:[1,0,1]
	ds_write_b64 v2, v[4:5]
	s_andn2_b64 exec, exec, s[44:45]
	s_cbranch_execz .LBB89_81
.LBB89_70:                              ; =>This Loop Header: Depth=1
                                        ;     Child Loop BB89_72 Depth 2
	v_lshl_add_u64 v[8:9], s[46:47], 0, v[10:11]
	s_and_b64 vcc, exec, s[0:1]
	v_mov_b64_e32 v[12:13], s[20:21]
	v_mov_b64_e32 v[14:15], s[40:41]
	s_cbranch_vccnz .LBB89_74
; %bb.71:                               ;   in Loop: Header=BB89_70 Depth=1
	s_mov_b64 s[48:49], 0
	v_mov_b64_e32 v[12:13], s[20:21]
	v_mov_b64_e32 v[14:15], s[40:41]
.LBB89_72:                              ;   Parent Loop BB89_70 Depth=1
                                        ; =>  This Inner Loop Header: Depth=2
	v_lshl_add_u64 v[4:5], v[14:15], 0, v[12:13]
	v_lshrrev_b32_e32 v2, 31, v5
	v_lshl_add_u64 v[4:5], v[4:5], 0, v[2:3]
	v_ashrrev_i64 v[4:5], 1, v[4:5]
	v_lshl_add_u64 v[6:7], v[4:5], 3, s[12:13]
	global_load_dwordx2 v[6:7], v[6:7], off
	s_waitcnt vmcnt(0)
	v_subrev_co_u32_e32 v6, vcc, s28, v6
	s_nop 1
	v_subbrev_co_u32_e32 v7, vcc, 0, v7, vcc
	v_cmp_lt_i64_e32 vcc, v[8:9], v[6:7]
	s_nop 1
	v_cndmask_b32_e32 v15, v15, v5, vcc
	v_cndmask_b32_e32 v14, v14, v4, vcc
	;; [unrolled: 1-line block ×4, first 2 shown]
	v_lshl_add_u64 v[4:5], v[14:15], 0, -1
	v_cmp_ge_i64_e32 vcc, v[12:13], v[14:15]
	v_cmp_eq_u64_e64 s[2:3], v[12:13], v[4:5]
	s_or_b64 s[2:3], vcc, s[2:3]
	s_and_b64 s[2:3], exec, s[2:3]
	s_or_b64 s[48:49], s[2:3], s[48:49]
	s_andn2_b64 exec, exec, s[48:49]
	s_cbranch_execnz .LBB89_72
; %bb.73:                               ;   in Loop: Header=BB89_70 Depth=1
	s_or_b64 exec, exec, s[48:49]
.LBB89_74:                              ;   in Loop: Header=BB89_70 Depth=1
	v_lshl_add_u64 v[4:5], v[14:15], 3, s[12:13]
	global_load_dwordx2 v[6:7], v[4:5], off
	v_lshl_add_u64 v[4:5], v[8:9], 3, s[14:15]
	global_load_dwordx2 v[18:19], v[4:5], off
	v_lshl_add_u64 v[4:5], s[46:47], 0, v[0:1]
	v_cmp_le_i64_e32 vcc, s[42:43], v[8:9]
	v_lshlrev_b32_e32 v2, 3, v4
	s_waitcnt vmcnt(1)
	v_subrev_co_u32_e64 v20, s[2:3], s28, v6
	s_nop 1
	v_subbrev_co_u32_e64 v21, s[2:3], 0, v7, s[2:3]
	s_waitcnt vmcnt(0)
	v_subrev_co_u32_e64 v6, s[2:3], s28, v18
	s_nop 1
	v_subbrev_co_u32_e64 v7, s[2:3], 0, v19, s[2:3]
	v_cmp_lt_i64_e64 s[2:3], v[8:9], v[20:21]
                                        ; implicit-def: $vgpr8_vgpr9
	s_nop 1
	v_cndmask_b32_e64 v13, v15, v13, s[2:3]
	v_cndmask_b32_e64 v12, v14, v12, s[2:3]
	v_cmp_eq_u64_e64 s[2:3], v[6:7], v[12:13]
	s_or_b64 s[2:3], s[2:3], vcc
	s_and_saveexec_b64 s[48:49], s[2:3]
	s_xor_b64 s[2:3], exec, s[48:49]
; %bb.75:                               ;   in Loop: Header=BB89_70 Depth=1
	ds_read_b64 v[8:9], v2
                                        ; implicit-def: $vgpr2
                                        ; implicit-def: $vgpr12_vgpr13
; %bb.76:                               ;   in Loop: Header=BB89_70 Depth=1
	s_andn2_saveexec_b64 s[48:49], s[2:3]
	s_cbranch_execz .LBB89_69
; %bb.77:                               ;   in Loop: Header=BB89_70 Depth=1
	v_cmp_gt_i64_e32 vcc, s[4:5], v[6:7]
	v_cmp_le_i64_e64 s[2:3], s[22:23], v[6:7]
	s_or_b64 s[2:3], vcc, s[2:3]
	v_lshl_add_u64 v[12:13], v[12:13], 3, s[18:19]
                                        ; implicit-def: $vgpr8_vgpr9
	s_and_saveexec_b64 s[50:51], s[2:3]
	s_xor_b64 s[2:3], exec, s[50:51]
	s_cbranch_execz .LBB89_79
; %bb.78:                               ;   in Loop: Header=BB89_70 Depth=1
	global_load_dwordx2 v[12:13], v[12:13], off
	s_waitcnt lgkmcnt(0)
	ds_read_b64 v[8:9], v2
	v_lshl_add_u64 v[14:15], v[6:7], 3, s[24:25]
	s_waitcnt vmcnt(0) lgkmcnt(0)
	v_mul_f32_e64 v2, v13, -v9
	v_mul_f32_e32 v5, v13, v8
	v_fmac_f32_e32 v2, v8, v12
	v_fmac_f32_e32 v5, v9, v12
	global_atomic_add_f32 v[14:15], v2, off
	global_atomic_add_f32 v[14:15], v5, off offset:4
                                        ; implicit-def: $vgpr2
                                        ; implicit-def: $vgpr12_vgpr13
.LBB89_79:                              ;   in Loop: Header=BB89_70 Depth=1
	s_andn2_saveexec_b64 s[2:3], s[2:3]
	s_cbranch_execz .LBB89_68
; %bb.80:                               ;   in Loop: Header=BB89_70 Depth=1
	global_load_dwordx2 v[12:13], v[12:13], off
	s_waitcnt lgkmcnt(0)
	ds_read_b64 v[8:9], v2
	v_subrev_u32_e32 v2, s4, v6
	v_lshl_add_u32 v2, v2, 3, v16
	s_waitcnt vmcnt(0) lgkmcnt(0)
	v_mul_f32_e64 v5, v13, -v9
	v_mul_f32_e32 v13, v13, v8
	v_fmac_f32_e32 v5, v8, v12
	v_fmac_f32_e32 v13, v9, v12
	ds_add_f32 v2, v5
	ds_add_f32 v2, v13 offset:4
	s_branch .LBB89_68
.LBB89_81:
	s_or_b64 exec, exec, s[38:39]
                                        ; implicit-def: $vgpr8_vgpr9
                                        ; implicit-def: $vgpr10_vgpr11
.LBB89_82:
	s_andn2_saveexec_b64 s[16:17], s[16:17]
	s_cbranch_execz .LBB89_124
; %bb.83:
	s_add_u32 s36, s22, -1
	s_addc_u32 s37, s23, -1
	s_add_u32 s0, s22, -2
	s_addc_u32 s1, s23, -1
	s_cmp_lg_u64 s[20:21], s[0:1]
	s_cselect_b64 s[2:3], -1, 0
	s_cmp_eq_u64 s[20:21], s[0:1]
	v_mov_b64_e32 v[4:5], s[20:21]
	v_mov_b64_e32 v[6:7], s[36:37]
	s_cbranch_scc1 .LBB89_87
; %bb.84:
	s_mov_b64 s[38:39], 0
	v_mov_b64_e32 v[4:5], s[20:21]
	v_mov_b64_e32 v[6:7], s[36:37]
	v_mov_b32_e32 v3, 0
.LBB89_85:                              ; =>This Inner Loop Header: Depth=1
	v_lshl_add_u64 v[12:13], v[6:7], 0, v[4:5]
	v_lshrrev_b32_e32 v2, 31, v13
	v_lshl_add_u64 v[12:13], v[12:13], 0, v[2:3]
	v_ashrrev_i64 v[12:13], 1, v[12:13]
	v_lshl_add_u64 v[14:15], v[12:13], 3, s[12:13]
	global_load_dwordx2 v[14:15], v[14:15], off
	s_waitcnt vmcnt(0)
	v_subrev_co_u32_e32 v14, vcc, s28, v14
	s_nop 1
	v_subbrev_co_u32_e32 v15, vcc, 0, v15, vcc
	v_cmp_lt_i64_e32 vcc, v[10:11], v[14:15]
	s_nop 1
	v_cndmask_b32_e32 v7, v7, v13, vcc
	v_cndmask_b32_e32 v6, v6, v12, vcc
	;; [unrolled: 1-line block ×4, first 2 shown]
	v_lshl_add_u64 v[12:13], v[6:7], 0, -1
	v_cmp_ge_i64_e32 vcc, v[4:5], v[6:7]
	v_cmp_eq_u64_e64 s[0:1], v[4:5], v[12:13]
	s_or_b64 s[0:1], vcc, s[0:1]
	s_and_b64 s[0:1], exec, s[0:1]
	s_or_b64 s[38:39], s[0:1], s[38:39]
	s_andn2_b64 exec, exec, s[38:39]
	s_cbranch_execnz .LBB89_85
; %bb.86:
	s_or_b64 exec, exec, s[38:39]
.LBB89_87:
	v_lshl_add_u64 v[2:3], v[6:7], 3, s[12:13]
	global_load_dwordx2 v[12:13], v[2:3], off
	v_lshl_add_u64 v[2:3], v[10:11], 3, s[14:15]
	global_load_dwordx2 v[14:15], v[2:3], off
	s_lshl_b64 s[0:1], s[22:23], 3
	s_add_u32 s14, s12, s0
	s_addc_u32 s15, s13, s1
	s_waitcnt vmcnt(1)
	v_subrev_co_u32_e32 v12, vcc, s28, v12
	s_nop 1
	v_subbrev_co_u32_e32 v13, vcc, 0, v13, vcc
	v_cmp_lt_i64_e32 vcc, v[10:11], v[12:13]
	s_nop 1
	v_cndmask_b32_e32 v7, v7, v5, vcc
	v_cndmask_b32_e32 v6, v6, v4, vcc
	s_waitcnt vmcnt(0)
	v_subrev_co_u32_e32 v4, vcc, s28, v14
	s_nop 1
	v_subbrev_co_u32_e32 v5, vcc, 0, v15, vcc
	v_cmp_ne_u64_e32 vcc, v[4:5], v[6:7]
	s_and_saveexec_b64 s[38:39], vcc
	s_cbranch_execz .LBB89_93
; %bb.88:
	s_load_dwordx2 s[0:1], s[14:15], 0x0
	s_waitcnt lgkmcnt(0)
	s_sub_u32 s0, s0, s28
	s_subb_u32 s1, s1, 0
	v_cmp_gt_i64_e32 vcc, s[0:1], v[10:11]
	s_and_b64 exec, exec, vcc
	s_cbranch_execz .LBB89_93
; %bb.89:
	v_cmp_gt_i64_e32 vcc, s[4:5], v[4:5]
	v_cmp_le_i64_e64 s[0:1], s[22:23], v[4:5]
	s_or_b64 s[0:1], vcc, s[0:1]
	v_lshl_add_u64 v[6:7], v[6:7], 3, s[18:19]
	s_and_saveexec_b64 s[40:41], s[0:1]
	s_xor_b64 s[0:1], exec, s[40:41]
	s_cbranch_execz .LBB89_91
; %bb.90:
	global_load_dwordx2 v[6:7], v[6:7], off
	ds_read_b64 v[12:13], v26
	v_lshl_add_u64 v[14:15], v[4:5], 3, s[24:25]
	s_waitcnt vmcnt(0) lgkmcnt(0)
	v_mul_f32_e64 v16, v7, -v13
	v_mul_f32_e32 v7, v7, v12
	v_fmac_f32_e32 v16, v12, v6
	v_fmac_f32_e32 v7, v13, v6
	global_atomic_add_f32 v[14:15], v16, off
	global_atomic_add_f32 v[14:15], v7, off offset:4
                                        ; implicit-def: $vgpr6_vgpr7
.LBB89_91:
	s_andn2_saveexec_b64 s[0:1], s[0:1]
	s_cbranch_execz .LBB89_93
; %bb.92:
	global_load_dwordx2 v[6:7], v[6:7], off
	ds_read_b64 v[12:13], v26
	v_subrev_u32_e32 v14, s4, v4
	v_mov_b32_e32 v15, 0x2000
	v_lshl_add_u32 v14, v14, 3, v15
	s_waitcnt vmcnt(0) lgkmcnt(0)
	v_mul_f32_e64 v15, v7, -v13
	v_mul_f32_e32 v7, v7, v12
	v_fmac_f32_e32 v15, v12, v6
	v_fmac_f32_e32 v7, v13, v6
	ds_add_f32 v14, v15
	ds_add_f32 v14, v7 offset:4
.LBB89_93:
	s_or_b64 exec, exec, s[38:39]
	v_lshl_add_u64 v[4:5], v[4:5], 3, s[18:19]
	global_load_dwordx2 v[12:13], v[4:5], off
	ds_read_b64 v[14:15], v26
	s_mov_b64 s[0:1], 0x100
	v_cndmask_b32_e64 v16, 0, 1, s[2:3]
	v_lshl_add_u64 v[4:5], v[10:11], 0, s[0:1]
	v_cmp_ne_u32_e64 s[0:1], 1, v16
	s_waitcnt lgkmcnt(0)
	v_xor_b32_e32 v16, 0x80000000, v15
	v_mov_b32_e32 v17, v14
	v_mov_b64_e32 v[6:7], s[20:21]
	s_andn2_b64 vcc, exec, s[2:3]
	s_waitcnt vmcnt(0)
	v_pk_mul_f32 v[16:17], v[12:13], v[16:17] op_sel:[1,0]
	s_nop 0
	v_pk_fma_f32 v[12:13], v[14:15], v[12:13], v[16:17] op_sel_hi:[1,0,1]
	ds_write_b64 v26, v[12:13]
	v_mov_b64_e32 v[12:13], s[36:37]
	s_cbranch_vccnz .LBB89_97
; %bb.94:
	s_mov_b64 s[38:39], 0
	v_mov_b64_e32 v[6:7], s[20:21]
	v_mov_b64_e32 v[12:13], s[36:37]
	v_mov_b32_e32 v15, 0
.LBB89_95:                              ; =>This Inner Loop Header: Depth=1
	v_lshl_add_u64 v[16:17], v[12:13], 0, v[6:7]
	v_lshrrev_b32_e32 v14, 31, v17
	v_lshl_add_u64 v[16:17], v[16:17], 0, v[14:15]
	v_ashrrev_i64 v[16:17], 1, v[16:17]
	v_lshl_add_u64 v[18:19], v[16:17], 3, s[12:13]
	global_load_dwordx2 v[18:19], v[18:19], off
	s_waitcnt vmcnt(0)
	v_subrev_co_u32_e32 v18, vcc, s28, v18
	s_nop 1
	v_subbrev_co_u32_e32 v19, vcc, 0, v19, vcc
	v_cmp_lt_i64_e32 vcc, v[4:5], v[18:19]
	s_nop 1
	v_cndmask_b32_e32 v13, v13, v17, vcc
	v_cndmask_b32_e32 v12, v12, v16, vcc
	;; [unrolled: 1-line block ×4, first 2 shown]
	v_lshl_add_u64 v[16:17], v[12:13], 0, -1
	v_cmp_ge_i64_e32 vcc, v[6:7], v[12:13]
	v_cmp_eq_u64_e64 s[2:3], v[6:7], v[16:17]
	s_or_b64 s[2:3], vcc, s[2:3]
	s_and_b64 s[2:3], exec, s[2:3]
	s_or_b64 s[38:39], s[2:3], s[38:39]
	s_andn2_b64 exec, exec, s[38:39]
	s_cbranch_execnz .LBB89_95
; %bb.96:
	s_or_b64 exec, exec, s[38:39]
.LBB89_97:
	v_lshl_add_u64 v[14:15], v[12:13], 3, s[12:13]
	global_load_dwordx2 v[16:17], v[14:15], off
	global_load_dwordx2 v[18:19], v[2:3], off offset:2048
	s_waitcnt vmcnt(1)
	v_subrev_co_u32_e32 v14, vcc, s28, v16
	s_nop 1
	v_subbrev_co_u32_e32 v15, vcc, 0, v17, vcc
	v_cmp_lt_i64_e32 vcc, v[4:5], v[14:15]
	s_nop 1
	v_cndmask_b32_e32 v13, v13, v7, vcc
	v_cndmask_b32_e32 v12, v12, v6, vcc
	s_waitcnt vmcnt(0)
	v_subrev_co_u32_e32 v6, vcc, s28, v18
	s_nop 1
	v_subbrev_co_u32_e32 v7, vcc, 0, v19, vcc
	v_cmp_ne_u64_e32 vcc, v[6:7], v[12:13]
	s_and_saveexec_b64 s[38:39], vcc
	s_cbranch_execz .LBB89_103
; %bb.98:
	s_load_dwordx2 s[2:3], s[14:15], 0x0
	s_waitcnt lgkmcnt(0)
	s_sub_u32 s2, s2, s28
	s_subb_u32 s3, s3, 0
	v_cmp_gt_i64_e32 vcc, s[2:3], v[4:5]
	s_and_b64 exec, exec, vcc
	s_cbranch_execz .LBB89_103
; %bb.99:
	v_cmp_gt_i64_e32 vcc, s[4:5], v[6:7]
	v_cmp_le_i64_e64 s[2:3], s[22:23], v[6:7]
	s_or_b64 s[2:3], vcc, s[2:3]
	v_lshl_add_u64 v[4:5], v[12:13], 3, s[18:19]
	s_and_saveexec_b64 s[40:41], s[2:3]
	s_xor_b64 s[2:3], exec, s[40:41]
	s_cbranch_execz .LBB89_101
; %bb.100:
	global_load_dwordx2 v[4:5], v[4:5], off
	ds_read_b64 v[12:13], v26 offset:2048
	v_lshl_add_u64 v[14:15], v[6:7], 3, s[24:25]
	s_waitcnt vmcnt(0) lgkmcnt(0)
	v_mul_f32_e64 v16, v5, -v13
	v_mul_f32_e32 v5, v5, v12
	v_fmac_f32_e32 v16, v12, v4
	v_fmac_f32_e32 v5, v13, v4
	global_atomic_add_f32 v[14:15], v16, off
	global_atomic_add_f32 v[14:15], v5, off offset:4
                                        ; implicit-def: $vgpr4_vgpr5
.LBB89_101:
	s_andn2_saveexec_b64 s[2:3], s[2:3]
	s_cbranch_execz .LBB89_103
; %bb.102:
	global_load_dwordx2 v[4:5], v[4:5], off
	ds_read_b64 v[12:13], v26 offset:2048
	v_subrev_u32_e32 v14, s4, v6
	v_mov_b32_e32 v15, 0x2000
	v_lshl_add_u32 v14, v14, 3, v15
	s_waitcnt vmcnt(0) lgkmcnt(0)
	v_mul_f32_e64 v15, v5, -v13
	v_mul_f32_e32 v5, v5, v12
	v_fmac_f32_e32 v15, v12, v4
	v_fmac_f32_e32 v5, v13, v4
	ds_add_f32 v14, v15
	ds_add_f32 v14, v5 offset:4
.LBB89_103:
	s_or_b64 exec, exec, s[38:39]
	v_lshl_add_u64 v[4:5], v[6:7], 3, s[18:19]
	global_load_dwordx2 v[12:13], v[4:5], off
	ds_read_b64 v[14:15], v26 offset:2048
	s_mov_b64 s[2:3], 0x200
	v_lshl_add_u64 v[4:5], v[10:11], 0, s[2:3]
	s_and_b64 vcc, exec, s[0:1]
	v_mov_b64_e32 v[6:7], s[20:21]
	s_waitcnt lgkmcnt(0)
	v_xor_b32_e32 v10, 0x80000000, v15
	v_mov_b32_e32 v11, v14
	s_waitcnt vmcnt(0)
	v_pk_mul_f32 v[10:11], v[12:13], v[10:11] op_sel:[1,0]
	s_nop 0
	v_pk_fma_f32 v[10:11], v[14:15], v[12:13], v[10:11] op_sel_hi:[1,0,1]
	ds_write_b64 v26, v[10:11] offset:2048
	v_mov_b64_e32 v[10:11], s[36:37]
	s_cbranch_vccnz .LBB89_107
; %bb.104:
	s_mov_b64 s[38:39], 0
	v_mov_b64_e32 v[6:7], s[20:21]
	v_mov_b64_e32 v[10:11], s[36:37]
	v_mov_b32_e32 v13, 0
.LBB89_105:                             ; =>This Inner Loop Header: Depth=1
	v_lshl_add_u64 v[14:15], v[10:11], 0, v[6:7]
	v_lshrrev_b32_e32 v12, 31, v15
	v_lshl_add_u64 v[14:15], v[14:15], 0, v[12:13]
	v_ashrrev_i64 v[14:15], 1, v[14:15]
	v_lshl_add_u64 v[16:17], v[14:15], 3, s[12:13]
	global_load_dwordx2 v[16:17], v[16:17], off
	s_waitcnt vmcnt(0)
	v_subrev_co_u32_e32 v16, vcc, s28, v16
	s_nop 1
	v_subbrev_co_u32_e32 v17, vcc, 0, v17, vcc
	v_cmp_lt_i64_e32 vcc, v[4:5], v[16:17]
	s_nop 1
	v_cndmask_b32_e32 v11, v11, v15, vcc
	v_cndmask_b32_e32 v10, v10, v14, vcc
	;; [unrolled: 1-line block ×4, first 2 shown]
	v_lshl_add_u64 v[14:15], v[10:11], 0, -1
	v_cmp_ge_i64_e32 vcc, v[6:7], v[10:11]
	v_cmp_eq_u64_e64 s[2:3], v[6:7], v[14:15]
	s_or_b64 s[2:3], vcc, s[2:3]
	s_and_b64 s[2:3], exec, s[2:3]
	s_or_b64 s[38:39], s[2:3], s[38:39]
	s_andn2_b64 exec, exec, s[38:39]
	s_cbranch_execnz .LBB89_105
; %bb.106:
	s_or_b64 exec, exec, s[38:39]
.LBB89_107:
	v_lshl_add_u64 v[12:13], v[10:11], 3, s[12:13]
	global_load_dwordx2 v[12:13], v[12:13], off
	v_add_co_u32_e32 v14, vcc, 0x1000, v2
	s_nop 1
	v_addc_co_u32_e32 v15, vcc, 0, v3, vcc
	global_load_dwordx2 v[14:15], v[14:15], off
	s_waitcnt vmcnt(1)
	v_subrev_co_u32_e32 v12, vcc, s28, v12
	s_nop 1
	v_subbrev_co_u32_e32 v13, vcc, 0, v13, vcc
	v_cmp_lt_i64_e32 vcc, v[4:5], v[12:13]
	s_nop 1
	v_cndmask_b32_e32 v11, v11, v7, vcc
	v_cndmask_b32_e32 v10, v10, v6, vcc
	s_waitcnt vmcnt(0)
	v_subrev_co_u32_e32 v6, vcc, s28, v14
	s_nop 1
	v_subbrev_co_u32_e32 v7, vcc, 0, v15, vcc
	v_cmp_ne_u64_e32 vcc, v[6:7], v[10:11]
	s_and_saveexec_b64 s[38:39], vcc
	s_cbranch_execz .LBB89_113
; %bb.108:
	s_load_dwordx2 s[2:3], s[14:15], 0x0
	s_waitcnt lgkmcnt(0)
	s_sub_u32 s2, s2, s28
	s_subb_u32 s3, s3, 0
	v_cmp_gt_i64_e32 vcc, s[2:3], v[4:5]
	s_and_b64 exec, exec, vcc
	s_cbranch_execz .LBB89_113
; %bb.109:
	v_cmp_gt_i64_e32 vcc, s[4:5], v[6:7]
	v_cmp_le_i64_e64 s[2:3], s[22:23], v[6:7]
	s_or_b64 s[2:3], vcc, s[2:3]
	v_lshl_add_u64 v[4:5], v[10:11], 3, s[18:19]
	s_and_saveexec_b64 s[40:41], s[2:3]
	s_xor_b64 s[2:3], exec, s[40:41]
	s_cbranch_execz .LBB89_111
; %bb.110:
	global_load_dwordx2 v[4:5], v[4:5], off
	ds_read_b64 v[10:11], v26 offset:4096
	v_lshl_add_u64 v[12:13], v[6:7], 3, s[24:25]
	s_waitcnt vmcnt(0) lgkmcnt(0)
	v_mul_f32_e64 v14, v5, -v11
	v_mul_f32_e32 v5, v5, v10
	v_fmac_f32_e32 v14, v10, v4
	v_fmac_f32_e32 v5, v11, v4
	global_atomic_add_f32 v[12:13], v14, off
	global_atomic_add_f32 v[12:13], v5, off offset:4
                                        ; implicit-def: $vgpr4_vgpr5
.LBB89_111:
	s_andn2_saveexec_b64 s[2:3], s[2:3]
	s_cbranch_execz .LBB89_113
; %bb.112:
	global_load_dwordx2 v[4:5], v[4:5], off
	ds_read_b64 v[10:11], v26 offset:4096
	v_subrev_u32_e32 v12, s4, v6
	v_mov_b32_e32 v13, 0x2000
	v_lshl_add_u32 v12, v12, 3, v13
	s_waitcnt vmcnt(0) lgkmcnt(0)
	v_mul_f32_e64 v13, v5, -v11
	v_mul_f32_e32 v5, v5, v10
	v_fmac_f32_e32 v13, v10, v4
	v_fmac_f32_e32 v5, v11, v4
	ds_add_f32 v12, v13
	ds_add_f32 v12, v5 offset:4
.LBB89_113:
	s_or_b64 exec, exec, s[38:39]
	v_lshl_add_u64 v[4:5], v[6:7], 3, s[18:19]
	global_load_dwordx2 v[6:7], v[4:5], off
	ds_read_b64 v[10:11], v26 offset:4096
	s_and_b64 vcc, exec, s[0:1]
	v_mov_b64_e32 v[4:5], s[20:21]
	s_waitcnt lgkmcnt(0)
	v_xor_b32_e32 v12, 0x80000000, v11
	v_mov_b32_e32 v13, v10
	s_waitcnt vmcnt(0)
	v_pk_mul_f32 v[12:13], v[6:7], v[12:13] op_sel:[1,0]
	s_nop 0
	v_pk_fma_f32 v[6:7], v[10:11], v[6:7], v[12:13] op_sel_hi:[1,0,1]
	ds_write_b64 v26, v[6:7] offset:4096
	v_mov_b64_e32 v[6:7], s[36:37]
	s_cbranch_vccnz .LBB89_117
; %bb.114:
	s_mov_b64 s[2:3], 0
	v_mov_b64_e32 v[4:5], s[20:21]
	v_mov_b64_e32 v[6:7], s[36:37]
	v_mov_b32_e32 v11, 0
.LBB89_115:                             ; =>This Inner Loop Header: Depth=1
	v_lshl_add_u64 v[12:13], v[6:7], 0, v[4:5]
	v_lshrrev_b32_e32 v10, 31, v13
	v_lshl_add_u64 v[12:13], v[12:13], 0, v[10:11]
	v_ashrrev_i64 v[12:13], 1, v[12:13]
	v_lshl_add_u64 v[14:15], v[12:13], 3, s[12:13]
	global_load_dwordx2 v[14:15], v[14:15], off
	s_waitcnt vmcnt(0)
	v_subrev_co_u32_e32 v14, vcc, s28, v14
	s_nop 1
	v_subbrev_co_u32_e32 v15, vcc, 0, v15, vcc
	v_cmp_lt_i64_e32 vcc, v[8:9], v[14:15]
	s_nop 1
	v_cndmask_b32_e32 v7, v7, v13, vcc
	v_cndmask_b32_e32 v6, v6, v12, vcc
	;; [unrolled: 1-line block ×4, first 2 shown]
	v_lshl_add_u64 v[12:13], v[6:7], 0, -1
	v_cmp_ge_i64_e32 vcc, v[4:5], v[6:7]
	v_cmp_eq_u64_e64 s[0:1], v[4:5], v[12:13]
	s_or_b64 s[0:1], vcc, s[0:1]
	s_and_b64 s[0:1], exec, s[0:1]
	s_or_b64 s[2:3], s[0:1], s[2:3]
	s_andn2_b64 exec, exec, s[2:3]
	s_cbranch_execnz .LBB89_115
; %bb.116:
	s_or_b64 exec, exec, s[2:3]
.LBB89_117:
	v_lshl_add_u64 v[10:11], v[6:7], 3, s[12:13]
	global_load_dwordx2 v[10:11], v[10:11], off
	v_add_co_u32_e32 v2, vcc, 0x1000, v2
	s_nop 1
	v_addc_co_u32_e32 v3, vcc, 0, v3, vcc
	global_load_dwordx2 v[2:3], v[2:3], off offset:2048
	s_waitcnt vmcnt(1)
	v_subrev_co_u32_e32 v10, vcc, s28, v10
	s_nop 1
	v_subbrev_co_u32_e32 v11, vcc, 0, v11, vcc
	v_cmp_lt_i64_e32 vcc, v[8:9], v[10:11]
	s_nop 1
	v_cndmask_b32_e32 v5, v7, v5, vcc
	v_cndmask_b32_e32 v4, v6, v4, vcc
	s_waitcnt vmcnt(0)
	v_subrev_co_u32_e32 v2, vcc, s28, v2
	s_nop 1
	v_subbrev_co_u32_e32 v3, vcc, 0, v3, vcc
	v_cmp_ne_u64_e32 vcc, v[2:3], v[4:5]
	s_and_saveexec_b64 s[2:3], vcc
	s_cbranch_execz .LBB89_123
; %bb.118:
	s_load_dwordx2 s[0:1], s[14:15], 0x0
	s_waitcnt lgkmcnt(0)
	s_sub_u32 s0, s0, s28
	s_subb_u32 s1, s1, 0
	v_cmp_gt_i64_e32 vcc, s[0:1], v[8:9]
	s_and_b64 exec, exec, vcc
	s_cbranch_execz .LBB89_123
; %bb.119:
	v_cmp_gt_i64_e32 vcc, s[4:5], v[2:3]
	v_cmp_le_i64_e64 s[0:1], s[22:23], v[2:3]
	s_or_b64 s[0:1], vcc, s[0:1]
	v_lshl_add_u64 v[4:5], v[4:5], 3, s[18:19]
	s_and_saveexec_b64 s[14:15], s[0:1]
	s_xor_b64 s[0:1], exec, s[14:15]
	s_cbranch_execz .LBB89_121
; %bb.120:
	global_load_dwordx2 v[4:5], v[4:5], off
	ds_read_b64 v[6:7], v26 offset:6144
	v_lshl_add_u64 v[8:9], v[2:3], 3, s[24:25]
	s_waitcnt vmcnt(0) lgkmcnt(0)
	v_mul_f32_e64 v10, v5, -v7
	v_mul_f32_e32 v5, v5, v6
	v_fmac_f32_e32 v10, v6, v4
	v_fmac_f32_e32 v5, v7, v4
	global_atomic_add_f32 v[8:9], v10, off
	global_atomic_add_f32 v[8:9], v5, off offset:4
                                        ; implicit-def: $vgpr4_vgpr5
.LBB89_121:
	s_andn2_saveexec_b64 s[0:1], s[0:1]
	s_cbranch_execz .LBB89_123
; %bb.122:
	global_load_dwordx2 v[4:5], v[4:5], off
	ds_read_b64 v[6:7], v26 offset:6144
	v_subrev_u32_e32 v8, s4, v2
	v_mov_b32_e32 v9, 0x2000
	v_lshl_add_u32 v8, v8, 3, v9
	s_waitcnt vmcnt(0) lgkmcnt(0)
	v_mul_f32_e64 v9, v5, -v7
	v_mul_f32_e32 v5, v5, v6
	v_fmac_f32_e32 v9, v6, v4
	v_fmac_f32_e32 v5, v7, v4
	ds_add_f32 v8, v9
	ds_add_f32 v8, v5 offset:4
.LBB89_123:
	s_or_b64 exec, exec, s[2:3]
	v_lshl_add_u64 v[2:3], v[2:3], 3, s[18:19]
	global_load_dwordx2 v[2:3], v[2:3], off
	ds_read_b64 v[4:5], v26 offset:6144
	s_waitcnt lgkmcnt(0)
	v_xor_b32_e32 v6, 0x80000000, v5
	v_mov_b32_e32 v7, v4
	s_waitcnt vmcnt(0)
	v_pk_mul_f32 v[6:7], v[2:3], v[6:7] op_sel:[1,0]
	s_nop 0
	v_pk_fma_f32 v[2:3], v[4:5], v[2:3], v[6:7] op_sel_hi:[1,0,1]
	ds_write_b64 v26, v[2:3] offset:6144
.LBB89_124:
	s_or_b64 exec, exec, s[16:17]
	v_mov_b64_e32 v[2:3], s[6:7]
	v_cmp_lt_i64_e32 vcc, s[22:23], v[2:3]
	s_and_b64 s[0:1], vcc, exec
	s_cselect_b32 s16, s22, s6
	s_cselect_b32 s0, s23, s7
	s_sub_u32 s2, s16, s26
	s_subb_u32 s3, s0, s27
	v_cmp_gt_i64_e32 vcc, s[2:3], v[0:1]
	s_waitcnt lgkmcnt(0)
	s_barrier
	s_and_saveexec_b64 s[0:1], vcc
	s_cbranch_execz .LBB89_127
; %bb.125:
	v_mov_b64_e32 v[2:3], s[6:7]
	v_cmp_gt_i64_e32 vcc, s[22:23], v[2:3]
	s_and_b64 s[4:5], vcc, exec
	s_cselect_b32 s5, s23, s7
	s_cselect_b32 s4, s22, s6
	v_lshlrev_b32_e32 v2, 3, v0
	v_mov_b32_e32 v3, 0
	v_lshl_add_u64 v[2:3], s[4:5], 3, v[2:3]
	s_lshl_b64 s[4:5], s[6:7], 3
	v_mov_b32_e32 v4, s5
	v_subrev_co_u32_e32 v2, vcc, s4, v2
	v_or_b32_e32 v2, 4, v2
	s_nop 0
	v_subb_co_u32_e32 v3, vcc, v3, v4, vcc
	v_mov_b32_e32 v4, 0x2000
	v_lshl_add_u64 v[2:3], s[24:25], 0, v[2:3]
	v_lshl_add_u32 v6, v0, 3, v4
	s_mov_b64 s[4:5], 0
	s_mov_b64 s[6:7], 0x100
	;; [unrolled: 1-line block ×3, first 2 shown]
	v_mov_b64_e32 v[4:5], v[0:1]
.LBB89_126:                             ; =>This Inner Loop Header: Depth=1
	ds_read2_b32 v[8:9], v6 offset1:1
	v_lshl_add_u64 v[4:5], v[4:5], 0, s[6:7]
	v_cmp_le_i64_e32 vcc, s[2:3], v[4:5]
	v_add_u32_e32 v6, 0x800, v6
	s_or_b64 s[4:5], vcc, s[4:5]
	s_waitcnt lgkmcnt(0)
	global_atomic_add_f32 v[2:3], v8, off offset:-4
	global_atomic_add_f32 v[2:3], v9, off
	v_lshl_add_u64 v[2:3], v[2:3], 0, s[14:15]
	s_andn2_b64 exec, exec, s[4:5]
	s_cbranch_execnz .LBB89_126
.LBB89_127:
	s_or_b64 exec, exec, s[0:1]
	s_add_i32 s0, s34, -1
	s_ashr_i32 s1, s0, 1
	s_or_b32 s0, s1, s0
	s_ashr_i32 s1, s0, 2
	s_or_b32 s0, s1, s0
	;; [unrolled: 2-line block ×5, first 2 shown]
	s_add_i32 s0, s0, 1
	s_ashr_i32 s3, s0, 1
	v_lshl_add_u64 v[6:7], s[20:21], 0, v[0:1]
	s_cmp_gt_i32 s3, 1
	s_mov_b64 s[0:1], -1
	s_barrier
	s_cbranch_scc1 .LBB89_136
; %bb.128:
	v_cmp_gt_i64_e32 vcc, s[22:23], v[6:7]
	s_and_saveexec_b64 s[0:1], vcc
	s_cbranch_execz .LBB89_135
; %bb.129:
	s_sub_i32 s4, s16, s22
	s_lshl_b32 s4, s4, 3
	s_add_i32 s16, s4, 0x2000
	s_lshl_b32 s4, s8, 3
	s_sub_i32 s17, 0, s4
	s_mov_b64 s[4:5], 0
	v_mov_b64_e32 v[8:9], v[6:7]
	s_branch .LBB89_131
.LBB89_130:                             ;   in Loop: Header=BB89_131 Depth=1
	s_or_b64 exec, exec, s[6:7]
	v_lshl_add_u32 v2, v8, 3, s16
	ds_read2_b32 v[2:3], v2 offset1:1
	s_waitcnt lgkmcnt(0)
	v_add_f32_e32 v4, v10, v2
	v_add_f32_e32 v5, v11, v3
	v_lshl_add_u64 v[2:3], v[8:9], 3, s[24:25]
	global_atomic_add_f32 v[2:3], v4, off
	global_atomic_add_f32 v[2:3], v5, off offset:4
	v_lshl_add_u64 v[8:9], v[8:9], 0, s[30:31]
	v_cmp_le_i64_e32 vcc, s[22:23], v[8:9]
	s_or_b64 s[4:5], vcc, s[4:5]
	s_andn2_b64 exec, exec, s[4:5]
	s_cbranch_execz .LBB89_135
.LBB89_131:                             ; =>This Loop Header: Depth=1
                                        ;     Child Loop BB89_133 Depth 2
	v_lshl_add_u64 v[2:3], v[8:9], 3, s[12:13]
	global_load_dwordx4 v[2:5], v[2:3], off
	v_mov_b32_e32 v11, 0
	v_mov_b32_e32 v10, v11
	s_waitcnt vmcnt(0)
	v_cmp_lt_i64_e32 vcc, v[2:3], v[4:5]
	s_and_saveexec_b64 s[6:7], vcc
	s_cbranch_execz .LBB89_130
; %bb.132:                              ;   in Loop: Header=BB89_131 Depth=1
	v_mov_b32_e32 v10, s9
	v_subrev_co_u32_e32 v4, vcc, s8, v4
	s_mov_b64 s[14:15], 0
	s_nop 0
	v_subb_co_u32_e32 v5, vcc, v5, v10, vcc
	v_subrev_co_u32_e32 v12, vcc, s8, v2
	v_lshl_add_u32 v2, v2, 3, s17
	s_nop 0
	v_subb_co_u32_e32 v13, vcc, v3, v10, vcc
	v_mov_b32_e32 v10, 0
	v_mov_b32_e32 v11, v10
.LBB89_133:                             ;   Parent Loop BB89_131 Depth=1
                                        ; =>  This Inner Loop Header: Depth=2
	ds_read_b64 v[14:15], v2
	v_lshl_add_u64 v[12:13], v[12:13], 0, 1
	v_cmp_ge_i64_e32 vcc, v[12:13], v[4:5]
	v_add_u32_e32 v2, 8, v2
	s_or_b64 s[14:15], vcc, s[14:15]
	s_waitcnt lgkmcnt(0)
	v_pk_add_f32 v[10:11], v[10:11], v[14:15]
	s_andn2_b64 exec, exec, s[14:15]
	s_cbranch_execnz .LBB89_133
; %bb.134:                              ;   in Loop: Header=BB89_131 Depth=1
	s_or_b64 exec, exec, s[14:15]
	s_branch .LBB89_130
.LBB89_135:
	s_or_b64 exec, exec, s[0:1]
	s_mov_b64 s[0:1], 0
.LBB89_136:
	s_andn2_b64 vcc, exec, s[0:1]
	s_cbranch_vccnz .LBB89_153
; %bb.137:
	v_cvt_f32_u32_e32 v2, s3
	s_sub_i32 s12, 0, s3
	v_mov_b32_e32 v5, 0
	v_mov_b32_e32 v12, s9
	v_rcp_iflag_f32_e32 v2, v2
	s_nop 0
	v_mul_f32_e32 v2, 0x4f7ffffe, v2
	v_cvt_u32_f32_e32 v2, v2
	v_mul_lo_u32 v3, s12, v2
	v_mul_hi_u32 v3, v2, v3
	v_add_u32_e32 v2, v2, v3
	v_mul_hi_u32 v2, v0, v2
	v_mul_lo_u32 v3, v2, s3
	v_sub_u32_e32 v3, v0, v3
	v_add_u32_e32 v4, 1, v2
	v_cmp_le_u32_e32 vcc, s3, v3
	s_nop 1
	v_cndmask_b32_e32 v2, v2, v4, vcc
	v_subrev_u32_e32 v4, s3, v3
	v_cndmask_b32_e32 v3, v3, v4, vcc
	v_add_u32_e32 v4, 1, v2
	v_cmp_le_u32_e32 vcc, s3, v3
	s_nop 1
	v_cndmask_b32_e32 v4, v2, v4, vcc
	v_lshl_add_u64 v[2:3], v[4:5], 3, s[10:11]
	global_load_dwordx4 v[8:11], v[2:3], off
	v_mov_b32_e32 v3, s9
	s_waitcnt vmcnt(0)
	v_subrev_co_u32_e32 v2, vcc, s8, v8
	s_nop 1
	v_subb_co_u32_e32 v3, vcc, v9, v3, vcc
	v_subrev_co_u32_e32 v14, vcc, s8, v10
	v_mov_b32_e32 v10, v5
	s_nop 0
	v_subb_co_u32_e32 v15, vcc, v11, v12, vcc
	v_sub_co_u32_e32 v8, vcc, v14, v2
	s_nop 1
	v_subb_co_u32_e32 v9, vcc, v15, v3, vcc
	v_mov_b32_e32 v11, v9
	v_cmp_ne_u64_e32 vcc, 0, v[10:11]
                                        ; implicit-def: $vgpr10_vgpr11
	s_and_saveexec_b64 s[0:1], vcc
	s_xor_b64 s[4:5], exec, s[0:1]
	s_cbranch_execz .LBB89_139
; %bb.138:
	s_add_u32 s0, s3, 0
	s_addc_u32 s1, 0, 0
	s_xor_b64 s[6:7], s[0:1], 0
	v_cvt_f32_u32_e32 v10, s6
	v_cvt_f32_u32_e32 v11, s7
	s_sub_u32 s8, 0, s6
	s_subb_u32 s9, 0, s7
	v_ashrrev_i32_e32 v12, 31, v9
	v_fmamk_f32 v10, v11, 0x4f800000, v10
	v_rcp_f32_e32 v10, v10
	v_mov_b32_e32 v13, v12
	v_lshl_add_u64 v[8:9], v[8:9], 0, v[12:13]
	v_xor_b32_e32 v18, v8, v12
	v_mul_f32_e32 v10, 0x5f7ffffc, v10
	v_mul_f32_e32 v11, 0x2f800000, v10
	v_trunc_f32_e32 v11, v11
	v_fmamk_f32 v10, v11, 0xcf800000, v10
	v_cvt_u32_f32_e32 v11, v11
	v_cvt_u32_f32_e32 v10, v10
	v_xor_b32_e32 v13, v9, v12
	v_readfirstlane_b32 s10, v11
	v_readfirstlane_b32 s0, v10
	s_mul_i32 s1, s8, s10
	s_mul_hi_u32 s13, s8, s0
	s_mul_i32 s11, s9, s0
	s_add_i32 s1, s13, s1
	s_mul_i32 s14, s8, s0
	s_add_i32 s1, s1, s11
	s_mul_i32 s13, s0, s1
	s_mul_hi_u32 s15, s0, s14
	s_mul_hi_u32 s11, s0, s1
	s_add_u32 s13, s15, s13
	s_addc_u32 s11, 0, s11
	s_mul_hi_u32 s16, s10, s14
	s_mul_i32 s14, s10, s14
	s_add_u32 s13, s13, s14
	s_mul_hi_u32 s15, s10, s1
	s_addc_u32 s11, s11, s16
	s_addc_u32 s13, s15, 0
	s_mul_i32 s1, s10, s1
	s_add_u32 s1, s11, s1
	s_addc_u32 s11, 0, s13
	s_add_u32 s13, s0, s1
	s_cselect_b64 s[0:1], -1, 0
	s_cmp_lg_u64 s[0:1], 0
	s_addc_u32 s10, s10, s11
	s_mul_i32 s0, s8, s10
	s_mul_hi_u32 s1, s8, s13
	s_add_i32 s0, s1, s0
	s_mul_i32 s9, s9, s13
	s_add_i32 s0, s0, s9
	s_mul_i32 s8, s8, s13
	s_mul_hi_u32 s9, s10, s8
	s_mul_i32 s11, s10, s8
	s_mul_i32 s15, s13, s0
	s_mul_hi_u32 s8, s13, s8
	s_mul_hi_u32 s14, s13, s0
	s_add_u32 s8, s8, s15
	s_addc_u32 s14, 0, s14
	s_add_u32 s8, s8, s11
	s_mul_hi_u32 s1, s10, s0
	s_addc_u32 s8, s14, s9
	s_addc_u32 s1, s1, 0
	s_mul_i32 s0, s10, s0
	s_add_u32 s0, s8, s0
	s_addc_u32 s8, 0, s1
	s_add_u32 s9, s13, s0
	s_cselect_b64 s[0:1], -1, 0
	s_cmp_lg_u64 s[0:1], 0
	s_addc_u32 s8, s10, s8
	v_mad_u64_u32 v[8:9], s[0:1], v18, s8, 0
	v_mul_hi_u32 v10, v18, s9
	v_mov_b32_e32 v11, v5
	v_lshl_add_u64 v[8:9], v[10:11], 0, v[8:9]
	v_mad_u64_u32 v[16:17], s[0:1], v13, s9, 0
	v_add_co_u32_e32 v8, vcc, v8, v16
	v_mad_u64_u32 v[10:11], s[0:1], v13, s8, 0
	s_nop 0
	v_addc_co_u32_e32 v8, vcc, v9, v17, vcc
	v_mov_b32_e32 v9, v5
	s_nop 0
	v_addc_co_u32_e32 v11, vcc, 0, v11, vcc
	v_lshl_add_u64 v[8:9], v[8:9], 0, v[10:11]
	v_mul_lo_u32 v16, s7, v8
	v_mul_lo_u32 v17, s6, v9
	v_mad_u64_u32 v[10:11], s[0:1], s6, v8, 0
	v_add3_u32 v19, v11, v17, v16
	v_sub_u32_e32 v11, v13, v19
	v_mov_b32_e32 v16, s7
	v_sub_co_u32_e32 v18, vcc, v18, v10
	s_nop 1
	v_subb_co_u32_e64 v10, s[0:1], v11, v16, vcc
	v_subrev_co_u32_e64 v11, s[0:1], s6, v18
	v_subb_co_u32_e32 v13, vcc, v13, v19, vcc
	s_nop 0
	v_subbrev_co_u32_e64 v10, s[0:1], 0, v10, s[0:1]
	v_cmp_le_u32_e64 s[0:1], s7, v10
	v_cmp_le_u32_e32 vcc, s7, v13
	s_nop 0
	v_cndmask_b32_e64 v16, 0, -1, s[0:1]
	v_cmp_le_u32_e64 s[0:1], s6, v11
	s_nop 1
	v_cndmask_b32_e64 v11, 0, -1, s[0:1]
	v_cmp_eq_u32_e64 s[0:1], s7, v10
	s_nop 1
	v_cndmask_b32_e64 v20, v16, v11, s[0:1]
	v_lshl_add_u64 v[10:11], v[8:9], 0, 2
	v_lshl_add_u64 v[16:17], v[8:9], 0, 1
	v_cmp_ne_u32_e64 s[0:1], 0, v20
	s_nop 1
	v_cndmask_b32_e64 v11, v17, v11, s[0:1]
	v_cndmask_b32_e64 v17, 0, -1, vcc
	v_cmp_le_u32_e32 vcc, s6, v18
	v_cndmask_b32_e64 v10, v16, v10, s[0:1]
	s_nop 0
	v_cndmask_b32_e64 v18, 0, -1, vcc
	v_cmp_eq_u32_e32 vcc, s7, v13
	s_nop 1
	v_cndmask_b32_e32 v13, v17, v18, vcc
	v_cmp_ne_u32_e32 vcc, 0, v13
	s_nop 1
	v_cndmask_b32_e32 v8, v8, v10, vcc
	v_cndmask_b32_e32 v9, v9, v11, vcc
	v_xor_b32_e32 v8, v8, v12
	v_xor_b32_e32 v9, v9, v12
	v_sub_co_u32_e32 v10, vcc, v8, v12
                                        ; implicit-def: $vgpr8
	s_nop 1
	v_subb_co_u32_e32 v11, vcc, v9, v12, vcc
.LBB89_139:
	s_andn2_saveexec_b64 s[0:1], s[4:5]
	s_cbranch_execz .LBB89_141
; %bb.140:
	v_cvt_f32_u32_e32 v9, s3
	v_rcp_iflag_f32_e32 v9, v9
	s_nop 0
	v_mul_f32_e32 v9, 0x4f7ffffe, v9
	v_cvt_u32_f32_e32 v9, v9
	v_mul_lo_u32 v10, s12, v9
	v_mul_hi_u32 v10, v9, v10
	v_add_u32_e32 v9, v9, v10
	v_mul_hi_u32 v9, v8, v9
	v_mul_lo_u32 v10, v9, s3
	v_sub_u32_e32 v8, v8, v10
	v_add_u32_e32 v11, 1, v9
	v_subrev_u32_e32 v10, s3, v8
	v_cmp_le_u32_e32 vcc, s3, v8
	s_nop 1
	v_cndmask_b32_e32 v8, v8, v10, vcc
	v_cndmask_b32_e32 v9, v9, v11, vcc
	v_add_u32_e32 v10, 1, v9
	v_cmp_le_u32_e32 vcc, s3, v8
	v_mov_b32_e32 v11, 0
	s_nop 0
	v_cndmask_b32_e32 v10, v9, v10, vcc
.LBB89_141:
	s_or_b64 exec, exec, s[0:1]
	v_cmp_gt_i64_e32 vcc, s[26:27], v[4:5]
	v_mov_b32_e32 v5, 0
	v_mov_b32_e32 v4, 0
	s_and_saveexec_b64 s[0:1], vcc
	s_cbranch_execz .LBB89_149
; %bb.142:
	s_add_i32 s4, s3, -1
	v_and_b32_e32 v8, s4, v0
	v_mov_b32_e32 v5, 0
	s_mov_b64 s[4:5], 0
	v_cmp_lt_i64_e32 vcc, 0, v[10:11]
	v_lshlrev_b32_e32 v16, 3, v8
	v_mov_b32_e32 v4, v5
	s_and_saveexec_b64 s[6:7], vcc
	s_cbranch_execz .LBB89_146
; %bb.143:
	v_mov_b32_e32 v4, 0
	v_lshl_add_u32 v9, v2, 3, v16
	s_lshl_b32 s8, s3, 3
	v_mov_b64_e32 v[12:13], v[10:11]
	v_mov_b32_e32 v5, v4
.LBB89_144:                             ; =>This Inner Loop Header: Depth=1
	ds_read_b64 v[18:19], v9
	v_lshl_add_u64 v[12:13], v[12:13], 0, -1
	v_cmp_eq_u64_e32 vcc, 0, v[12:13]
	v_add_u32_e32 v9, s8, v9
	s_or_b64 s[4:5], vcc, s[4:5]
	s_waitcnt lgkmcnt(0)
	v_pk_add_f32 v[4:5], v[4:5], v[18:19]
	s_andn2_b64 exec, exec, s[4:5]
	s_cbranch_execnz .LBB89_144
; %bb.145:
	s_or_b64 exec, exec, s[4:5]
.LBB89_146:
	s_or_b64 exec, exec, s[6:7]
	v_mad_u64_u32 v[2:3], s[4:5], v10, s3, v[2:3]
	v_mov_b32_e32 v10, v3
	v_mad_u64_u32 v[10:11], s[4:5], v11, s3, v[10:11]
	v_sub_co_u32_e32 v12, vcc, v14, v2
	v_mov_b32_e32 v9, 0
	s_nop 0
	v_subb_co_u32_e32 v13, vcc, v15, v10, vcc
	v_cmp_gt_i64_e32 vcc, v[12:13], v[8:9]
	s_and_saveexec_b64 s[4:5], vcc
	s_cbranch_execz .LBB89_148
; %bb.147:
	v_lshl_add_u32 v2, v2, 3, v16
	ds_read_b64 v[2:3], v2
	s_waitcnt lgkmcnt(0)
	v_pk_add_f32 v[4:5], v[4:5], v[2:3]
.LBB89_148:
	s_or_b64 exec, exec, s[4:5]
.LBB89_149:
	s_or_b64 exec, exec, s[0:1]
	v_cmp_gt_i64_e32 vcc, s[26:27], v[0:1]
	s_barrier
	ds_write_b64 v26, v[4:5]
	s_waitcnt lgkmcnt(0)
	s_barrier
	s_and_b64 exec, exec, vcc
	s_cbranch_execz .LBB89_153
; %bb.150:
	v_mul_lo_u32 v1, s3, v0
	v_mov_b32_e32 v2, 0
	v_lshlrev_b32_e32 v1, 3, v1
	v_mov_b32_e32 v3, v2
.LBB89_151:                             ; =>This Inner Loop Header: Depth=1
	ds_read_b64 v[4:5], v1
	s_add_i32 s3, s3, -1
	v_add_u32_e32 v1, 8, v1
	s_cmp_eq_u32 s3, 0
	s_waitcnt lgkmcnt(0)
	v_pk_add_f32 v[2:3], v[2:3], v[4:5]
	s_cbranch_scc0 .LBB89_151
; %bb.152:
	s_lshl_b32 s0, s2, 3
	s_addk_i32 s0, 0x2000
	v_lshl_add_u32 v0, v0, 3, s0
	ds_read2_b32 v[0:1], v0 offset1:1
	s_waitcnt lgkmcnt(0)
	v_add_f32_e32 v2, v2, v0
	v_add_f32_e32 v3, v3, v1
	v_lshl_add_u64 v[0:1], v[6:7], 3, s[24:25]
	global_atomic_add_f32 v[0:1], v2, off
	global_atomic_add_f32 v[0:1], v3, off offset:4
.LBB89_153:
	s_endpgm
	.section	.rodata,"a",@progbits
	.p2align	6, 0x0
	.amdhsa_kernel _ZN9rocsparseL27csrmvn_symm_adaptive_kernelIllf21rocsparse_complex_numIfES2_S2_EEvbT_S3_PKS3_NS_24const_host_device_scalarIT4_EES5_PKT0_PKT1_PKT2_S8_PT3_21rocsparse_index_base_b
		.amdhsa_group_segment_fixed_size 8192
		.amdhsa_private_segment_fixed_size 0
		.amdhsa_kernarg_size 352
		.amdhsa_user_sgpr_count 2
		.amdhsa_user_sgpr_dispatch_ptr 0
		.amdhsa_user_sgpr_queue_ptr 0
		.amdhsa_user_sgpr_kernarg_segment_ptr 1
		.amdhsa_user_sgpr_dispatch_id 0
		.amdhsa_user_sgpr_kernarg_preload_length 0
		.amdhsa_user_sgpr_kernarg_preload_offset 0
		.amdhsa_user_sgpr_private_segment_size 0
		.amdhsa_uses_dynamic_stack 0
		.amdhsa_enable_private_segment 0
		.amdhsa_system_sgpr_workgroup_id_x 1
		.amdhsa_system_sgpr_workgroup_id_y 0
		.amdhsa_system_sgpr_workgroup_id_z 0
		.amdhsa_system_sgpr_workgroup_info 0
		.amdhsa_system_vgpr_workitem_id 0
		.amdhsa_next_free_vgpr 35
		.amdhsa_next_free_sgpr 52
		.amdhsa_accum_offset 36
		.amdhsa_reserve_vcc 1
		.amdhsa_float_round_mode_32 0
		.amdhsa_float_round_mode_16_64 0
		.amdhsa_float_denorm_mode_32 3
		.amdhsa_float_denorm_mode_16_64 3
		.amdhsa_dx10_clamp 1
		.amdhsa_ieee_mode 1
		.amdhsa_fp16_overflow 0
		.amdhsa_tg_split 0
		.amdhsa_exception_fp_ieee_invalid_op 0
		.amdhsa_exception_fp_denorm_src 0
		.amdhsa_exception_fp_ieee_div_zero 0
		.amdhsa_exception_fp_ieee_overflow 0
		.amdhsa_exception_fp_ieee_underflow 0
		.amdhsa_exception_fp_ieee_inexact 0
		.amdhsa_exception_int_div_zero 0
	.end_amdhsa_kernel
	.section	.text._ZN9rocsparseL27csrmvn_symm_adaptive_kernelIllf21rocsparse_complex_numIfES2_S2_EEvbT_S3_PKS3_NS_24const_host_device_scalarIT4_EES5_PKT0_PKT1_PKT2_S8_PT3_21rocsparse_index_base_b,"axG",@progbits,_ZN9rocsparseL27csrmvn_symm_adaptive_kernelIllf21rocsparse_complex_numIfES2_S2_EEvbT_S3_PKS3_NS_24const_host_device_scalarIT4_EES5_PKT0_PKT1_PKT2_S8_PT3_21rocsparse_index_base_b,comdat
.Lfunc_end89:
	.size	_ZN9rocsparseL27csrmvn_symm_adaptive_kernelIllf21rocsparse_complex_numIfES2_S2_EEvbT_S3_PKS3_NS_24const_host_device_scalarIT4_EES5_PKT0_PKT1_PKT2_S8_PT3_21rocsparse_index_base_b, .Lfunc_end89-_ZN9rocsparseL27csrmvn_symm_adaptive_kernelIllf21rocsparse_complex_numIfES2_S2_EEvbT_S3_PKS3_NS_24const_host_device_scalarIT4_EES5_PKT0_PKT1_PKT2_S8_PT3_21rocsparse_index_base_b
                                        ; -- End function
	.set _ZN9rocsparseL27csrmvn_symm_adaptive_kernelIllf21rocsparse_complex_numIfES2_S2_EEvbT_S3_PKS3_NS_24const_host_device_scalarIT4_EES5_PKT0_PKT1_PKT2_S8_PT3_21rocsparse_index_base_b.num_vgpr, 35
	.set _ZN9rocsparseL27csrmvn_symm_adaptive_kernelIllf21rocsparse_complex_numIfES2_S2_EEvbT_S3_PKS3_NS_24const_host_device_scalarIT4_EES5_PKT0_PKT1_PKT2_S8_PT3_21rocsparse_index_base_b.num_agpr, 0
	.set _ZN9rocsparseL27csrmvn_symm_adaptive_kernelIllf21rocsparse_complex_numIfES2_S2_EEvbT_S3_PKS3_NS_24const_host_device_scalarIT4_EES5_PKT0_PKT1_PKT2_S8_PT3_21rocsparse_index_base_b.numbered_sgpr, 52
	.set _ZN9rocsparseL27csrmvn_symm_adaptive_kernelIllf21rocsparse_complex_numIfES2_S2_EEvbT_S3_PKS3_NS_24const_host_device_scalarIT4_EES5_PKT0_PKT1_PKT2_S8_PT3_21rocsparse_index_base_b.num_named_barrier, 0
	.set _ZN9rocsparseL27csrmvn_symm_adaptive_kernelIllf21rocsparse_complex_numIfES2_S2_EEvbT_S3_PKS3_NS_24const_host_device_scalarIT4_EES5_PKT0_PKT1_PKT2_S8_PT3_21rocsparse_index_base_b.private_seg_size, 0
	.set _ZN9rocsparseL27csrmvn_symm_adaptive_kernelIllf21rocsparse_complex_numIfES2_S2_EEvbT_S3_PKS3_NS_24const_host_device_scalarIT4_EES5_PKT0_PKT1_PKT2_S8_PT3_21rocsparse_index_base_b.uses_vcc, 1
	.set _ZN9rocsparseL27csrmvn_symm_adaptive_kernelIllf21rocsparse_complex_numIfES2_S2_EEvbT_S3_PKS3_NS_24const_host_device_scalarIT4_EES5_PKT0_PKT1_PKT2_S8_PT3_21rocsparse_index_base_b.uses_flat_scratch, 0
	.set _ZN9rocsparseL27csrmvn_symm_adaptive_kernelIllf21rocsparse_complex_numIfES2_S2_EEvbT_S3_PKS3_NS_24const_host_device_scalarIT4_EES5_PKT0_PKT1_PKT2_S8_PT3_21rocsparse_index_base_b.has_dyn_sized_stack, 0
	.set _ZN9rocsparseL27csrmvn_symm_adaptive_kernelIllf21rocsparse_complex_numIfES2_S2_EEvbT_S3_PKS3_NS_24const_host_device_scalarIT4_EES5_PKT0_PKT1_PKT2_S8_PT3_21rocsparse_index_base_b.has_recursion, 0
	.set _ZN9rocsparseL27csrmvn_symm_adaptive_kernelIllf21rocsparse_complex_numIfES2_S2_EEvbT_S3_PKS3_NS_24const_host_device_scalarIT4_EES5_PKT0_PKT1_PKT2_S8_PT3_21rocsparse_index_base_b.has_indirect_call, 0
	.section	.AMDGPU.csdata,"",@progbits
; Kernel info:
; codeLenInByte = 8240
; TotalNumSgprs: 58
; NumVgprs: 35
; NumAgprs: 0
; TotalNumVgprs: 35
; ScratchSize: 0
; MemoryBound: 0
; FloatMode: 240
; IeeeMode: 1
; LDSByteSize: 8192 bytes/workgroup (compile time only)
; SGPRBlocks: 7
; VGPRBlocks: 4
; NumSGPRsForWavesPerEU: 58
; NumVGPRsForWavesPerEU: 35
; AccumOffset: 36
; Occupancy: 8
; WaveLimiterHint : 1
; COMPUTE_PGM_RSRC2:SCRATCH_EN: 0
; COMPUTE_PGM_RSRC2:USER_SGPR: 2
; COMPUTE_PGM_RSRC2:TRAP_HANDLER: 0
; COMPUTE_PGM_RSRC2:TGID_X_EN: 1
; COMPUTE_PGM_RSRC2:TGID_Y_EN: 0
; COMPUTE_PGM_RSRC2:TGID_Z_EN: 0
; COMPUTE_PGM_RSRC2:TIDIG_COMP_CNT: 0
; COMPUTE_PGM_RSRC3_GFX90A:ACCUM_OFFSET: 8
; COMPUTE_PGM_RSRC3_GFX90A:TG_SPLIT: 0
	.section	.text._ZL33csrmvn_symm_large_adaptive_kernelIllf21rocsparse_complex_numIfES1_S1_EvbT_PKS2_N9rocsparse24const_host_device_scalarIT4_EES4_PKT0_PKT1_PKT2_S8_PT3_21rocsparse_index_base_b,"axG",@progbits,_ZL33csrmvn_symm_large_adaptive_kernelIllf21rocsparse_complex_numIfES1_S1_EvbT_PKS2_N9rocsparse24const_host_device_scalarIT4_EES4_PKT0_PKT1_PKT2_S8_PT3_21rocsparse_index_base_b,comdat
	.globl	_ZL33csrmvn_symm_large_adaptive_kernelIllf21rocsparse_complex_numIfES1_S1_EvbT_PKS2_N9rocsparse24const_host_device_scalarIT4_EES4_PKT0_PKT1_PKT2_S8_PT3_21rocsparse_index_base_b ; -- Begin function _ZL33csrmvn_symm_large_adaptive_kernelIllf21rocsparse_complex_numIfES1_S1_EvbT_PKS2_N9rocsparse24const_host_device_scalarIT4_EES4_PKT0_PKT1_PKT2_S8_PT3_21rocsparse_index_base_b
	.p2align	8
	.type	_ZL33csrmvn_symm_large_adaptive_kernelIllf21rocsparse_complex_numIfES1_S1_EvbT_PKS2_N9rocsparse24const_host_device_scalarIT4_EES4_PKT0_PKT1_PKT2_S8_PT3_21rocsparse_index_base_b,@function
_ZL33csrmvn_symm_large_adaptive_kernelIllf21rocsparse_complex_numIfES1_S1_EvbT_PKS2_N9rocsparse24const_host_device_scalarIT4_EES4_PKT0_PKT1_PKT2_S8_PT3_21rocsparse_index_base_b: ; @_ZL33csrmvn_symm_large_adaptive_kernelIllf21rocsparse_complex_numIfES1_S1_EvbT_PKS2_N9rocsparse24const_host_device_scalarIT4_EES4_PKT0_PKT1_PKT2_S8_PT3_21rocsparse_index_base_b
; %bb.0:
	s_load_dwordx2 s[10:11], s[0:1], 0x50
	s_load_dwordx2 s[4:5], s[0:1], 0x18
	s_add_u32 s3, s0, 24
	s_addc_u32 s12, s1, 0
	s_waitcnt lgkmcnt(0)
	s_bitcmp1_b32 s11, 0
	s_cselect_b64 s[8:9], -1, 0
	s_and_b64 s[6:7], s[8:9], exec
	s_cselect_b32 s5, s12, s5
	s_cselect_b32 s3, s3, s4
	v_mov_b32_e32 v2, s3
	v_mov_b32_e32 v3, s5
	flat_load_dwordx2 v[2:3], v[2:3]
	s_waitcnt vmcnt(0) lgkmcnt(0)
	v_cmp_eq_f32_e32 vcc, 0, v2
	v_cmp_eq_f32_e64 s[4:5], 0, v3
	s_and_b64 s[12:13], vcc, s[4:5]
	s_mov_b64 s[4:5], -1
	s_and_saveexec_b64 s[6:7], s[12:13]
	s_cbranch_execz .LBB90_2
; %bb.1:
	s_load_dwordx2 s[4:5], s[0:1], 0x40
	s_add_u32 s3, s0, 64
	s_addc_u32 s11, s1, 0
	s_and_b64 s[8:9], s[8:9], exec
	s_waitcnt lgkmcnt(0)
	s_cselect_b32 s5, s11, s5
	s_cselect_b32 s3, s3, s4
	v_mov_b32_e32 v4, s3
	v_mov_b32_e32 v5, s5
	flat_load_dwordx2 v[4:5], v[4:5]
	s_waitcnt vmcnt(0) lgkmcnt(0)
	v_cmp_neq_f32_e32 vcc, 1.0, v4
	v_cmp_neq_f32_e64 s[4:5], 0, v5
	s_or_b64 s[4:5], vcc, s[4:5]
	s_orn2_b64 s[4:5], s[4:5], exec
.LBB90_2:
	s_or_b64 exec, exec, s[6:7]
	s_and_saveexec_b64 s[6:7], s[4:5]
	s_cbranch_execz .LBB90_38
; %bb.3:
	s_load_dwordx2 s[4:5], s[0:1], 0x10
	s_ashr_i32 s3, s2, 31
	s_mov_b32 s6, 0
	s_lshl_b64 s[2:3], s[2:3], 3
	s_mov_b32 s7, s6
	s_waitcnt lgkmcnt(0)
	s_add_u32 s2, s4, s2
	v_lshlrev_b32_e32 v18, 3, v0
	v_mov_b64_e32 v[4:5], s[6:7]
	s_addc_u32 s3, s5, s3
	ds_write2st64_b64 v18, v[4:5], v[4:5] offset1:4
	ds_write2st64_b64 v18, v[4:5], v[4:5] offset0:8 offset1:12
	s_waitcnt lgkmcnt(0)
	s_barrier
	s_load_dwordx4 s[20:23], s[2:3], 0x0
	s_load_dwordx8 s[12:19], s[0:1], 0x20
	s_load_dwordx2 s[24:25], s[0:1], 0x48
	v_mov_b32_e32 v1, 0
	s_waitcnt lgkmcnt(0)
	v_mov_b64_e32 v[4:5], s[22:23]
	v_cmp_ge_i64_e32 vcc, s[20:21], v[4:5]
	v_subrev_co_u32_e64 v4, s[0:1], s10, v0
	s_nop 1
	v_subb_co_u32_e64 v5, s[0:1], 0, 0, s[0:1]
	s_cbranch_vccnz .LBB90_29
; %bb.4:
	s_movk_i32 s0, 0x100
	v_cmp_gt_u32_e64 s[0:1], s0, v0
	v_cmp_gt_u32_e64 s[2:3], 64, v0
	;; [unrolled: 1-line block ×4, first 2 shown]
	v_cmp_eq_u32_e64 s[8:9], 0, v0
	v_bfrev_b32_e32 v6, 1
	s_mov_b64 s[26:27], 0x100
	s_mov_b64 s[28:29], 0x800
	;; [unrolled: 1-line block ×3, first 2 shown]
	v_mov_b64_e32 v[8:9], s[22:23]
	s_mov_b64 s[34:35], s[20:21]
	s_branch .LBB90_6
.LBB90_5:                               ;   in Loop: Header=BB90_6 Depth=1
	s_or_b64 exec, exec, s[38:39]
	s_add_u32 s34, s34, 1
	s_addc_u32 s35, s35, 0
	v_cmp_ge_i64_e32 vcc, s[34:35], v[8:9]
	s_cbranch_vccnz .LBB90_29
.LBB90_6:                               ; =>This Loop Header: Depth=1
                                        ;     Child Loop BB90_8 Depth 2
                                        ;     Child Loop BB90_22 Depth 2
                                        ;     Child Loop BB90_26 Depth 2
	s_lshl_b64 s[36:37], s[34:35], 3
	s_add_u32 s38, s12, s36
	s_addc_u32 s39, s13, s37
	s_load_dwordx4 s[44:47], s[38:39], 0x0
	v_mov_b32_e32 v11, 0
	v_mov_b32_e32 v10, v11
	s_waitcnt lgkmcnt(0)
	s_sub_u32 s40, s46, s10
	v_lshl_add_u64 v[12:13], s[44:45], 0, v[4:5]
	s_subb_u32 s41, s47, 0
	v_cmp_gt_i64_e32 vcc, s[40:41], v[12:13]
	s_and_saveexec_b64 s[38:39], vcc
	s_cbranch_execz .LBB90_10
; %bb.7:                                ;   in Loop: Header=BB90_6 Depth=1
	v_mov_b32_e32 v10, 0
	v_lshl_add_u64 v[14:15], v[12:13], 3, s[14:15]
	v_lshl_add_u64 v[16:17], v[12:13], 2, s[16:17]
	s_mov_b64 s[42:43], 0
	v_mov_b32_e32 v11, v10
.LBB90_8:                               ;   Parent Loop BB90_6 Depth=1
                                        ; =>  This Inner Loop Header: Depth=2
	global_load_dwordx2 v[20:21], v[14:15], off
	global_load_dword v0, v[16:17], off
	v_lshl_add_u64 v[12:13], v[12:13], 0, s[26:27]
	v_lshl_add_u64 v[14:15], v[14:15], 0, s[28:29]
	;; [unrolled: 1-line block ×3, first 2 shown]
	s_waitcnt vmcnt(1)
	v_subrev_co_u32_e32 v20, vcc, s10, v20
	s_nop 1
	v_subbrev_co_u32_e32 v21, vcc, 0, v21, vcc
	v_lshl_add_u64 v[20:21], v[20:21], 3, s[18:19]
	global_load_dwordx2 v[20:21], v[20:21], off
	v_cmp_le_i64_e32 vcc, s[40:41], v[12:13]
	s_waitcnt vmcnt(1)
	v_mov_b32_e32 v7, v0
	s_or_b64 s[42:43], vcc, s[42:43]
	s_waitcnt vmcnt(0)
	v_pk_fma_f32 v[10:11], v[20:21], v[0:1], v[10:11] op_sel_hi:[0,1,1]
	v_pk_fma_f32 v[10:11], v[20:21], v[6:7], v[10:11] op_sel:[1,0,0]
	s_andn2_b64 exec, exec, s[42:43]
	s_cbranch_execnz .LBB90_8
; %bb.9:                                ;   in Loop: Header=BB90_6 Depth=1
	s_or_b64 exec, exec, s[42:43]
.LBB90_10:                              ;   in Loop: Header=BB90_6 Depth=1
	s_or_b64 exec, exec, s[38:39]
	ds_write_b64 v18, v[10:11]
	s_waitcnt lgkmcnt(0)
	s_barrier
	s_and_saveexec_b64 s[38:39], s[0:1]
	s_cbranch_execz .LBB90_12
; %bb.11:                               ;   in Loop: Header=BB90_6 Depth=1
	ds_read2st64_b64 v[10:13], v18 offset1:4
	ds_read2st64_b64 v[14:17], v18 offset0:8 offset1:12
	s_waitcnt lgkmcnt(0)
	v_pk_add_f32 v[12:13], v[14:15], v[12:13]
	s_nop 0
	v_pk_add_f32 v[12:13], v[16:17], v[12:13]
	s_nop 0
	v_pk_add_f32 v[10:11], v[12:13], v[10:11]
	ds_write_b64 v18, v[10:11]
.LBB90_12:                              ;   in Loop: Header=BB90_6 Depth=1
	s_or_b64 exec, exec, s[38:39]
	s_waitcnt lgkmcnt(0)
	s_barrier
	s_and_saveexec_b64 s[38:39], s[2:3]
	s_cbranch_execz .LBB90_14
; %bb.13:                               ;   in Loop: Header=BB90_6 Depth=1
	ds_read2st64_b64 v[10:13], v18 offset1:1
	ds_read2st64_b64 v[14:17], v18 offset0:2 offset1:3
	s_waitcnt lgkmcnt(0)
	v_pk_add_f32 v[12:13], v[14:15], v[12:13]
	s_nop 0
	v_pk_add_f32 v[12:13], v[16:17], v[12:13]
	s_nop 0
	v_pk_add_f32 v[10:11], v[12:13], v[10:11]
	ds_write_b64 v18, v[10:11]
.LBB90_14:                              ;   in Loop: Header=BB90_6 Depth=1
	s_or_b64 exec, exec, s[38:39]
	s_waitcnt lgkmcnt(0)
	s_barrier
	s_and_saveexec_b64 s[38:39], s[4:5]
	s_cbranch_execz .LBB90_16
; %bb.15:                               ;   in Loop: Header=BB90_6 Depth=1
	ds_read2_b64 v[10:13], v18 offset1:16
	ds_read2_b64 v[14:17], v18 offset0:32 offset1:48
	s_waitcnt lgkmcnt(0)
	v_pk_add_f32 v[12:13], v[14:15], v[12:13]
	s_nop 0
	v_pk_add_f32 v[12:13], v[16:17], v[12:13]
	s_nop 0
	v_pk_add_f32 v[10:11], v[12:13], v[10:11]
	ds_write_b64 v18, v[10:11]
.LBB90_16:                              ;   in Loop: Header=BB90_6 Depth=1
	s_or_b64 exec, exec, s[38:39]
	s_waitcnt lgkmcnt(0)
	s_barrier
	s_and_saveexec_b64 s[38:39], s[6:7]
	s_cbranch_execz .LBB90_18
; %bb.17:                               ;   in Loop: Header=BB90_6 Depth=1
	ds_read2_b64 v[10:13], v18 offset1:4
	ds_read2_b64 v[14:17], v18 offset0:8 offset1:12
	s_waitcnt lgkmcnt(0)
	v_pk_add_f32 v[12:13], v[14:15], v[12:13]
	s_nop 0
	v_pk_add_f32 v[12:13], v[16:17], v[12:13]
	s_nop 0
	v_pk_add_f32 v[10:11], v[12:13], v[10:11]
	ds_write_b64 v18, v[10:11]
.LBB90_18:                              ;   in Loop: Header=BB90_6 Depth=1
	s_or_b64 exec, exec, s[38:39]
	s_waitcnt lgkmcnt(0)
	s_barrier
	s_and_saveexec_b64 s[38:39], s[8:9]
	s_cbranch_execz .LBB90_20
; %bb.19:                               ;   in Loop: Header=BB90_6 Depth=1
	ds_read_b128 v[10:13], v1 offset:16
	ds_read_b64 v[14:15], v1 offset:8
	ds_read_b64 v[16:17], v18
	s_waitcnt lgkmcnt(1)
	v_pk_add_f32 v[10:11], v[10:11], v[14:15]
	s_nop 0
	v_pk_add_f32 v[10:11], v[12:13], v[10:11]
	s_waitcnt lgkmcnt(0)
	v_pk_add_f32 v[10:11], v[10:11], v[16:17]
	ds_write_b64 v18, v[10:11]
.LBB90_20:                              ;   in Loop: Header=BB90_6 Depth=1
	s_or_b64 exec, exec, s[38:39]
	s_waitcnt lgkmcnt(0)
	s_barrier
	s_and_saveexec_b64 s[38:39], s[8:9]
	s_cbranch_execz .LBB90_5
; %bb.21:                               ;   in Loop: Header=BB90_6 Depth=1
	ds_read_b64 v[10:11], v1
	s_mov_b64 s[40:41], exec
	v_bfrev_b32_e32 v0, 1
	s_waitcnt lgkmcnt(0)
	v_mul_f32_e64 v7, v11, -v3
	v_fmac_f32_e32 v7, v2, v10
.LBB90_22:                              ;   Parent Loop BB90_6 Depth=1
                                        ; =>  This Inner Loop Header: Depth=2
	s_ff1_i32_b64 s11, s[40:41]
	s_lshl_b64 s[42:43], 1, s11
	v_readlane_b32 s33, v7, s11
	s_andn2_b64 s[40:41], s[40:41], s[42:43]
	s_cmp_lg_u64 s[40:41], 0
	v_add_f32_e32 v0, s33, v0
	s_cbranch_scc1 .LBB90_22
; %bb.23:                               ;   in Loop: Header=BB90_6 Depth=1
	v_mbcnt_lo_u32_b32 v7, exec_lo, 0
	s_add_u32 s36, s24, s36
	v_mbcnt_hi_u32_b32 v7, exec_hi, v7
	s_addc_u32 s37, s25, s37
	v_cmp_eq_u32_e32 vcc, 0, v7
	s_and_saveexec_b64 s[40:41], vcc
	s_xor_b64 s[40:41], exec, s[40:41]
	s_cbranch_execz .LBB90_25
; %bb.24:                               ;   in Loop: Header=BB90_6 Depth=1
	global_atomic_add_f32 v1, v0, s[36:37]
.LBB90_25:                              ;   in Loop: Header=BB90_6 Depth=1
	s_or_b64 exec, exec, s[40:41]
	v_mul_f32_e32 v7, v2, v11
	s_mov_b64 s[40:41], exec
	v_fmac_f32_e32 v7, v3, v10
	v_bfrev_b32_e32 v0, 1
.LBB90_26:                              ;   Parent Loop BB90_6 Depth=1
                                        ; =>  This Inner Loop Header: Depth=2
	s_ff1_i32_b64 s11, s[40:41]
	s_lshl_b64 s[42:43], 1, s11
	v_readlane_b32 s33, v7, s11
	s_andn2_b64 s[40:41], s[40:41], s[42:43]
	s_cmp_lg_u64 s[40:41], 0
	v_add_f32_e32 v0, s33, v0
	s_cbranch_scc1 .LBB90_26
; %bb.27:                               ;   in Loop: Header=BB90_6 Depth=1
	v_mbcnt_lo_u32_b32 v7, exec_lo, 0
	v_mbcnt_hi_u32_b32 v7, exec_hi, v7
	v_cmp_eq_u32_e32 vcc, 0, v7
	s_and_saveexec_b64 s[40:41], vcc
	s_xor_b64 s[40:41], exec, s[40:41]
	s_cbranch_execz .LBB90_5
; %bb.28:                               ;   in Loop: Header=BB90_6 Depth=1
	global_atomic_add_f32 v1, v0, s[36:37] offset:4
	s_branch .LBB90_5
.LBB90_29:
	s_lshl_b64 s[0:1], s[20:21], 3
	s_add_u32 s0, s12, s0
	s_addc_u32 s1, s13, s1
	s_lshl_b64 s[2:3], s[22:23], 3
	s_add_u32 s2, s12, s2
	s_addc_u32 s3, s13, s3
	s_load_dwordx2 s[4:5], s[2:3], 0x0
	s_load_dwordx2 s[6:7], s[0:1], 0x0
	s_waitcnt lgkmcnt(0)
	s_sub_u32 s4, s4, s10
	s_subb_u32 s5, s5, 0
	v_lshl_add_u64 v[0:1], s[6:7], 0, v[4:5]
	v_cmp_gt_i64_e32 vcc, s[4:5], v[0:1]
	s_and_b64 exec, exec, vcc
	s_cbranch_execz .LBB90_38
; %bb.30:
	s_add_u32 s6, s22, -1
	s_addc_u32 s7, s23, -1
	s_add_u32 s0, s22, -2
	s_addc_u32 s1, s23, -1
	v_mov_b64_e32 v[4:5], s[6:7]
	s_cmp_lg_u64 s[20:21], s[0:1]
	v_cmp_lt_i64_e32 vcc, s[20:21], v[4:5]
	s_cselect_b64 s[0:1], -1, 0
	s_and_b64 s[0:1], vcc, s[0:1]
	v_cndmask_b32_e64 v4, 0, 1, s[0:1]
	v_mul_f32_e32 v10, 0x80000000, v3
	v_mul_f32_e32 v11, 0, v2
	s_mov_b64 s[8:9], 0
	v_cmp_ne_u32_e64 s[0:1], 1, v4
	v_mov_b32_e32 v5, 0
	s_mov_b64 s[22:23], 0x100
	s_branch .LBB90_32
.LBB90_31:                              ;   in Loop: Header=BB90_32 Depth=1
	s_or_b64 exec, exec, s[2:3]
	v_lshl_add_u64 v[0:1], v[0:1], 0, s[22:23]
	v_cmp_le_i64_e32 vcc, s[4:5], v[0:1]
	s_or_b64 s[8:9], vcc, s[8:9]
	s_andn2_b64 exec, exec, s[8:9]
	s_cbranch_execz .LBB90_38
.LBB90_32:                              ; =>This Loop Header: Depth=1
                                        ;     Child Loop BB90_34 Depth 2
	s_and_b64 vcc, exec, s[0:1]
	v_mov_b64_e32 v[6:7], s[20:21]
	v_mov_b64_e32 v[8:9], s[6:7]
	s_cbranch_vccnz .LBB90_36
; %bb.33:                               ;   in Loop: Header=BB90_32 Depth=1
	s_mov_b64 s[26:27], 0
	v_mov_b64_e32 v[6:7], s[20:21]
	v_mov_b64_e32 v[8:9], s[6:7]
.LBB90_34:                              ;   Parent Loop BB90_32 Depth=1
                                        ; =>  This Inner Loop Header: Depth=2
	v_lshl_add_u64 v[12:13], v[8:9], 0, v[6:7]
	v_lshrrev_b32_e32 v4, 31, v13
	v_lshl_add_u64 v[12:13], v[12:13], 0, v[4:5]
	v_ashrrev_i64 v[12:13], 1, v[12:13]
	v_lshl_add_u64 v[14:15], v[12:13], 3, s[12:13]
	global_load_dwordx2 v[14:15], v[14:15], off
	s_waitcnt vmcnt(0)
	v_subrev_co_u32_e32 v14, vcc, s10, v14
	s_nop 1
	v_subbrev_co_u32_e32 v15, vcc, 0, v15, vcc
	v_cmp_lt_i64_e32 vcc, v[0:1], v[14:15]
	s_nop 1
	v_cndmask_b32_e32 v9, v9, v13, vcc
	v_cndmask_b32_e32 v8, v8, v12, vcc
	;; [unrolled: 1-line block ×4, first 2 shown]
	v_lshl_add_u64 v[12:13], v[8:9], 0, -1
	v_cmp_ge_i64_e32 vcc, v[6:7], v[8:9]
	v_cmp_eq_u64_e64 s[2:3], v[6:7], v[12:13]
	s_or_b64 s[2:3], vcc, s[2:3]
	s_and_b64 s[2:3], exec, s[2:3]
	s_or_b64 s[26:27], s[2:3], s[26:27]
	s_andn2_b64 exec, exec, s[26:27]
	s_cbranch_execnz .LBB90_34
; %bb.35:                               ;   in Loop: Header=BB90_32 Depth=1
	s_or_b64 exec, exec, s[26:27]
.LBB90_36:                              ;   in Loop: Header=BB90_32 Depth=1
	v_lshl_add_u64 v[12:13], v[8:9], 3, s[12:13]
	global_load_dwordx2 v[12:13], v[12:13], off
	v_lshl_add_u64 v[14:15], v[0:1], 3, s[14:15]
	global_load_dwordx2 v[14:15], v[14:15], off
	s_waitcnt vmcnt(1)
	v_subrev_co_u32_e32 v12, vcc, s10, v12
	s_nop 1
	v_subbrev_co_u32_e32 v13, vcc, 0, v13, vcc
	v_cmp_lt_i64_e32 vcc, v[0:1], v[12:13]
	s_nop 1
	v_cndmask_b32_e32 v9, v9, v7, vcc
	v_cndmask_b32_e32 v8, v8, v6, vcc
	s_waitcnt vmcnt(0)
	v_subrev_co_u32_e32 v6, vcc, s10, v14
	s_nop 1
	v_subbrev_co_u32_e32 v7, vcc, 0, v15, vcc
	v_cmp_ne_u64_e32 vcc, v[6:7], v[8:9]
	s_and_saveexec_b64 s[2:3], vcc
	s_cbranch_execz .LBB90_31
; %bb.37:                               ;   in Loop: Header=BB90_32 Depth=1
	v_lshl_add_u64 v[12:13], v[0:1], 2, s[16:17]
	global_load_dword v4, v[12:13], off
	v_lshl_add_u64 v[8:9], v[8:9], 3, s[18:19]
	global_load_dwordx2 v[8:9], v[8:9], off
	v_lshl_add_u64 v[6:7], v[6:7], 3, s[24:25]
	s_waitcnt vmcnt(1)
	v_fma_f32 v12, v2, v4, v10
	v_fma_f32 v4, v3, v4, v11
	s_waitcnt vmcnt(0)
	v_mul_f32_e64 v13, v9, -v4
	v_mul_f32_e32 v9, v12, v9
	v_fmac_f32_e32 v13, v12, v8
	v_fmac_f32_e32 v9, v4, v8
	global_atomic_add_f32 v[6:7], v13, off
	global_atomic_add_f32 v[6:7], v9, off offset:4
	s_branch .LBB90_31
.LBB90_38:
	s_endpgm
	.section	.rodata,"a",@progbits
	.p2align	6, 0x0
	.amdhsa_kernel _ZL33csrmvn_symm_large_adaptive_kernelIllf21rocsparse_complex_numIfES1_S1_EvbT_PKS2_N9rocsparse24const_host_device_scalarIT4_EES4_PKT0_PKT1_PKT2_S8_PT3_21rocsparse_index_base_b
		.amdhsa_group_segment_fixed_size 8192
		.amdhsa_private_segment_fixed_size 0
		.amdhsa_kernarg_size 88
		.amdhsa_user_sgpr_count 2
		.amdhsa_user_sgpr_dispatch_ptr 0
		.amdhsa_user_sgpr_queue_ptr 0
		.amdhsa_user_sgpr_kernarg_segment_ptr 1
		.amdhsa_user_sgpr_dispatch_id 0
		.amdhsa_user_sgpr_kernarg_preload_length 0
		.amdhsa_user_sgpr_kernarg_preload_offset 0
		.amdhsa_user_sgpr_private_segment_size 0
		.amdhsa_uses_dynamic_stack 0
		.amdhsa_enable_private_segment 0
		.amdhsa_system_sgpr_workgroup_id_x 1
		.amdhsa_system_sgpr_workgroup_id_y 0
		.amdhsa_system_sgpr_workgroup_id_z 0
		.amdhsa_system_sgpr_workgroup_info 0
		.amdhsa_system_vgpr_workitem_id 0
		.amdhsa_next_free_vgpr 22
		.amdhsa_next_free_sgpr 48
		.amdhsa_accum_offset 24
		.amdhsa_reserve_vcc 1
		.amdhsa_float_round_mode_32 0
		.amdhsa_float_round_mode_16_64 0
		.amdhsa_float_denorm_mode_32 3
		.amdhsa_float_denorm_mode_16_64 3
		.amdhsa_dx10_clamp 1
		.amdhsa_ieee_mode 1
		.amdhsa_fp16_overflow 0
		.amdhsa_tg_split 0
		.amdhsa_exception_fp_ieee_invalid_op 0
		.amdhsa_exception_fp_denorm_src 0
		.amdhsa_exception_fp_ieee_div_zero 0
		.amdhsa_exception_fp_ieee_overflow 0
		.amdhsa_exception_fp_ieee_underflow 0
		.amdhsa_exception_fp_ieee_inexact 0
		.amdhsa_exception_int_div_zero 0
	.end_amdhsa_kernel
	.section	.text._ZL33csrmvn_symm_large_adaptive_kernelIllf21rocsparse_complex_numIfES1_S1_EvbT_PKS2_N9rocsparse24const_host_device_scalarIT4_EES4_PKT0_PKT1_PKT2_S8_PT3_21rocsparse_index_base_b,"axG",@progbits,_ZL33csrmvn_symm_large_adaptive_kernelIllf21rocsparse_complex_numIfES1_S1_EvbT_PKS2_N9rocsparse24const_host_device_scalarIT4_EES4_PKT0_PKT1_PKT2_S8_PT3_21rocsparse_index_base_b,comdat
.Lfunc_end90:
	.size	_ZL33csrmvn_symm_large_adaptive_kernelIllf21rocsparse_complex_numIfES1_S1_EvbT_PKS2_N9rocsparse24const_host_device_scalarIT4_EES4_PKT0_PKT1_PKT2_S8_PT3_21rocsparse_index_base_b, .Lfunc_end90-_ZL33csrmvn_symm_large_adaptive_kernelIllf21rocsparse_complex_numIfES1_S1_EvbT_PKS2_N9rocsparse24const_host_device_scalarIT4_EES4_PKT0_PKT1_PKT2_S8_PT3_21rocsparse_index_base_b
                                        ; -- End function
	.set _ZL33csrmvn_symm_large_adaptive_kernelIllf21rocsparse_complex_numIfES1_S1_EvbT_PKS2_N9rocsparse24const_host_device_scalarIT4_EES4_PKT0_PKT1_PKT2_S8_PT3_21rocsparse_index_base_b.num_vgpr, 22
	.set _ZL33csrmvn_symm_large_adaptive_kernelIllf21rocsparse_complex_numIfES1_S1_EvbT_PKS2_N9rocsparse24const_host_device_scalarIT4_EES4_PKT0_PKT1_PKT2_S8_PT3_21rocsparse_index_base_b.num_agpr, 0
	.set _ZL33csrmvn_symm_large_adaptive_kernelIllf21rocsparse_complex_numIfES1_S1_EvbT_PKS2_N9rocsparse24const_host_device_scalarIT4_EES4_PKT0_PKT1_PKT2_S8_PT3_21rocsparse_index_base_b.numbered_sgpr, 48
	.set _ZL33csrmvn_symm_large_adaptive_kernelIllf21rocsparse_complex_numIfES1_S1_EvbT_PKS2_N9rocsparse24const_host_device_scalarIT4_EES4_PKT0_PKT1_PKT2_S8_PT3_21rocsparse_index_base_b.num_named_barrier, 0
	.set _ZL33csrmvn_symm_large_adaptive_kernelIllf21rocsparse_complex_numIfES1_S1_EvbT_PKS2_N9rocsparse24const_host_device_scalarIT4_EES4_PKT0_PKT1_PKT2_S8_PT3_21rocsparse_index_base_b.private_seg_size, 0
	.set _ZL33csrmvn_symm_large_adaptive_kernelIllf21rocsparse_complex_numIfES1_S1_EvbT_PKS2_N9rocsparse24const_host_device_scalarIT4_EES4_PKT0_PKT1_PKT2_S8_PT3_21rocsparse_index_base_b.uses_vcc, 1
	.set _ZL33csrmvn_symm_large_adaptive_kernelIllf21rocsparse_complex_numIfES1_S1_EvbT_PKS2_N9rocsparse24const_host_device_scalarIT4_EES4_PKT0_PKT1_PKT2_S8_PT3_21rocsparse_index_base_b.uses_flat_scratch, 0
	.set _ZL33csrmvn_symm_large_adaptive_kernelIllf21rocsparse_complex_numIfES1_S1_EvbT_PKS2_N9rocsparse24const_host_device_scalarIT4_EES4_PKT0_PKT1_PKT2_S8_PT3_21rocsparse_index_base_b.has_dyn_sized_stack, 0
	.set _ZL33csrmvn_symm_large_adaptive_kernelIllf21rocsparse_complex_numIfES1_S1_EvbT_PKS2_N9rocsparse24const_host_device_scalarIT4_EES4_PKT0_PKT1_PKT2_S8_PT3_21rocsparse_index_base_b.has_recursion, 0
	.set _ZL33csrmvn_symm_large_adaptive_kernelIllf21rocsparse_complex_numIfES1_S1_EvbT_PKS2_N9rocsparse24const_host_device_scalarIT4_EES4_PKT0_PKT1_PKT2_S8_PT3_21rocsparse_index_base_b.has_indirect_call, 0
	.section	.AMDGPU.csdata,"",@progbits
; Kernel info:
; codeLenInByte = 1808
; TotalNumSgprs: 54
; NumVgprs: 22
; NumAgprs: 0
; TotalNumVgprs: 22
; ScratchSize: 0
; MemoryBound: 0
; FloatMode: 240
; IeeeMode: 1
; LDSByteSize: 8192 bytes/workgroup (compile time only)
; SGPRBlocks: 6
; VGPRBlocks: 2
; NumSGPRsForWavesPerEU: 54
; NumVGPRsForWavesPerEU: 22
; AccumOffset: 24
; Occupancy: 8
; WaveLimiterHint : 1
; COMPUTE_PGM_RSRC2:SCRATCH_EN: 0
; COMPUTE_PGM_RSRC2:USER_SGPR: 2
; COMPUTE_PGM_RSRC2:TRAP_HANDLER: 0
; COMPUTE_PGM_RSRC2:TGID_X_EN: 1
; COMPUTE_PGM_RSRC2:TGID_Y_EN: 0
; COMPUTE_PGM_RSRC2:TGID_Z_EN: 0
; COMPUTE_PGM_RSRC2:TIDIG_COMP_CNT: 0
; COMPUTE_PGM_RSRC3_GFX90A:ACCUM_OFFSET: 5
; COMPUTE_PGM_RSRC3_GFX90A:TG_SPLIT: 0
	.section	.text._ZN9rocsparseL22csrmvn_adaptive_kernelIiifdddEEvbT_PKS1_PjPKT0_NS_24const_host_device_scalarIT4_EES3_S7_PKT1_PKT2_SA_PT3_21rocsparse_index_base_b,"axG",@progbits,_ZN9rocsparseL22csrmvn_adaptive_kernelIiifdddEEvbT_PKS1_PjPKT0_NS_24const_host_device_scalarIT4_EES3_S7_PKT1_PKT2_SA_PT3_21rocsparse_index_base_b,comdat
	.globl	_ZN9rocsparseL22csrmvn_adaptive_kernelIiifdddEEvbT_PKS1_PjPKT0_NS_24const_host_device_scalarIT4_EES3_S7_PKT1_PKT2_SA_PT3_21rocsparse_index_base_b ; -- Begin function _ZN9rocsparseL22csrmvn_adaptive_kernelIiifdddEEvbT_PKS1_PjPKT0_NS_24const_host_device_scalarIT4_EES3_S7_PKT1_PKT2_SA_PT3_21rocsparse_index_base_b
	.p2align	8
	.type	_ZN9rocsparseL22csrmvn_adaptive_kernelIiifdddEEvbT_PKS1_PjPKT0_NS_24const_host_device_scalarIT4_EES3_S7_PKT1_PKT2_SA_PT3_21rocsparse_index_base_b,@function
_ZN9rocsparseL22csrmvn_adaptive_kernelIiifdddEEvbT_PKS1_PjPKT0_NS_24const_host_device_scalarIT4_EES3_S7_PKT1_PKT2_SA_PT3_21rocsparse_index_base_b: ; @_ZN9rocsparseL22csrmvn_adaptive_kernelIiifdddEEvbT_PKS1_PjPKT0_NS_24const_host_device_scalarIT4_EES3_S7_PKT1_PKT2_SA_PT3_21rocsparse_index_base_b
; %bb.0:
	s_load_dwordx2 s[38:39], s[0:1], 0x58
	s_load_dwordx2 s[8:9], s[0:1], 0x20
	;; [unrolled: 1-line block ×3, first 2 shown]
	s_waitcnt lgkmcnt(0)
	s_bitcmp1_b32 s39, 0
	s_cselect_b64 s[10:11], -1, 0
	s_xor_b64 s[6:7], s[10:11], -1
	s_and_b64 vcc, exec, s[10:11]
	v_mov_b64_e32 v[4:5], s[8:9]
	s_cbranch_vccnz .LBB91_2
; %bb.1:
	v_mov_b64_e32 v[2:3], s[8:9]
	flat_load_dwordx2 v[4:5], v[2:3]
.LBB91_2:
	s_andn2_b64 vcc, exec, s[6:7]
	v_mov_b64_e32 v[2:3], s[4:5]
	s_cbranch_vccnz .LBB91_4
; %bb.3:
	v_mov_b64_e32 v[2:3], s[4:5]
	flat_load_dwordx2 v[2:3], v[2:3]
.LBB91_4:
	s_waitcnt vmcnt(0) lgkmcnt(0)
	v_cmp_neq_f64_e32 vcc, 0, v[4:5]
	v_cmp_neq_f64_e64 s[4:5], 1.0, v[2:3]
	s_or_b64 s[4:5], vcc, s[4:5]
	s_and_saveexec_b64 s[6:7], s[4:5]
	s_cbranch_execz .LBB91_114
; %bb.5:
	s_load_dwordx2 s[4:5], s[0:1], 0x8
	s_load_dwordx2 s[6:7], s[0:1], 0x18
	s_ashr_i32 s3, s2, 31
	s_lshl_b64 s[42:43], s[2:3], 2
	s_waitcnt lgkmcnt(0)
	s_add_u32 s4, s4, s42
	s_addc_u32 s5, s5, s43
	s_load_dwordx2 s[34:35], s[4:5], 0x0
	s_load_dwordx2 s[22:23], s[0:1], 0x50
	s_load_dwordx8 s[24:31], s[0:1], 0x28
	s_waitcnt lgkmcnt(0)
	s_sub_i32 s3, s35, s34
	s_add_u32 s4, s6, s42
	s_mov_b32 s40, s34
	s_addc_u32 s5, s7, s43
	s_ashr_i32 s41, s34, 31
	s_load_dword s33, s[4:5], 0x0
	s_lshl_b64 s[4:5], s[40:41], 2
	s_add_u32 s36, s24, s4
	s_addc_u32 s37, s25, s5
	s_load_dword s39, s[36:37], 0x0
	s_cmp_lt_i32 s3, 2
	s_mov_b64 s[4:5], -1
	s_cbranch_scc0 .LBB91_70
; %bb.6:
	s_cmp_lg_u32 s3, 1
	s_cselect_b64 s[4:5], -1, 0
	s_waitcnt lgkmcnt(0)
	s_cmp_lg_u32 s33, 0
	s_cselect_b64 s[6:7], -1, 0
	s_or_b64 s[4:5], s[4:5], s[6:7]
	s_mov_b64 s[18:19], -1
	s_and_b64 vcc, exec, s[4:5]
	v_cmp_gt_u32_e64 s[4:5], 64, v0
	v_cmp_gt_u32_e64 s[6:7], 32, v0
	;; [unrolled: 1-line block ×6, first 2 shown]
	v_cmp_eq_u32_e64 s[16:17], 0, v0
	s_cbranch_vccnz .LBB91_34
; %bb.7:
	s_movk_i32 s3, 0x80
	v_subrev_u32_e32 v1, s38, v0
	v_lshlrev_b32_e32 v14, 3, v0
	v_cmp_gt_u32_e32 vcc, s3, v0
	v_cmp_neq_f64_e64 s[18:19], 0, v[2:3]
	s_mov_b64 s[44:45], 0x400
	v_mov_b32_e32 v15, 0
	s_mov_b32 s46, s34
	s_branch .LBB91_10
.LBB91_8:                               ;   in Loop: Header=BB91_10 Depth=1
	s_or_b64 exec, exec, s[48:49]
	s_lshl_b64 s[48:49], s[46:47], 3
	s_add_u32 s48, s22, s48
	s_addc_u32 s49, s23, s49
	s_waitcnt lgkmcnt(0)
	global_store_dwordx2 v15, v[6:7], s[48:49]
.LBB91_9:                               ;   in Loop: Header=BB91_10 Depth=1
	s_or_b64 exec, exec, s[20:21]
	s_add_i32 s46, s46, 1
	s_cmp_ge_i32 s46, s35
	s_cbranch_scc1 .LBB91_33
.LBB91_10:                              ; =>This Loop Header: Depth=1
                                        ;     Child Loop BB91_12 Depth 2
	s_ashr_i32 s47, s46, 31
	s_lshl_b64 s[20:21], s[46:47], 2
	s_add_u32 s20, s24, s20
	s_addc_u32 s21, s25, s21
	s_load_dwordx2 s[48:49], s[20:21], 0x0
	v_mov_b64_e32 v[8:9], 0
	s_waitcnt lgkmcnt(0)
	s_sub_i32 s3, s49, s38
	v_add_u32_e32 v6, s48, v1
	v_cmp_gt_i32_e64 s[20:21], s3, v6
	s_and_saveexec_b64 s[48:49], s[20:21]
	s_cbranch_execz .LBB91_14
; %bb.11:                               ;   in Loop: Header=BB91_10 Depth=1
	v_ashrrev_i32_e32 v7, 31, v6
	v_lshlrev_b64 v[8:9], 2, v[6:7]
	v_lshl_add_u64 v[10:11], s[28:29], 0, v[8:9]
	v_lshl_add_u64 v[12:13], s[26:27], 0, v[8:9]
	v_mov_b64_e32 v[8:9], 0
	s_mov_b64 s[50:51], 0
.LBB91_12:                              ;   Parent Loop BB91_10 Depth=1
                                        ; =>  This Inner Loop Header: Depth=2
	global_load_dword v7, v[12:13], off
	global_load_dword v18, v[10:11], off
	v_add_u32_e32 v6, 0x100, v6
	v_cmp_le_i32_e64 s[20:21], s3, v6
	v_lshl_add_u64 v[10:11], v[10:11], 0, s[44:45]
	v_lshl_add_u64 v[12:13], v[12:13], 0, s[44:45]
	s_or_b64 s[50:51], s[20:21], s[50:51]
	s_waitcnt vmcnt(1)
	v_subrev_u32_e32 v16, s38, v7
	v_ashrrev_i32_e32 v17, 31, v16
	v_lshl_add_u64 v[16:17], v[16:17], 3, s[30:31]
	global_load_dwordx2 v[16:17], v[16:17], off
	s_waitcnt vmcnt(1)
	v_cvt_f64_f32_e32 v[18:19], v18
	v_mul_f64 v[18:19], v[4:5], v[18:19]
	s_waitcnt vmcnt(0)
	v_fmac_f64_e32 v[8:9], v[18:19], v[16:17]
	s_andn2_b64 exec, exec, s[50:51]
	s_cbranch_execnz .LBB91_12
; %bb.13:                               ;   in Loop: Header=BB91_10 Depth=1
	s_or_b64 exec, exec, s[50:51]
.LBB91_14:                              ;   in Loop: Header=BB91_10 Depth=1
	s_or_b64 exec, exec, s[48:49]
	ds_write_b64 v14, v[8:9]
	s_waitcnt lgkmcnt(0)
	s_barrier
	s_and_saveexec_b64 s[20:21], vcc
	s_cbranch_execz .LBB91_16
; %bb.15:                               ;   in Loop: Header=BB91_10 Depth=1
	ds_read2st64_b64 v[6:9], v14 offset1:2
	s_waitcnt lgkmcnt(0)
	v_add_f64 v[6:7], v[6:7], v[8:9]
	ds_write_b64 v14, v[6:7]
.LBB91_16:                              ;   in Loop: Header=BB91_10 Depth=1
	s_or_b64 exec, exec, s[20:21]
	s_waitcnt lgkmcnt(0)
	s_barrier
	s_and_saveexec_b64 s[20:21], s[4:5]
	s_cbranch_execz .LBB91_18
; %bb.17:                               ;   in Loop: Header=BB91_10 Depth=1
	ds_read2st64_b64 v[6:9], v14 offset1:1
	s_waitcnt lgkmcnt(0)
	v_add_f64 v[6:7], v[6:7], v[8:9]
	ds_write_b64 v14, v[6:7]
.LBB91_18:                              ;   in Loop: Header=BB91_10 Depth=1
	s_or_b64 exec, exec, s[20:21]
	s_waitcnt lgkmcnt(0)
	s_barrier
	s_and_saveexec_b64 s[20:21], s[6:7]
	s_cbranch_execz .LBB91_20
; %bb.19:                               ;   in Loop: Header=BB91_10 Depth=1
	ds_read2_b64 v[6:9], v14 offset1:32
	s_waitcnt lgkmcnt(0)
	v_add_f64 v[6:7], v[6:7], v[8:9]
	ds_write_b64 v14, v[6:7]
.LBB91_20:                              ;   in Loop: Header=BB91_10 Depth=1
	s_or_b64 exec, exec, s[20:21]
	s_waitcnt lgkmcnt(0)
	s_barrier
	s_and_saveexec_b64 s[20:21], s[8:9]
	s_cbranch_execz .LBB91_22
; %bb.21:                               ;   in Loop: Header=BB91_10 Depth=1
	ds_read2_b64 v[6:9], v14 offset1:16
	s_waitcnt lgkmcnt(0)
	v_add_f64 v[6:7], v[6:7], v[8:9]
	ds_write_b64 v14, v[6:7]
.LBB91_22:                              ;   in Loop: Header=BB91_10 Depth=1
	;; [unrolled: 11-line block ×5, first 2 shown]
	s_or_b64 exec, exec, s[20:21]
	s_waitcnt lgkmcnt(0)
	s_barrier
	s_and_saveexec_b64 s[20:21], s[16:17]
	s_cbranch_execz .LBB91_30
; %bb.29:                               ;   in Loop: Header=BB91_10 Depth=1
	ds_read_b128 v[6:9], v15
	s_waitcnt lgkmcnt(0)
	v_add_f64 v[6:7], v[6:7], v[8:9]
	ds_write_b64 v15, v[6:7]
.LBB91_30:                              ;   in Loop: Header=BB91_10 Depth=1
	s_or_b64 exec, exec, s[20:21]
	s_waitcnt lgkmcnt(0)
	s_barrier
	s_and_saveexec_b64 s[20:21], s[16:17]
	s_cbranch_execz .LBB91_9
; %bb.31:                               ;   in Loop: Header=BB91_10 Depth=1
	ds_read_b64 v[6:7], v15
	s_and_saveexec_b64 s[48:49], s[18:19]
	s_cbranch_execz .LBB91_8
; %bb.32:                               ;   in Loop: Header=BB91_10 Depth=1
	s_lshl_b64 s[50:51], s[46:47], 3
	s_add_u32 s50, s22, s50
	s_addc_u32 s51, s23, s51
	global_load_dwordx2 v[8:9], v15, s[50:51]
	s_waitcnt vmcnt(0) lgkmcnt(0)
	v_fmac_f64_e32 v[6:7], v[2:3], v[8:9]
	s_branch .LBB91_8
.LBB91_33:
	s_mov_b64 s[18:19], 0
.LBB91_34:
	s_and_b64 vcc, exec, s[18:19]
	s_cbranch_vccz .LBB91_69
; %bb.35:
	s_load_dwordx2 s[4:5], s[0:1], 0x10
	s_sub_i32 s6, s2, s33
	v_mov_b32_e32 v8, 0
	v_or_b32_e32 v6, s33, v0
	v_cmp_eq_u32_e32 vcc, 0, v6
	s_waitcnt lgkmcnt(0)
	s_add_u32 s2, s4, s42
	s_addc_u32 s3, s5, s43
	global_load_dword v1, v8, s[2:3]
	v_mov_b64_e32 v[6:7], 0
	s_and_saveexec_b64 s[8:9], vcc
	s_cbranch_execz .LBB91_39
; %bb.36:
	s_lshl_b64 s[12:13], s[40:41], 3
	s_add_u32 s12, s22, s12
	s_addc_u32 s13, s23, s13
	global_load_dwordx2 v[6:7], v8, s[12:13]
	s_mov_b64 s[10:11], exec
	v_mbcnt_lo_u32_b32 v10, s10, 0
	v_mbcnt_hi_u32_b32 v10, s11, v10
	v_add_f64 v[8:9], v[2:3], -1.0
	v_cmp_eq_u32_e32 vcc, 0, v10
	s_waitcnt vmcnt(0) expcnt(0) lgkmcnt(0)
	s_and_saveexec_b64 s[12:13], vcc
	s_cbranch_execz .LBB91_38
; %bb.37:
	s_ashr_i32 s7, s6, 31
	s_lshl_b64 s[14:15], s[6:7], 2
	s_add_u32 s14, s4, s14
	s_addc_u32 s15, s5, s15
	s_bcnt1_i32_b64 s7, s[10:11]
	s_and_b32 s7, s7, 1
	v_mov_b32_e32 v10, 0
	v_mov_b32_e32 v11, s7
	global_atomic_xor v10, v11, s[14:15]
.LBB91_38:
	s_or_b64 exec, exec, s[12:13]
	v_mul_f64 v[6:7], v[8:9], v[6:7]
.LBB91_39:
	s_or_b64 exec, exec, s[8:9]
	s_load_dword s8, s[36:37], 0x4
	s_mul_i32 s7, s33, 0xc00
	s_sub_i32 s9, s39, s38
	s_add_i32 s7, s9, s7
	v_add_u32_e32 v8, s7, v0
	s_waitcnt lgkmcnt(0)
	s_sub_i32 s10, s8, s38
	v_cmp_gt_i32_e32 vcc, s10, v8
	s_and_saveexec_b64 s[8:9], vcc
	s_cbranch_execz .LBB91_43
; %bb.40:
	v_ashrrev_i32_e32 v9, 31, v8
	s_addk_i32 s7, 0xc00
	v_lshlrev_b64 v[12:13], 2, v[8:9]
	s_min_i32 s7, s7, s10
	v_lshl_add_u64 v[10:11], s[28:29], 0, v[12:13]
	v_lshl_add_u64 v[12:13], s[26:27], 0, v[12:13]
	s_mov_b64 s[10:11], 0
	s_mov_b64 s[12:13], 0x400
.LBB91_41:                              ; =>This Inner Loop Header: Depth=1
	global_load_dword v9, v[12:13], off
	global_load_dword v16, v[10:11], off
	v_add_u32_e32 v8, 0x100, v8
	v_cmp_le_i32_e32 vcc, s7, v8
	v_lshl_add_u64 v[10:11], v[10:11], 0, s[12:13]
	v_lshl_add_u64 v[12:13], v[12:13], 0, s[12:13]
	s_or_b64 s[10:11], vcc, s[10:11]
	s_waitcnt vmcnt(1)
	v_subrev_u32_e32 v14, s38, v9
	v_ashrrev_i32_e32 v15, 31, v14
	v_lshl_add_u64 v[14:15], v[14:15], 3, s[30:31]
	global_load_dwordx2 v[14:15], v[14:15], off
	s_waitcnt vmcnt(1)
	v_cvt_f64_f32_e32 v[16:17], v16
	v_mul_f64 v[16:17], v[4:5], v[16:17]
	s_waitcnt vmcnt(0)
	v_fmac_f64_e32 v[6:7], v[16:17], v[14:15]
	s_andn2_b64 exec, exec, s[10:11]
	s_cbranch_execnz .LBB91_41
; %bb.42:
	s_or_b64 exec, exec, s[10:11]
.LBB91_43:
	s_or_b64 exec, exec, s[8:9]
	s_movk_i32 s7, 0x80
	v_lshlrev_b32_e32 v8, 3, v0
	v_cmp_gt_u32_e32 vcc, s7, v0
	ds_write_b64 v8, v[6:7]
	s_waitcnt lgkmcnt(0)
	s_barrier
	s_and_saveexec_b64 s[8:9], vcc
	s_cbranch_execz .LBB91_45
; %bb.44:
	ds_read2st64_b64 v[10:13], v8 offset1:2
	s_waitcnt lgkmcnt(0)
	v_add_f64 v[6:7], v[10:11], v[12:13]
	ds_write_b64 v8, v[6:7]
.LBB91_45:
	s_or_b64 exec, exec, s[8:9]
	v_cmp_gt_u32_e32 vcc, 64, v0
	s_waitcnt lgkmcnt(0)
	s_barrier
	s_and_saveexec_b64 s[8:9], vcc
	s_cbranch_execz .LBB91_47
; %bb.46:
	ds_read2st64_b64 v[10:13], v8 offset1:1
	s_waitcnt lgkmcnt(0)
	v_add_f64 v[6:7], v[10:11], v[12:13]
	ds_write_b64 v8, v[6:7]
.LBB91_47:
	s_or_b64 exec, exec, s[8:9]
	v_cmp_gt_u32_e32 vcc, 32, v0
	s_waitcnt lgkmcnt(0)
	s_barrier
	s_and_saveexec_b64 s[8:9], vcc
	s_cbranch_execz .LBB91_49
; %bb.48:
	ds_read2_b64 v[10:13], v8 offset1:32
	s_waitcnt lgkmcnt(0)
	v_add_f64 v[6:7], v[10:11], v[12:13]
	ds_write_b64 v8, v[6:7]
.LBB91_49:
	s_or_b64 exec, exec, s[8:9]
	v_cmp_gt_u32_e32 vcc, 16, v0
	s_waitcnt lgkmcnt(0)
	s_barrier
	s_and_saveexec_b64 s[8:9], vcc
	s_cbranch_execz .LBB91_51
; %bb.50:
	ds_read2_b64 v[10:13], v8 offset1:16
	s_waitcnt lgkmcnt(0)
	v_add_f64 v[6:7], v[10:11], v[12:13]
	ds_write_b64 v8, v[6:7]
.LBB91_51:
	;; [unrolled: 12-line block ×5, first 2 shown]
	s_or_b64 exec, exec, s[8:9]
	v_cmp_eq_u32_e32 vcc, 0, v0
	s_waitcnt lgkmcnt(0)
	s_barrier
	s_and_saveexec_b64 s[8:9], vcc
	s_cbranch_execz .LBB91_59
; %bb.58:
	v_mov_b32_e32 v10, 0
	ds_read_b128 v[6:9], v10
	s_waitcnt lgkmcnt(0)
	v_add_f64 v[6:7], v[6:7], v[8:9]
	ds_write_b64 v10, v[6:7]
.LBB91_59:
	s_or_b64 exec, exec, s[8:9]
	s_waitcnt lgkmcnt(0)
	s_barrier
	s_and_saveexec_b64 s[8:9], vcc
	s_cbranch_execz .LBB91_68
; %bb.60:
	s_cmp_eq_u32 s33, 0
	s_cbranch_scc1 .LBB91_66
; %bb.61:
	s_ashr_i32 s7, s6, 31
	s_lshl_b64 s[6:7], s[6:7], 2
	s_add_u32 s4, s4, s6
	s_addc_u32 s5, s5, s7
	v_mov_b32_e32 v6, 0
	s_branch .LBB91_63
.LBB91_62:                              ;   in Loop: Header=BB91_63 Depth=1
	s_or_b64 exec, exec, s[6:7]
	s_waitcnt vmcnt(0)
	v_readfirstlane_b32 s6, v7
	s_nop 1
	v_cmp_eq_u32_e32 vcc, s6, v1
	s_cbranch_vccz .LBB91_65
.LBB91_63:                              ; =>This Inner Loop Header: Depth=1
	v_mbcnt_lo_u32_b32 v7, exec_lo, 0
	v_mbcnt_hi_u32_b32 v7, exec_hi, v7
	v_cmp_eq_u32_e32 vcc, 0, v7
                                        ; implicit-def: $vgpr7
	s_and_saveexec_b64 s[6:7], vcc
	s_cbranch_execz .LBB91_62
; %bb.64:                               ;   in Loop: Header=BB91_63 Depth=1
	global_load_dword v7, v6, s[4:5] sc1
	s_branch .LBB91_62
.LBB91_65:
	v_mov_b32_e32 v1, 0
	global_load_ushort v6, v1, s[2:3]
	s_waitcnt vmcnt(0)
	v_xor_b32_e32 v6, 1, v6
	global_store_short v1, v6, s[2:3]
.LBB91_66:
	s_mov_b64 s[2:3], exec
	s_waitcnt vmcnt(0)
	v_mbcnt_lo_u32_b32 v1, s2, 0
	v_mbcnt_hi_u32_b32 v1, s3, v1
	v_cmp_eq_u32_e32 vcc, 0, v1
	s_and_b64 s[4:5], exec, vcc
	s_mov_b64 exec, s[4:5]
	s_cbranch_execz .LBB91_68
; %bb.67:
	v_mov_b32_e32 v1, 0
	ds_read_b64 v[6:7], v1
	s_lshl_b64 s[4:5], s[40:41], 3
	s_add_u32 s4, s22, s4
	s_addc_u32 s5, s23, s5
	s_bcnt1_i32_b64 s2, s[2:3]
	v_cvt_f64_u32_e32 v[8:9], s2
	s_waitcnt lgkmcnt(0)
	v_mul_f64 v[6:7], v[6:7], v[8:9]
	global_atomic_add_f64 v1, v[6:7], s[4:5]
.LBB91_68:
	s_or_b64 exec, exec, s[8:9]
.LBB91_69:
	s_mov_b64 s[4:5], 0
.LBB91_70:
	s_andn2_b64 vcc, exec, s[4:5]
	s_cbranch_vccnz .LBB91_114
; %bb.71:
	s_load_dword s0, s[0:1], 0x4
	s_waitcnt vmcnt(0)
	v_subrev_u32_e32 v1, s38, v0
	s_waitcnt lgkmcnt(0)
	v_add_u32_e32 v6, s39, v1
	v_add_u32_e32 v1, 0x300, v6
	v_cmp_le_i32_e32 vcc, s0, v1
	s_and_saveexec_b64 s[0:1], vcc
	s_xor_b64 s[0:1], exec, s[0:1]
	s_cbranch_execz .LBB91_76
; %bb.72:
	s_ashr_i32 s3, s35, 31
	s_mov_b32 s2, s35
	s_lshl_b64 s[2:3], s[2:3], 2
	s_add_u32 s2, s24, s2
	s_addc_u32 s3, s25, s3
	s_load_dword s2, s[2:3], 0x0
	s_waitcnt lgkmcnt(0)
	s_sub_i32 s6, s2, s38
	v_cmp_gt_i32_e32 vcc, s6, v6
	s_and_saveexec_b64 s[2:3], vcc
	s_cbranch_execz .LBB91_75
; %bb.73:
	v_lshlrev_b32_e32 v1, 3, v0
	s_mov_b64 s[4:5], 0
.LBB91_74:                              ; =>This Inner Loop Header: Depth=1
	v_ashrrev_i32_e32 v7, 31, v6
	v_lshlrev_b64 v[8:9], 2, v[6:7]
	v_lshl_add_u64 v[10:11], s[26:27], 0, v[8:9]
	global_load_dword v7, v[10:11], off
	v_lshl_add_u64 v[8:9], s[28:29], 0, v[8:9]
	global_load_dword v10, v[8:9], off
	v_add_u32_e32 v6, 0x100, v6
	v_cmp_le_i32_e32 vcc, s6, v6
	s_or_b64 s[4:5], vcc, s[4:5]
	s_waitcnt vmcnt(1)
	v_subrev_u32_e32 v8, s38, v7
	v_ashrrev_i32_e32 v9, 31, v8
	v_lshl_add_u64 v[8:9], v[8:9], 3, s[30:31]
	global_load_dwordx2 v[8:9], v[8:9], off
	s_waitcnt vmcnt(1)
	v_cvt_f64_f32_e32 v[10:11], v10
	v_mul_f64 v[10:11], v[4:5], v[10:11]
	s_waitcnt vmcnt(0)
	v_mul_f64 v[8:9], v[10:11], v[8:9]
	ds_write_b64 v1, v[8:9]
	v_add_u32_e32 v1, 0x800, v1
	s_andn2_b64 exec, exec, s[4:5]
	s_cbranch_execnz .LBB91_74
.LBB91_75:
	s_or_b64 exec, exec, s[2:3]
                                        ; implicit-def: $vgpr6
                                        ; implicit-def: $vgpr4_vgpr5
.LBB91_76:
	s_or_saveexec_b64 s[0:1], s[0:1]
	v_lshlrev_b32_e32 v10, 3, v0
	s_xor_b64 exec, exec, s[0:1]
	s_cbranch_execz .LBB91_78
; %bb.77:
	v_ashrrev_i32_e32 v7, 31, v6
	v_lshlrev_b64 v[6:7], 2, v[6:7]
	v_lshl_add_u64 v[8:9], s[26:27], 0, v[6:7]
	global_load_dword v1, v[8:9], off
	global_load_dword v11, v[8:9], off offset:1024
	global_load_dword v12, v[8:9], off offset:2048
	;; [unrolled: 1-line block ×3, first 2 shown]
	v_lshl_add_u64 v[6:7], s[28:29], 0, v[6:7]
	global_load_dword v24, v[6:7], off
	global_load_dword v25, v[6:7], off offset:1024
	global_load_dword v26, v[6:7], off offset:2048
	;; [unrolled: 1-line block ×3, first 2 shown]
	s_waitcnt vmcnt(7)
	v_subrev_u32_e32 v6, s38, v1
	s_waitcnt vmcnt(6)
	v_subrev_u32_e32 v8, s38, v11
	;; [unrolled: 2-line block ×4, first 2 shown]
	v_ashrrev_i32_e32 v7, 31, v6
	v_ashrrev_i32_e32 v9, 31, v8
	;; [unrolled: 1-line block ×4, first 2 shown]
	v_lshl_add_u64 v[6:7], v[6:7], 3, s[30:31]
	v_lshl_add_u64 v[8:9], v[8:9], 3, s[30:31]
	;; [unrolled: 1-line block ×4, first 2 shown]
	global_load_dwordx2 v[16:17], v[6:7], off
	global_load_dwordx2 v[18:19], v[8:9], off
	;; [unrolled: 1-line block ×4, first 2 shown]
	s_waitcnt vmcnt(7)
	v_cvt_f64_f32_e32 v[6:7], v24
	s_waitcnt vmcnt(6)
	v_cvt_f64_f32_e32 v[8:9], v25
	;; [unrolled: 2-line block ×4, first 2 shown]
	v_mul_f64 v[6:7], v[4:5], v[6:7]
	v_mul_f64 v[8:9], v[4:5], v[8:9]
	;; [unrolled: 1-line block ×4, first 2 shown]
	s_waitcnt vmcnt(3)
	v_mul_f64 v[6:7], v[6:7], v[16:17]
	s_waitcnt vmcnt(2)
	v_mul_f64 v[8:9], v[8:9], v[18:19]
	;; [unrolled: 2-line block ×4, first 2 shown]
	ds_write2st64_b64 v10, v[6:7], v[8:9] offset1:4
	ds_write2st64_b64 v10, v[12:13], v[4:5] offset0:8 offset1:12
.LBB91_78:
	s_or_b64 exec, exec, s[0:1]
	s_cmp_lt_i32 s33, 2
	s_mov_b64 s[0:1], -1
	s_waitcnt lgkmcnt(0)
	s_barrier
	s_cbranch_scc0 .LBB91_89
; %bb.79:
	v_add_u32_e32 v4, s34, v0
	v_cmp_gt_i32_e32 vcc, s35, v4
	s_and_saveexec_b64 s[2:3], vcc
	s_cbranch_execz .LBB91_88
; %bb.80:
	s_lshl_b32 s0, s39, 3
	s_mov_b64 s[4:5], 0
	v_cmp_neq_f64_e32 vcc, 0, v[2:3]
	s_sub_i32 s10, 0, s0
	s_branch .LBB91_82
.LBB91_81:                              ;   in Loop: Header=BB91_82 Depth=1
	s_or_b64 exec, exec, s[0:1]
	v_add_u32_e32 v4, 0x100, v4
	v_cmp_le_i32_e64 s[0:1], s35, v4
	s_or_b64 s[4:5], s[0:1], s[4:5]
	global_store_dwordx2 v[8:9], v[6:7], off
	s_andn2_b64 exec, exec, s[4:5]
	s_cbranch_execz .LBB91_88
.LBB91_82:                              ; =>This Loop Header: Depth=1
                                        ;     Child Loop BB91_84 Depth 2
	v_ashrrev_i32_e32 v5, 31, v4
	v_lshl_add_u64 v[6:7], v[4:5], 2, s[24:25]
	global_load_dwordx2 v[8:9], v[6:7], off
	v_mov_b64_e32 v[6:7], 0
	s_waitcnt vmcnt(0)
	v_cmp_lt_i32_e64 s[0:1], v8, v9
	s_and_saveexec_b64 s[6:7], s[0:1]
	s_cbranch_execz .LBB91_86
; %bb.83:                               ;   in Loop: Header=BB91_82 Depth=1
	v_subrev_u32_e32 v1, s39, v9
	v_subrev_u32_e32 v9, s39, v8
	v_lshl_add_u32 v8, v8, 3, s10
	v_mov_b64_e32 v[6:7], 0
	s_mov_b64 s[8:9], 0
.LBB91_84:                              ;   Parent Loop BB91_82 Depth=1
                                        ; =>  This Inner Loop Header: Depth=2
	ds_read_b64 v[12:13], v8
	v_add_u32_e32 v9, 1, v9
	v_cmp_ge_i32_e64 s[0:1], v9, v1
	v_add_u32_e32 v8, 8, v8
	s_or_b64 s[8:9], s[0:1], s[8:9]
	s_waitcnt lgkmcnt(0)
	v_add_f64 v[6:7], v[6:7], v[12:13]
	s_andn2_b64 exec, exec, s[8:9]
	s_cbranch_execnz .LBB91_84
; %bb.85:                               ;   in Loop: Header=BB91_82 Depth=1
	s_or_b64 exec, exec, s[8:9]
.LBB91_86:                              ;   in Loop: Header=BB91_82 Depth=1
	s_or_b64 exec, exec, s[6:7]
	v_lshl_add_u64 v[8:9], v[4:5], 3, s[22:23]
	s_and_saveexec_b64 s[0:1], vcc
	s_cbranch_execz .LBB91_81
; %bb.87:                               ;   in Loop: Header=BB91_82 Depth=1
	global_load_dwordx2 v[12:13], v[8:9], off
	s_waitcnt vmcnt(0)
	v_fmac_f64_e32 v[6:7], v[2:3], v[12:13]
	s_branch .LBB91_81
.LBB91_88:
	s_or_b64 exec, exec, s[2:3]
	s_mov_b64 s[0:1], 0
.LBB91_89:
	s_andn2_b64 vcc, exec, s[0:1]
	s_cbranch_vccnz .LBB91_114
; %bb.90:
	s_flbit_i32_b32 s0, s33
	s_xor_b32 s0, s0, 31
	v_lshrrev_b32_e32 v6, s0, v0
	v_add_u32_e32 v4, s34, v6
	s_add_i32 s0, s33, -1
	v_and_b32_e32 v5, s0, v0
	v_cmp_le_i32_e32 vcc, s35, v4
	v_cmp_gt_i32_e64 s[0:1], s35, v4
	v_mov_b64_e32 v[0:1], 0
	s_and_saveexec_b64 s[2:3], s[0:1]
	s_cbranch_execz .LBB91_96
; %bb.91:
	v_lshlrev_b32_e32 v0, 2, v6
	global_load_dwordx2 v[0:1], v0, s[36:37]
	v_subrev_u32_e32 v7, s39, v5
	s_waitcnt vmcnt(0)
	v_subrev_u32_e32 v6, s39, v1
	v_add_u32_e32 v7, v0, v7
	v_cmp_lt_i32_e64 s[0:1], v7, v6
	v_mov_b64_e32 v[0:1], 0
	s_and_saveexec_b64 s[4:5], s[0:1]
	s_cbranch_execz .LBB91_95
; %bb.92:
	v_lshlrev_b32_e32 v8, 3, v7
	s_lshl_b32 s8, s33, 3
	v_mov_b64_e32 v[0:1], 0
	s_mov_b64 s[6:7], 0
.LBB91_93:                              ; =>This Inner Loop Header: Depth=1
	ds_read_b64 v[12:13], v8
	v_add_u32_e32 v7, s33, v7
	v_cmp_ge_i32_e64 s[0:1], v7, v6
	v_add_u32_e32 v8, s8, v8
	s_or_b64 s[6:7], s[0:1], s[6:7]
	s_waitcnt lgkmcnt(0)
	v_add_f64 v[0:1], v[0:1], v[12:13]
	s_andn2_b64 exec, exec, s[6:7]
	s_cbranch_execnz .LBB91_93
; %bb.94:
	s_or_b64 exec, exec, s[6:7]
.LBB91_95:
	s_or_b64 exec, exec, s[4:5]
.LBB91_96:
	s_or_b64 exec, exec, s[2:3]
	s_cmpk_lt_u32 s33, 0x81
	s_barrier
	ds_write_b64 v10, v[0:1]
	s_waitcnt lgkmcnt(0)
	s_barrier
	s_cbranch_scc1 .LBB91_98
; %bb.97:
	ds_read_b64 v[6:7], v10 offset:1024
	s_waitcnt lgkmcnt(0)
	s_barrier
	v_add_f64 v[0:1], v[0:1], v[6:7]
	ds_write_b64 v10, v[0:1]
.LBB91_98:
	s_cmpk_lt_u32 s33, 0x41
	s_waitcnt lgkmcnt(0)
	s_barrier
	s_cbranch_scc1 .LBB91_100
; %bb.99:
	ds_read_b64 v[6:7], v10 offset:512
	s_waitcnt lgkmcnt(0)
	s_barrier
	v_add_f64 v[0:1], v[0:1], v[6:7]
	ds_write_b64 v10, v[0:1]
.LBB91_100:
	s_cmp_lt_u32 s33, 33
	s_waitcnt lgkmcnt(0)
	s_barrier
	s_cbranch_scc1 .LBB91_102
; %bb.101:
	ds_read_b64 v[6:7], v10 offset:256
	s_waitcnt lgkmcnt(0)
	s_barrier
	v_add_f64 v[0:1], v[0:1], v[6:7]
	ds_write_b64 v10, v[0:1]
.LBB91_102:
	s_cmp_lt_u32 s33, 17
	;; [unrolled: 11-line block ×4, first 2 shown]
	s_waitcnt lgkmcnt(0)
	s_barrier
	s_cbranch_scc1 .LBB91_108
; %bb.107:
	ds_read_b64 v[6:7], v10 offset:32
	s_waitcnt lgkmcnt(0)
	s_barrier
	v_add_f64 v[0:1], v[0:1], v[6:7]
	ds_write_b64 v10, v[0:1]
.LBB91_108:
	s_cmp_eq_u32 s33, 2
	s_waitcnt lgkmcnt(0)
	s_barrier
	s_cbranch_scc1 .LBB91_110
; %bb.109:
	ds_read_b64 v[6:7], v10 offset:16
	s_waitcnt lgkmcnt(0)
	s_barrier
	v_add_f64 v[0:1], v[0:1], v[6:7]
	ds_write_b64 v10, v[0:1]
.LBB91_110:
	s_waitcnt lgkmcnt(0)
	s_barrier
	ds_read_b64 v[6:7], v10 offset:8
	v_cmp_eq_u32_e64 s[0:1], 0, v5
	s_xor_b64 s[2:3], vcc, -1
	s_and_b64 s[0:1], s[0:1], s[2:3]
	s_waitcnt lgkmcnt(0)
	v_add_f64 v[0:1], v[0:1], v[6:7]
	s_barrier
	ds_write_b64 v10, v[0:1]
	s_and_b64 exec, exec, s[0:1]
	s_cbranch_execz .LBB91_114
; %bb.111:
	v_ashrrev_i32_e32 v5, 31, v4
	v_cmp_neq_f64_e32 vcc, 0, v[2:3]
	v_lshl_add_u64 v[4:5], v[4:5], 3, s[22:23]
	s_and_saveexec_b64 s[0:1], vcc
	s_cbranch_execz .LBB91_113
; %bb.112:
	global_load_dwordx2 v[6:7], v[4:5], off
	s_waitcnt vmcnt(0)
	v_fmac_f64_e32 v[0:1], v[2:3], v[6:7]
.LBB91_113:
	s_or_b64 exec, exec, s[0:1]
	global_store_dwordx2 v[4:5], v[0:1], off
.LBB91_114:
	s_endpgm
	.section	.rodata,"a",@progbits
	.p2align	6, 0x0
	.amdhsa_kernel _ZN9rocsparseL22csrmvn_adaptive_kernelIiifdddEEvbT_PKS1_PjPKT0_NS_24const_host_device_scalarIT4_EES3_S7_PKT1_PKT2_SA_PT3_21rocsparse_index_base_b
		.amdhsa_group_segment_fixed_size 8192
		.amdhsa_private_segment_fixed_size 0
		.amdhsa_kernarg_size 96
		.amdhsa_user_sgpr_count 2
		.amdhsa_user_sgpr_dispatch_ptr 0
		.amdhsa_user_sgpr_queue_ptr 0
		.amdhsa_user_sgpr_kernarg_segment_ptr 1
		.amdhsa_user_sgpr_dispatch_id 0
		.amdhsa_user_sgpr_kernarg_preload_length 0
		.amdhsa_user_sgpr_kernarg_preload_offset 0
		.amdhsa_user_sgpr_private_segment_size 0
		.amdhsa_uses_dynamic_stack 0
		.amdhsa_enable_private_segment 0
		.amdhsa_system_sgpr_workgroup_id_x 1
		.amdhsa_system_sgpr_workgroup_id_y 0
		.amdhsa_system_sgpr_workgroup_id_z 0
		.amdhsa_system_sgpr_workgroup_info 0
		.amdhsa_system_vgpr_workitem_id 0
		.amdhsa_next_free_vgpr 28
		.amdhsa_next_free_sgpr 52
		.amdhsa_accum_offset 28
		.amdhsa_reserve_vcc 1
		.amdhsa_float_round_mode_32 0
		.amdhsa_float_round_mode_16_64 0
		.amdhsa_float_denorm_mode_32 3
		.amdhsa_float_denorm_mode_16_64 3
		.amdhsa_dx10_clamp 1
		.amdhsa_ieee_mode 1
		.amdhsa_fp16_overflow 0
		.amdhsa_tg_split 0
		.amdhsa_exception_fp_ieee_invalid_op 0
		.amdhsa_exception_fp_denorm_src 0
		.amdhsa_exception_fp_ieee_div_zero 0
		.amdhsa_exception_fp_ieee_overflow 0
		.amdhsa_exception_fp_ieee_underflow 0
		.amdhsa_exception_fp_ieee_inexact 0
		.amdhsa_exception_int_div_zero 0
	.end_amdhsa_kernel
	.section	.text._ZN9rocsparseL22csrmvn_adaptive_kernelIiifdddEEvbT_PKS1_PjPKT0_NS_24const_host_device_scalarIT4_EES3_S7_PKT1_PKT2_SA_PT3_21rocsparse_index_base_b,"axG",@progbits,_ZN9rocsparseL22csrmvn_adaptive_kernelIiifdddEEvbT_PKS1_PjPKT0_NS_24const_host_device_scalarIT4_EES3_S7_PKT1_PKT2_SA_PT3_21rocsparse_index_base_b,comdat
.Lfunc_end91:
	.size	_ZN9rocsparseL22csrmvn_adaptive_kernelIiifdddEEvbT_PKS1_PjPKT0_NS_24const_host_device_scalarIT4_EES3_S7_PKT1_PKT2_SA_PT3_21rocsparse_index_base_b, .Lfunc_end91-_ZN9rocsparseL22csrmvn_adaptive_kernelIiifdddEEvbT_PKS1_PjPKT0_NS_24const_host_device_scalarIT4_EES3_S7_PKT1_PKT2_SA_PT3_21rocsparse_index_base_b
                                        ; -- End function
	.set _ZN9rocsparseL22csrmvn_adaptive_kernelIiifdddEEvbT_PKS1_PjPKT0_NS_24const_host_device_scalarIT4_EES3_S7_PKT1_PKT2_SA_PT3_21rocsparse_index_base_b.num_vgpr, 28
	.set _ZN9rocsparseL22csrmvn_adaptive_kernelIiifdddEEvbT_PKS1_PjPKT0_NS_24const_host_device_scalarIT4_EES3_S7_PKT1_PKT2_SA_PT3_21rocsparse_index_base_b.num_agpr, 0
	.set _ZN9rocsparseL22csrmvn_adaptive_kernelIiifdddEEvbT_PKS1_PjPKT0_NS_24const_host_device_scalarIT4_EES3_S7_PKT1_PKT2_SA_PT3_21rocsparse_index_base_b.numbered_sgpr, 52
	.set _ZN9rocsparseL22csrmvn_adaptive_kernelIiifdddEEvbT_PKS1_PjPKT0_NS_24const_host_device_scalarIT4_EES3_S7_PKT1_PKT2_SA_PT3_21rocsparse_index_base_b.num_named_barrier, 0
	.set _ZN9rocsparseL22csrmvn_adaptive_kernelIiifdddEEvbT_PKS1_PjPKT0_NS_24const_host_device_scalarIT4_EES3_S7_PKT1_PKT2_SA_PT3_21rocsparse_index_base_b.private_seg_size, 0
	.set _ZN9rocsparseL22csrmvn_adaptive_kernelIiifdddEEvbT_PKS1_PjPKT0_NS_24const_host_device_scalarIT4_EES3_S7_PKT1_PKT2_SA_PT3_21rocsparse_index_base_b.uses_vcc, 1
	.set _ZN9rocsparseL22csrmvn_adaptive_kernelIiifdddEEvbT_PKS1_PjPKT0_NS_24const_host_device_scalarIT4_EES3_S7_PKT1_PKT2_SA_PT3_21rocsparse_index_base_b.uses_flat_scratch, 0
	.set _ZN9rocsparseL22csrmvn_adaptive_kernelIiifdddEEvbT_PKS1_PjPKT0_NS_24const_host_device_scalarIT4_EES3_S7_PKT1_PKT2_SA_PT3_21rocsparse_index_base_b.has_dyn_sized_stack, 0
	.set _ZN9rocsparseL22csrmvn_adaptive_kernelIiifdddEEvbT_PKS1_PjPKT0_NS_24const_host_device_scalarIT4_EES3_S7_PKT1_PKT2_SA_PT3_21rocsparse_index_base_b.has_recursion, 0
	.set _ZN9rocsparseL22csrmvn_adaptive_kernelIiifdddEEvbT_PKS1_PjPKT0_NS_24const_host_device_scalarIT4_EES3_S7_PKT1_PKT2_SA_PT3_21rocsparse_index_base_b.has_indirect_call, 0
	.section	.AMDGPU.csdata,"",@progbits
; Kernel info:
; codeLenInByte = 3684
; TotalNumSgprs: 58
; NumVgprs: 28
; NumAgprs: 0
; TotalNumVgprs: 28
; ScratchSize: 0
; MemoryBound: 0
; FloatMode: 240
; IeeeMode: 1
; LDSByteSize: 8192 bytes/workgroup (compile time only)
; SGPRBlocks: 7
; VGPRBlocks: 3
; NumSGPRsForWavesPerEU: 58
; NumVGPRsForWavesPerEU: 28
; AccumOffset: 28
; Occupancy: 8
; WaveLimiterHint : 1
; COMPUTE_PGM_RSRC2:SCRATCH_EN: 0
; COMPUTE_PGM_RSRC2:USER_SGPR: 2
; COMPUTE_PGM_RSRC2:TRAP_HANDLER: 0
; COMPUTE_PGM_RSRC2:TGID_X_EN: 1
; COMPUTE_PGM_RSRC2:TGID_Y_EN: 0
; COMPUTE_PGM_RSRC2:TGID_Z_EN: 0
; COMPUTE_PGM_RSRC2:TIDIG_COMP_CNT: 0
; COMPUTE_PGM_RSRC3_GFX90A:ACCUM_OFFSET: 6
; COMPUTE_PGM_RSRC3_GFX90A:TG_SPLIT: 0
	.section	.text._ZN9rocsparseL27csrmvn_symm_adaptive_kernelIiifdddEEvbT_S1_PKS1_NS_24const_host_device_scalarIT4_EES3_PKT0_PKT1_PKT2_S6_PT3_21rocsparse_index_base_b,"axG",@progbits,_ZN9rocsparseL27csrmvn_symm_adaptive_kernelIiifdddEEvbT_S1_PKS1_NS_24const_host_device_scalarIT4_EES3_PKT0_PKT1_PKT2_S6_PT3_21rocsparse_index_base_b,comdat
	.globl	_ZN9rocsparseL27csrmvn_symm_adaptive_kernelIiifdddEEvbT_S1_PKS1_NS_24const_host_device_scalarIT4_EES3_PKT0_PKT1_PKT2_S6_PT3_21rocsparse_index_base_b ; -- Begin function _ZN9rocsparseL27csrmvn_symm_adaptive_kernelIiifdddEEvbT_S1_PKS1_NS_24const_host_device_scalarIT4_EES3_PKT0_PKT1_PKT2_S6_PT3_21rocsparse_index_base_b
	.p2align	8
	.type	_ZN9rocsparseL27csrmvn_symm_adaptive_kernelIiifdddEEvbT_S1_PKS1_NS_24const_host_device_scalarIT4_EES3_PKT0_PKT1_PKT2_S6_PT3_21rocsparse_index_base_b,@function
_ZN9rocsparseL27csrmvn_symm_adaptive_kernelIiifdddEEvbT_S1_PKS1_NS_24const_host_device_scalarIT4_EES3_PKT0_PKT1_PKT2_S6_PT3_21rocsparse_index_base_b: ; @_ZN9rocsparseL27csrmvn_symm_adaptive_kernelIiifdddEEvbT_S1_PKS1_NS_24const_host_device_scalarIT4_EES3_PKT0_PKT1_PKT2_S6_PT3_21rocsparse_index_base_b
; %bb.0:
	s_load_dwordx2 s[22:23], s[0:1], 0x50
	s_load_dwordx2 s[8:9], s[0:1], 0x18
	;; [unrolled: 1-line block ×3, first 2 shown]
	s_waitcnt lgkmcnt(0)
	s_bitcmp1_b32 s23, 0
	s_cselect_b64 s[10:11], -1, 0
	s_xor_b64 s[6:7], s[10:11], -1
	s_and_b64 vcc, exec, s[10:11]
	v_mov_b64_e32 v[4:5], s[8:9]
	s_cbranch_vccnz .LBB92_2
; %bb.1:
	v_mov_b64_e32 v[2:3], s[8:9]
	flat_load_dwordx2 v[4:5], v[2:3]
.LBB92_2:
	s_andn2_b64 vcc, exec, s[6:7]
	v_mov_b64_e32 v[2:3], s[4:5]
	s_cbranch_vccnz .LBB92_4
; %bb.3:
	v_mov_b64_e32 v[2:3], s[4:5]
	flat_load_dwordx2 v[2:3], v[2:3]
.LBB92_4:
	s_waitcnt vmcnt(0) lgkmcnt(0)
	v_cmp_neq_f64_e32 vcc, 0, v[4:5]
	v_cmp_neq_f64_e64 s[4:5], 1.0, v[2:3]
	s_or_b64 s[4:5], vcc, s[4:5]
	s_and_saveexec_b64 s[6:7], s[4:5]
	s_cbranch_execz .LBB92_143
; %bb.5:
	s_load_dwordx2 s[4:5], s[0:1], 0x10
	s_ashr_i32 s3, s2, 31
	s_mov_b32 s6, 0
	s_lshl_b64 s[2:3], s[2:3], 2
	s_mov_b32 s7, s6
	s_waitcnt lgkmcnt(0)
	s_add_u32 s2, s4, s2
	v_lshlrev_b32_e32 v1, 3, v0
	v_mov_b64_e32 v[2:3], s[6:7]
	s_addc_u32 s3, s5, s3
	ds_write2st64_b64 v1, v[2:3], v[2:3] offset1:4
	ds_write2st64_b64 v1, v[2:3], v[2:3] offset0:8 offset1:12
	s_waitcnt lgkmcnt(0)
	s_barrier
	s_load_dwordx2 s[20:21], s[2:3], 0x0
	s_load_dwordx8 s[12:19], s[0:1], 0x20
	s_load_dwordx2 s[10:11], s[0:1], 0x48
	s_mov_b64 s[2:3], -1
	v_subrev_u32_e32 v12, s22, v0
	s_waitcnt lgkmcnt(0)
	s_sub_i32 s23, s21, s20
	s_cmp_gt_i32 s23, 2
	s_cbranch_scc1 .LBB92_36
; %bb.6:
	s_cmp_le_i32 s21, s20
	s_cbranch_scc1 .LBB92_26
; %bb.7:
	v_cmp_gt_u32_e32 vcc, 64, v0
	v_cmp_gt_u32_e64 s[2:3], 16, v0
	v_cmp_gt_u32_e64 s[4:5], 4, v0
	v_cmp_eq_u32_e64 s[6:7], 0, v0
	s_mov_b64 s[24:25], 0x400
	v_mov_b32_e32 v13, 0
	s_mov_b32 s26, s20
	s_branch .LBB92_9
.LBB92_8:                               ;   in Loop: Header=BB92_9 Depth=1
	s_or_b64 exec, exec, s[28:29]
	s_add_i32 s26, s26, 1
	s_cmp_ge_i32 s26, s21
	s_cbranch_scc1 .LBB92_26
.LBB92_9:                               ; =>This Loop Header: Depth=1
                                        ;     Child Loop BB92_11 Depth 2
                                        ;     Child Loop BB92_23 Depth 2
	s_ashr_i32 s27, s26, 31
	s_lshl_b64 s[8:9], s[26:27], 2
	s_add_u32 s8, s12, s8
	s_addc_u32 s9, s13, s9
	s_load_dwordx2 s[28:29], s[8:9], 0x0
	v_mov_b64_e32 v[6:7], 0
	s_waitcnt lgkmcnt(0)
	v_add_u32_e32 v2, s28, v12
	s_sub_i32 s33, s29, s22
	v_cmp_gt_i32_e64 s[8:9], s33, v2
	s_and_saveexec_b64 s[28:29], s[8:9]
	s_cbranch_execz .LBB92_13
; %bb.10:                               ;   in Loop: Header=BB92_9 Depth=1
	v_ashrrev_i32_e32 v3, 31, v2
	v_lshlrev_b64 v[6:7], 2, v[2:3]
	v_lshl_add_u64 v[8:9], s[14:15], 0, v[6:7]
	v_lshl_add_u64 v[10:11], s[16:17], 0, v[6:7]
	v_mov_b64_e32 v[6:7], 0
	s_mov_b64 s[30:31], 0
.LBB92_11:                              ;   Parent Loop BB92_9 Depth=1
                                        ; =>  This Inner Loop Header: Depth=2
	global_load_dword v3, v[8:9], off
	global_load_dword v16, v[10:11], off
	v_add_u32_e32 v2, 0x100, v2
	v_cmp_le_i32_e64 s[8:9], s33, v2
	v_lshl_add_u64 v[8:9], v[8:9], 0, s[24:25]
	v_lshl_add_u64 v[10:11], v[10:11], 0, s[24:25]
	s_or_b64 s[30:31], s[8:9], s[30:31]
	s_waitcnt vmcnt(1)
	v_subrev_u32_e32 v14, s22, v3
	v_ashrrev_i32_e32 v15, 31, v14
	v_lshl_add_u64 v[14:15], v[14:15], 3, s[18:19]
	global_load_dwordx2 v[14:15], v[14:15], off
	s_waitcnt vmcnt(1)
	v_cvt_f64_f32_e32 v[16:17], v16
	s_waitcnt vmcnt(0)
	v_fmac_f64_e32 v[6:7], v[16:17], v[14:15]
	s_andn2_b64 exec, exec, s[30:31]
	s_cbranch_execnz .LBB92_11
; %bb.12:                               ;   in Loop: Header=BB92_9 Depth=1
	s_or_b64 exec, exec, s[30:31]
.LBB92_13:                              ;   in Loop: Header=BB92_9 Depth=1
	s_or_b64 exec, exec, s[28:29]
	ds_write_b64 v1, v[6:7]
	s_waitcnt lgkmcnt(0)
	s_barrier
	ds_read2st64_b64 v[6:9], v1 offset1:4
	ds_read2st64_b64 v[14:17], v1 offset0:8 offset1:12
	s_waitcnt lgkmcnt(0)
	v_add_f64 v[2:3], v[8:9], v[14:15]
	v_add_f64 v[2:3], v[2:3], v[16:17]
	;; [unrolled: 1-line block ×3, first 2 shown]
	ds_write_b64 v1, v[2:3]
	s_waitcnt lgkmcnt(0)
	s_barrier
	s_and_saveexec_b64 s[8:9], vcc
	s_cbranch_execz .LBB92_15
; %bb.14:                               ;   in Loop: Header=BB92_9 Depth=1
	ds_read2st64_b64 v[6:9], v1 offset1:1
	ds_read2st64_b64 v[14:17], v1 offset0:2 offset1:3
	s_waitcnt lgkmcnt(0)
	v_add_f64 v[2:3], v[8:9], v[14:15]
	v_add_f64 v[2:3], v[2:3], v[16:17]
	v_add_f64 v[2:3], v[6:7], v[2:3]
	ds_write_b64 v1, v[2:3]
.LBB92_15:                              ;   in Loop: Header=BB92_9 Depth=1
	s_or_b64 exec, exec, s[8:9]
	s_waitcnt lgkmcnt(0)
	s_barrier
	s_and_saveexec_b64 s[8:9], s[2:3]
	s_cbranch_execz .LBB92_17
; %bb.16:                               ;   in Loop: Header=BB92_9 Depth=1
	ds_read2_b64 v[6:9], v1 offset1:16
	ds_read2_b64 v[14:17], v1 offset0:32 offset1:48
	s_waitcnt lgkmcnt(0)
	v_add_f64 v[2:3], v[8:9], v[14:15]
	v_add_f64 v[2:3], v[2:3], v[16:17]
	v_add_f64 v[2:3], v[6:7], v[2:3]
	ds_write_b64 v1, v[2:3]
.LBB92_17:                              ;   in Loop: Header=BB92_9 Depth=1
	s_or_b64 exec, exec, s[8:9]
	s_waitcnt lgkmcnt(0)
	s_barrier
	s_and_saveexec_b64 s[8:9], s[4:5]
	s_cbranch_execz .LBB92_19
; %bb.18:                               ;   in Loop: Header=BB92_9 Depth=1
	ds_read2_b64 v[6:9], v1 offset1:4
	ds_read2_b64 v[14:17], v1 offset0:8 offset1:12
	s_waitcnt lgkmcnt(0)
	v_add_f64 v[2:3], v[8:9], v[14:15]
	v_add_f64 v[2:3], v[2:3], v[16:17]
	;; [unrolled: 1-line block ×3, first 2 shown]
	ds_write_b64 v1, v[2:3]
.LBB92_19:                              ;   in Loop: Header=BB92_9 Depth=1
	s_or_b64 exec, exec, s[8:9]
	s_waitcnt lgkmcnt(0)
	s_barrier
	s_and_saveexec_b64 s[8:9], s[6:7]
	s_cbranch_execz .LBB92_21
; %bb.20:                               ;   in Loop: Header=BB92_9 Depth=1
	ds_read2_b64 v[6:9], v13 offset0:1 offset1:2
	ds_read_b64 v[2:3], v13 offset:24
	ds_read_b64 v[10:11], v1
	s_waitcnt lgkmcnt(2)
	v_add_f64 v[6:7], v[6:7], v[8:9]
	s_waitcnt lgkmcnt(1)
	v_add_f64 v[2:3], v[6:7], v[2:3]
	;; [unrolled: 2-line block ×3, first 2 shown]
	ds_write_b64 v1, v[2:3]
.LBB92_21:                              ;   in Loop: Header=BB92_9 Depth=1
	s_or_b64 exec, exec, s[8:9]
	s_waitcnt lgkmcnt(0)
	s_barrier
	s_and_saveexec_b64 s[28:29], s[6:7]
	s_cbranch_execz .LBB92_8
; %bb.22:                               ;   in Loop: Header=BB92_9 Depth=1
	ds_read_b64 v[2:3], v13
	s_mov_b64 s[8:9], exec
	s_waitcnt lgkmcnt(0)
	v_mul_f64 v[6:7], v[4:5], v[2:3]
	v_mov_b32_e32 v2, 0
	v_bfrev_b32_e32 v3, 1
.LBB92_23:                              ;   Parent Loop BB92_9 Depth=1
                                        ; =>  This Inner Loop Header: Depth=2
	s_ff1_i32_b64 s33, s[8:9]
	s_lshl_b64 s[34:35], 1, s33
	v_readlane_b32 s31, v7, s33
	v_readlane_b32 s30, v6, s33
	s_andn2_b64 s[8:9], s[8:9], s[34:35]
	s_cmp_lg_u64 s[8:9], 0
	v_add_f64 v[2:3], v[2:3], s[30:31]
	s_cbranch_scc1 .LBB92_23
; %bb.24:                               ;   in Loop: Header=BB92_9 Depth=1
	v_mbcnt_lo_u32_b32 v6, exec_lo, 0
	v_mbcnt_hi_u32_b32 v6, exec_hi, v6
	v_cmp_eq_u32_e64 s[8:9], 0, v6
	s_and_saveexec_b64 s[30:31], s[8:9]
	s_xor_b64 s[30:31], exec, s[30:31]
	s_cbranch_execz .LBB92_8
; %bb.25:                               ;   in Loop: Header=BB92_9 Depth=1
	s_lshl_b64 s[8:9], s[26:27], 3
	s_add_u32 s8, s10, s8
	s_addc_u32 s9, s11, s9
	global_atomic_add_f64 v13, v[2:3], s[8:9]
	s_branch .LBB92_8
.LBB92_26:
	s_ashr_i32 s3, s20, 31
	s_mov_b32 s2, s20
	s_lshl_b64 s[2:3], s[2:3], 2
	s_add_u32 s2, s12, s2
	s_addc_u32 s3, s13, s3
	s_ashr_i32 s5, s21, 31
	s_mov_b32 s4, s21
	s_lshl_b64 s[4:5], s[4:5], 2
	s_add_u32 s4, s12, s4
	s_addc_u32 s5, s13, s5
	s_load_dword s6, s[4:5], 0x0
	s_load_dword s7, s[2:3], 0x0
	s_waitcnt lgkmcnt(0)
	s_sub_i32 s26, s6, s22
	v_add_u32_e32 v2, s7, v12
	v_cmp_gt_i32_e32 vcc, s26, v2
	s_and_saveexec_b64 s[6:7], vcc
	s_cbranch_execz .LBB92_35
; %bb.27:
	s_add_i32 s27, s21, -1
	s_cmp_lt_i32 s20, s27
	s_cselect_b64 s[2:3], -1, 0
	s_add_i32 s4, s21, -2
	s_cmp_lg_u32 s20, s4
	s_cselect_b64 s[4:5], -1, 0
	s_and_b64 s[2:3], s[2:3], s[4:5]
	v_cndmask_b32_e64 v3, 0, 1, s[2:3]
	s_mov_b64 s[8:9], 0
	v_cmp_ne_u32_e64 s[2:3], 1, v3
	s_branch .LBB92_29
.LBB92_28:                              ;   in Loop: Header=BB92_29 Depth=1
	s_or_b64 exec, exec, s[4:5]
	v_add_u32_e32 v2, 0x100, v2
	v_cmp_le_i32_e32 vcc, s26, v2
	s_or_b64 s[8:9], vcc, s[8:9]
	s_andn2_b64 exec, exec, s[8:9]
	s_cbranch_execz .LBB92_35
.LBB92_29:                              ; =>This Loop Header: Depth=1
                                        ;     Child Loop BB92_31 Depth 2
	s_and_b64 vcc, exec, s[2:3]
	v_mov_b32_e32 v8, s20
	v_mov_b32_e32 v6, s27
	s_cbranch_vccnz .LBB92_33
; %bb.30:                               ;   in Loop: Header=BB92_29 Depth=1
	s_mov_b64 s[24:25], 0
	v_mov_b32_e32 v8, s20
	v_mov_b32_e32 v6, s27
.LBB92_31:                              ;   Parent Loop BB92_29 Depth=1
                                        ; =>  This Inner Loop Header: Depth=2
	v_add_u32_e32 v3, v6, v8
	v_lshrrev_b32_e32 v7, 31, v3
	v_add_u32_e32 v3, v3, v7
	v_ashrrev_i32_e32 v10, 1, v3
	v_ashrrev_i32_e32 v11, 31, v10
	v_lshl_add_u64 v[14:15], v[10:11], 2, s[12:13]
	global_load_dword v3, v[14:15], off
	s_waitcnt vmcnt(0)
	v_subrev_u32_e32 v3, s22, v3
	v_cmp_lt_i32_e32 vcc, v2, v3
	s_nop 1
	v_cndmask_b32_e32 v6, v6, v10, vcc
	v_cndmask_b32_e32 v8, v10, v8, vcc
	v_add_u32_e32 v3, -1, v6
	v_cmp_ge_i32_e32 vcc, v8, v6
	v_cmp_eq_u32_e64 s[4:5], v8, v3
	s_or_b64 s[4:5], vcc, s[4:5]
	s_and_b64 s[4:5], exec, s[4:5]
	s_or_b64 s[24:25], s[4:5], s[24:25]
	s_andn2_b64 exec, exec, s[24:25]
	s_cbranch_execnz .LBB92_31
; %bb.32:                               ;   in Loop: Header=BB92_29 Depth=1
	s_or_b64 exec, exec, s[24:25]
.LBB92_33:                              ;   in Loop: Header=BB92_29 Depth=1
	v_ashrrev_i32_e32 v7, 31, v6
	v_lshl_add_u64 v[10:11], v[6:7], 2, s[12:13]
	global_load_dword v7, v[10:11], off
	v_ashrrev_i32_e32 v3, 31, v2
	v_lshl_add_u64 v[10:11], v[2:3], 2, s[14:15]
	global_load_dword v9, v[10:11], off
	s_waitcnt vmcnt(1)
	v_subrev_u32_e32 v7, s22, v7
	v_cmp_lt_i32_e32 vcc, v2, v7
	s_nop 1
	v_cndmask_b32_e32 v8, v6, v8, vcc
	s_waitcnt vmcnt(0)
	v_subrev_u32_e32 v6, s22, v9
	v_cmp_ne_u32_e32 vcc, v6, v8
	s_and_saveexec_b64 s[4:5], vcc
	s_cbranch_execz .LBB92_28
; %bb.34:                               ;   in Loop: Header=BB92_29 Depth=1
	v_lshl_add_u64 v[10:11], v[2:3], 2, s[16:17]
	global_load_dword v3, v[10:11], off
	v_ashrrev_i32_e32 v9, 31, v8
	v_lshl_add_u64 v[8:9], v[8:9], 3, s[18:19]
	global_load_dwordx2 v[8:9], v[8:9], off
	v_ashrrev_i32_e32 v7, 31, v6
	v_lshl_add_u64 v[6:7], v[6:7], 3, s[10:11]
	s_waitcnt vmcnt(1)
	v_cvt_f64_f32_e32 v[10:11], v3
	v_mul_f64 v[10:11], v[4:5], v[10:11]
	s_waitcnt vmcnt(0)
	v_mul_f64 v[8:9], v[8:9], v[10:11]
	global_atomic_add_f64 v[6:7], v[8:9], off
	s_branch .LBB92_28
.LBB92_35:
	s_or_b64 exec, exec, s[6:7]
	s_mov_b64 s[2:3], 0
.LBB92_36:
	s_and_b64 vcc, exec, s[2:3]
	s_cbranch_vccz .LBB92_143
; %bb.37:
	v_cvt_f32_u32_e32 v2, s23
	s_ashr_i32 s3, s20, 31
	s_mov_b32 s2, s20
	s_sub_i32 s8, 0, s23
	v_rcp_iflag_f32_e32 v2, v2
	s_lshl_b64 s[2:3], s[2:3], 2
	s_add_u32 s4, s12, s2
	s_addc_u32 s5, s13, s3
	v_mul_f32_e32 v2, 0x4f7ffffe, v2
	v_cvt_u32_f32_e32 v2, v2
	s_load_dword s28, s[4:5], 0x0
	s_load_dwordx2 s[6:7], s[0:1], 0x4
	s_load_dword s26, s[0:1], 0x64
	v_readfirstlane_b32 s27, v2
	s_waitcnt lgkmcnt(0)
	v_add_u32_e32 v2, s28, v12
	s_mul_i32 s8, s8, s27
	v_add_u32_e32 v12, 0x300, v2
	s_mul_hi_u32 s30, s27, s8
	v_cmp_le_i32_e32 vcc, s6, v12
	s_and_saveexec_b64 s[0:1], vcc
	s_xor_b64 s[2:3], exec, s[0:1]
	s_cbranch_execz .LBB92_42
; %bb.38:
	s_ashr_i32 s1, s21, 31
	s_mov_b32 s0, s21
	s_lshl_b64 s[0:1], s[0:1], 2
	s_add_u32 s0, s12, s0
	s_addc_u32 s1, s13, s1
	s_load_dword s0, s[0:1], 0x0
	s_waitcnt lgkmcnt(0)
	s_sub_i32 s6, s0, s28
	v_cmp_gt_i32_e64 s[0:1], s6, v0
	s_and_saveexec_b64 s[8:9], s[0:1]
	s_cbranch_execz .LBB92_41
; %bb.39:
	s_sub_i32 s29, s28, s22
	s_mov_b64 s[24:25], 0
	v_mov_b32_e32 v3, v1
	v_mov_b32_e32 v6, v0
.LBB92_40:                              ; =>This Inner Loop Header: Depth=1
	v_add_u32_e32 v8, s29, v6
	v_ashrrev_i32_e32 v9, 31, v8
	v_lshl_add_u64 v[8:9], v[8:9], 2, s[16:17]
	global_load_dword v7, v[8:9], off
	v_add_u32_e32 v6, 0x100, v6
	v_cmp_le_i32_e64 s[0:1], s6, v6
	s_or_b64 s[24:25], s[0:1], s[24:25]
	s_waitcnt vmcnt(0)
	v_cvt_f64_f32_e32 v[8:9], v7
	v_mul_f64 v[8:9], v[4:5], v[8:9]
	ds_write_b64 v3, v[8:9]
	v_add_u32_e32 v3, 0x800, v3
	s_andn2_b64 exec, exec, s[24:25]
	s_cbranch_execnz .LBB92_40
.LBB92_41:
	s_or_b64 exec, exec, s[8:9]
                                        ; implicit-def: $vgpr4_vgpr5
.LBB92_42:
	s_or_saveexec_b64 s[0:1], s[2:3]
	s_and_b32 s29, s26, 0xffff
	s_add_i32 s27, s27, s30
	v_ashrrev_i32_e32 v3, 31, v2
	s_xor_b64 exec, exec, s[0:1]
	s_cbranch_execz .LBB92_44
; %bb.43:
	v_lshl_add_u64 v[6:7], v[2:3], 2, s[16:17]
	global_load_dword v8, v[6:7], off
	global_load_dword v9, v[6:7], off offset:1024
	global_load_dword v10, v[6:7], off offset:2048
	;; [unrolled: 1-line block ×3, first 2 shown]
	s_waitcnt vmcnt(3)
	v_cvt_f64_f32_e32 v[6:7], v8
	s_waitcnt vmcnt(2)
	v_cvt_f64_f32_e32 v[8:9], v9
	;; [unrolled: 2-line block ×4, first 2 shown]
	v_mul_f64 v[6:7], v[4:5], v[6:7]
	v_mul_f64 v[8:9], v[4:5], v[8:9]
	;; [unrolled: 1-line block ×4, first 2 shown]
	ds_write2st64_b64 v1, v[6:7], v[8:9] offset1:4
	ds_write2st64_b64 v1, v[10:11], v[4:5] offset0:8 offset1:12
.LBB92_44:
	s_or_b64 exec, exec, s[0:1]
	s_mul_hi_u32 s6, s29, s27
	v_cmp_gt_i32_e64 s[0:1], s7, v0
	s_and_saveexec_b64 s[2:3], s[0:1]
	s_cbranch_execz .LBB92_47
; %bb.45:
	v_mov_b32_e32 v4, 0x2000
	v_mov_b32_e32 v6, 0
	v_lshl_add_u32 v4, v0, 3, v4
	s_mov_b64 s[8:9], 0
	v_mov_b32_e32 v7, v6
	v_mov_b32_e32 v5, v0
.LBB92_46:                              ; =>This Inner Loop Header: Depth=1
	v_add_u32_e32 v5, 0x100, v5
	v_cmp_le_i32_e64 s[0:1], s7, v5
	ds_write_b64 v4, v[6:7]
	s_or_b64 s[8:9], s[0:1], s[8:9]
	v_add_u32_e32 v4, 0x800, v4
	s_andn2_b64 exec, exec, s[8:9]
	s_cbranch_execnz .LBB92_46
.LBB92_47:
	s_or_b64 exec, exec, s[2:3]
	s_sub_i32 s0, s21, s7
	s_cmp_ge_i32 s21, s7
	s_cselect_b32 s30, s0, 0
	s_waitcnt lgkmcnt(0)
	s_barrier
	s_and_saveexec_b64 s[0:1], vcc
	s_xor_b64 s[8:9], exec, s[0:1]
	s_cbranch_execz .LBB92_64
; %bb.48:
	s_ashr_i32 s1, s21, 31
	s_mov_b32 s0, s21
	s_lshl_b64 s[0:1], s[0:1], 2
	s_add_u32 s0, s12, s0
	s_addc_u32 s1, s13, s1
	s_load_dword s0, s[0:1], 0x0
	s_waitcnt lgkmcnt(0)
	s_sub_i32 s31, s0, s28
	v_cmp_gt_i32_e32 vcc, s31, v0
	s_and_saveexec_b64 s[16:17], vcc
	s_cbranch_execz .LBB92_63
; %bb.49:
	s_add_i32 s33, s21, -1
	s_add_i32 s1, s21, -2
	s_cmp_lg_u32 s20, s1
	s_cselect_b64 s[2:3], -1, 0
	v_cndmask_b32_e64 v3, 0, 1, s[2:3]
	s_sub_i32 s34, s0, s22
	s_mov_b32 s35, 0
	s_mov_b64 s[24:25], 0
	v_cmp_ne_u32_e64 s[0:1], 1, v3
	v_mov_b32_e32 v3, 0x2000
	s_branch .LBB92_52
.LBB92_50:                              ;   in Loop: Header=BB92_52 Depth=1
	s_or_b64 exec, exec, s[2:3]
.LBB92_51:                              ;   in Loop: Header=BB92_52 Depth=1
	s_or_b64 exec, exec, s[26:27]
	v_ashrrev_i32_e32 v5, 31, v4
	v_lshl_add_u64 v[4:5], v[4:5], 3, s[18:19]
	global_load_dwordx2 v[4:5], v[4:5], off
	s_addk_i32 s35, 0x100
	v_add_u32_e32 v8, s35, v0
	v_cmp_le_i32_e32 vcc, s31, v8
	s_or_b64 s[24:25], vcc, s[24:25]
	s_waitcnt vmcnt(0) lgkmcnt(0)
	v_mul_f64 v[4:5], v[4:5], v[6:7]
	ds_write_b64 v10, v[4:5]
	s_andn2_b64 exec, exec, s[24:25]
	s_cbranch_execz .LBB92_63
.LBB92_52:                              ; =>This Loop Header: Depth=1
                                        ;     Child Loop BB92_54 Depth 2
	v_add_u32_e32 v6, s35, v2
	s_and_b64 vcc, exec, s[0:1]
	v_mov_b32_e32 v5, s20
	v_mov_b32_e32 v8, s33
	s_cbranch_vccnz .LBB92_56
; %bb.53:                               ;   in Loop: Header=BB92_52 Depth=1
	s_mov_b64 s[26:27], 0
	v_mov_b32_e32 v5, s20
	v_mov_b32_e32 v8, s33
.LBB92_54:                              ;   Parent Loop BB92_52 Depth=1
                                        ; =>  This Inner Loop Header: Depth=2
	v_add_u32_e32 v4, v8, v5
	v_lshrrev_b32_e32 v7, 31, v4
	v_add_u32_e32 v4, v4, v7
	v_ashrrev_i32_e32 v10, 1, v4
	v_ashrrev_i32_e32 v11, 31, v10
	v_lshl_add_u64 v[12:13], v[10:11], 2, s[12:13]
	global_load_dword v4, v[12:13], off
	s_waitcnt vmcnt(0)
	v_subrev_u32_e32 v4, s22, v4
	v_cmp_lt_i32_e32 vcc, v6, v4
	s_nop 1
	v_cndmask_b32_e32 v8, v8, v10, vcc
	v_cndmask_b32_e32 v5, v10, v5, vcc
	v_add_u32_e32 v4, -1, v8
	v_cmp_ge_i32_e32 vcc, v5, v8
	v_cmp_eq_u32_e64 s[2:3], v5, v4
	s_or_b64 s[2:3], vcc, s[2:3]
	s_and_b64 s[2:3], exec, s[2:3]
	s_or_b64 s[26:27], s[2:3], s[26:27]
	s_andn2_b64 exec, exec, s[26:27]
	s_cbranch_execnz .LBB92_54
; %bb.55:                               ;   in Loop: Header=BB92_52 Depth=1
	s_or_b64 exec, exec, s[26:27]
.LBB92_56:                              ;   in Loop: Header=BB92_52 Depth=1
	v_ashrrev_i32_e32 v9, 31, v8
	v_lshl_add_u64 v[10:11], v[8:9], 2, s[12:13]
	global_load_dword v4, v[10:11], off
	v_ashrrev_i32_e32 v7, 31, v6
	v_lshl_add_u64 v[10:11], v[6:7], 2, s[14:15]
	global_load_dword v7, v[10:11], off
	v_cmp_le_i32_e32 vcc, s34, v6
	v_lshl_add_u32 v10, s35, 3, v1
	s_waitcnt vmcnt(1)
	v_subrev_u32_e32 v9, s22, v4
	v_cmp_lt_i32_e64 s[2:3], v6, v9
	s_waitcnt vmcnt(0)
	v_subrev_u32_e32 v4, s22, v7
	v_cndmask_b32_e64 v8, v8, v5, s[2:3]
	v_cmp_eq_u32_e64 s[2:3], v4, v8
	s_or_b64 s[2:3], s[2:3], vcc
                                        ; implicit-def: $vgpr6_vgpr7
	s_and_saveexec_b64 s[26:27], s[2:3]
	s_xor_b64 s[2:3], exec, s[26:27]
; %bb.57:                               ;   in Loop: Header=BB92_52 Depth=1
	ds_read_b64 v[6:7], v10
                                        ; implicit-def: $vgpr8
; %bb.58:                               ;   in Loop: Header=BB92_52 Depth=1
	s_andn2_saveexec_b64 s[26:27], s[2:3]
	s_cbranch_execz .LBB92_51
; %bb.59:                               ;   in Loop: Header=BB92_52 Depth=1
	v_ashrrev_i32_e32 v9, 31, v8
	s_waitcnt lgkmcnt(0)
	v_lshl_add_u64 v[6:7], v[8:9], 3, s[18:19]
	global_load_dwordx2 v[8:9], v[6:7], off
	ds_read_b64 v[6:7], v10
	v_cmp_gt_i32_e32 vcc, s30, v4
	v_cmp_le_i32_e64 s[2:3], s21, v4
	s_or_b64 s[2:3], vcc, s[2:3]
	s_waitcnt vmcnt(0) lgkmcnt(0)
	v_mul_f64 v[8:9], v[6:7], v[8:9]
	s_and_saveexec_b64 s[36:37], s[2:3]
	s_xor_b64 s[2:3], exec, s[36:37]
	s_cbranch_execz .LBB92_61
; %bb.60:                               ;   in Loop: Header=BB92_52 Depth=1
	v_ashrrev_i32_e32 v5, 31, v4
	v_lshl_add_u64 v[12:13], v[4:5], 3, s[10:11]
	global_atomic_add_f64 v[12:13], v[8:9], off
                                        ; implicit-def: $vgpr8_vgpr9
.LBB92_61:                              ;   in Loop: Header=BB92_52 Depth=1
	s_andn2_saveexec_b64 s[2:3], s[2:3]
	s_cbranch_execz .LBB92_50
; %bb.62:                               ;   in Loop: Header=BB92_52 Depth=1
	v_subrev_u32_e32 v5, s30, v4
	v_lshl_add_u32 v5, v5, 3, v3
	ds_add_f64 v5, v[8:9]
	s_branch .LBB92_50
.LBB92_63:
	s_or_b64 exec, exec, s[16:17]
                                        ; implicit-def: $vgpr12
                                        ; implicit-def: $vgpr2
.LBB92_64:
	s_andn2_saveexec_b64 s[8:9], s[8:9]
	s_cbranch_execz .LBB92_118
; %bb.65:
	s_add_i32 s26, s21, -1
	s_add_i32 s0, s21, -2
	s_cmp_lg_u32 s20, s0
	s_cselect_b64 s[2:3], -1, 0
	s_cmp_eq_u32 s20, s0
	v_mov_b32_e32 v8, s20
	v_mov_b32_e32 v6, s26
	s_cbranch_scc1 .LBB92_69
; %bb.66:
	s_mov_b64 s[16:17], 0
	v_mov_b32_e32 v8, s20
	v_mov_b32_e32 v6, s26
.LBB92_67:                              ; =>This Inner Loop Header: Depth=1
	v_add_u32_e32 v4, v6, v8
	v_lshrrev_b32_e32 v5, 31, v4
	v_add_u32_e32 v4, v4, v5
	v_ashrrev_i32_e32 v4, 1, v4
	v_ashrrev_i32_e32 v5, 31, v4
	v_lshl_add_u64 v[10:11], v[4:5], 2, s[12:13]
	global_load_dword v5, v[10:11], off
	s_waitcnt vmcnt(0)
	v_subrev_u32_e32 v5, s22, v5
	v_cmp_lt_i32_e32 vcc, v2, v5
	s_nop 1
	v_cndmask_b32_e32 v6, v6, v4, vcc
	v_cndmask_b32_e32 v8, v4, v8, vcc
	v_add_u32_e32 v4, -1, v6
	v_cmp_ge_i32_e32 vcc, v8, v6
	v_cmp_eq_u32_e64 s[0:1], v8, v4
	s_or_b64 s[0:1], vcc, s[0:1]
	s_and_b64 s[0:1], exec, s[0:1]
	s_or_b64 s[16:17], s[0:1], s[16:17]
	s_andn2_b64 exec, exec, s[16:17]
	s_cbranch_execnz .LBB92_67
; %bb.68:
	s_or_b64 exec, exec, s[16:17]
.LBB92_69:
	v_ashrrev_i32_e32 v7, 31, v6
	v_lshl_add_u64 v[4:5], v[6:7], 2, s[12:13]
	global_load_dword v7, v[4:5], off
	v_lshl_add_u64 v[4:5], v[2:3], 2, s[14:15]
	global_load_dword v3, v[4:5], off
	s_ashr_i32 s1, s21, 31
	s_mov_b32 s0, s21
	s_lshl_b64 s[0:1], s[0:1], 2
	s_add_u32 s14, s12, s0
	s_addc_u32 s15, s13, s1
	s_waitcnt vmcnt(1)
	v_subrev_u32_e32 v7, s22, v7
	v_cmp_lt_i32_e32 vcc, v2, v7
	s_nop 1
	v_cndmask_b32_e32 v10, v6, v8, vcc
	s_waitcnt vmcnt(0)
	v_subrev_u32_e32 v8, s22, v3
	v_cmp_ne_u32_e32 vcc, v8, v10
                                        ; implicit-def: $vgpr6_vgpr7
	s_and_saveexec_b64 s[0:1], vcc
	s_xor_b64 s[16:17], exec, s[0:1]
	s_cbranch_execz .LBB92_76
; %bb.70:
	s_load_dword s0, s[14:15], 0x0
	ds_read_b64 v[6:7], v1
	s_waitcnt lgkmcnt(0)
	s_sub_i32 s0, s0, s22
	v_cmp_gt_i32_e32 vcc, s0, v2
	s_and_saveexec_b64 s[24:25], vcc
	s_cbranch_execz .LBB92_75
; %bb.71:
	v_ashrrev_i32_e32 v11, 31, v10
	v_lshl_add_u64 v[10:11], v[10:11], 3, s[18:19]
	global_load_dwordx2 v[10:11], v[10:11], off
	v_cmp_gt_i32_e32 vcc, s30, v8
	v_cmp_le_i32_e64 s[0:1], s21, v8
	s_or_b64 s[0:1], vcc, s[0:1]
	s_waitcnt vmcnt(0)
	v_mul_f64 v[10:11], v[6:7], v[10:11]
	s_and_saveexec_b64 s[34:35], s[0:1]
	s_xor_b64 s[0:1], exec, s[34:35]
	s_cbranch_execz .LBB92_73
; %bb.72:
	v_ashrrev_i32_e32 v9, 31, v8
	v_lshl_add_u64 v[14:15], v[8:9], 3, s[10:11]
	global_atomic_add_f64 v[14:15], v[10:11], off
                                        ; implicit-def: $vgpr10_vgpr11
.LBB92_73:
	s_andn2_saveexec_b64 s[0:1], s[0:1]
; %bb.74:
	v_subrev_u32_e32 v3, s30, v8
	v_mov_b32_e32 v9, 0x2000
	v_lshl_add_u32 v3, v3, 3, v9
	ds_add_f64 v3, v[10:11]
.LBB92_75:
	s_or_b64 exec, exec, s[24:25]
.LBB92_76:
	s_andn2_saveexec_b64 s[0:1], s[16:17]
; %bb.77:
	ds_read_b64 v[6:7], v1
; %bb.78:
	s_or_b64 exec, exec, s[0:1]
	v_ashrrev_i32_e32 v9, 31, v8
	v_lshl_add_u64 v[8:9], v[8:9], 3, s[18:19]
	global_load_dwordx2 v[10:11], v[8:9], off
	v_cndmask_b32_e64 v9, 0, 1, s[2:3]
	v_add_u32_e32 v3, 0x100, v2
	v_mov_b32_e32 v8, s20
	v_cmp_ne_u32_e64 s[0:1], 1, v9
	s_andn2_b64 vcc, exec, s[2:3]
	s_waitcnt vmcnt(0) lgkmcnt(0)
	v_mul_f64 v[6:7], v[10:11], v[6:7]
	ds_write_b64 v1, v[6:7]
	v_mov_b32_e32 v6, s26
	s_cbranch_vccnz .LBB92_82
; %bb.79:
	s_mov_b64 s[16:17], 0
	v_mov_b32_e32 v8, s20
	v_mov_b32_e32 v6, s26
.LBB92_80:                              ; =>This Inner Loop Header: Depth=1
	v_add_u32_e32 v7, v6, v8
	v_lshrrev_b32_e32 v9, 31, v7
	v_add_u32_e32 v7, v7, v9
	v_ashrrev_i32_e32 v10, 1, v7
	v_ashrrev_i32_e32 v11, 31, v10
	v_lshl_add_u64 v[14:15], v[10:11], 2, s[12:13]
	global_load_dword v7, v[14:15], off
	s_waitcnt vmcnt(0)
	v_subrev_u32_e32 v7, s22, v7
	v_cmp_lt_i32_e32 vcc, v3, v7
	s_nop 1
	v_cndmask_b32_e32 v6, v6, v10, vcc
	v_cndmask_b32_e32 v8, v10, v8, vcc
	v_add_u32_e32 v7, -1, v6
	v_cmp_ge_i32_e32 vcc, v8, v6
	v_cmp_eq_u32_e64 s[2:3], v8, v7
	s_or_b64 s[2:3], vcc, s[2:3]
	s_and_b64 s[2:3], exec, s[2:3]
	s_or_b64 s[16:17], s[2:3], s[16:17]
	s_andn2_b64 exec, exec, s[16:17]
	s_cbranch_execnz .LBB92_80
; %bb.81:
	s_or_b64 exec, exec, s[16:17]
.LBB92_82:
	v_ashrrev_i32_e32 v7, 31, v6
	v_lshl_add_u64 v[10:11], v[6:7], 2, s[12:13]
	global_load_dword v7, v[10:11], off
	global_load_dword v9, v[4:5], off offset:1024
	s_waitcnt vmcnt(1)
	v_subrev_u32_e32 v7, s22, v7
	v_cmp_lt_i32_e32 vcc, v3, v7
	s_nop 1
	v_cndmask_b32_e32 v10, v6, v8, vcc
	s_waitcnt vmcnt(0)
	v_subrev_u32_e32 v6, s22, v9
	v_cmp_ne_u32_e32 vcc, v6, v10
                                        ; implicit-def: $vgpr8_vgpr9
	s_and_saveexec_b64 s[2:3], vcc
	s_xor_b64 s[16:17], exec, s[2:3]
	s_cbranch_execz .LBB92_89
; %bb.83:
	s_load_dword s2, s[14:15], 0x0
	ds_read_b64 v[8:9], v1 offset:2048
	s_waitcnt lgkmcnt(0)
	s_sub_i32 s2, s2, s22
	v_cmp_gt_i32_e32 vcc, s2, v3
	s_and_saveexec_b64 s[24:25], vcc
	s_cbranch_execz .LBB92_88
; %bb.84:
	v_ashrrev_i32_e32 v11, 31, v10
	v_lshl_add_u64 v[10:11], v[10:11], 3, s[18:19]
	global_load_dwordx2 v[10:11], v[10:11], off
	v_cmp_gt_i32_e32 vcc, s30, v6
	v_cmp_le_i32_e64 s[2:3], s21, v6
	s_or_b64 s[2:3], vcc, s[2:3]
	s_waitcnt vmcnt(0)
	v_mul_f64 v[10:11], v[8:9], v[10:11]
	s_and_saveexec_b64 s[34:35], s[2:3]
	s_xor_b64 s[2:3], exec, s[34:35]
	s_cbranch_execz .LBB92_86
; %bb.85:
	v_ashrrev_i32_e32 v7, 31, v6
	v_lshl_add_u64 v[14:15], v[6:7], 3, s[10:11]
	global_atomic_add_f64 v[14:15], v[10:11], off
                                        ; implicit-def: $vgpr10_vgpr11
.LBB92_86:
	s_andn2_saveexec_b64 s[2:3], s[2:3]
; %bb.87:
	v_subrev_u32_e32 v3, s30, v6
	v_mov_b32_e32 v7, 0x2000
	v_lshl_add_u32 v3, v3, 3, v7
	ds_add_f64 v3, v[10:11]
.LBB92_88:
	s_or_b64 exec, exec, s[24:25]
.LBB92_89:
	s_andn2_saveexec_b64 s[2:3], s[16:17]
; %bb.90:
	ds_read_b64 v[8:9], v1 offset:2048
; %bb.91:
	s_or_b64 exec, exec, s[2:3]
	v_ashrrev_i32_e32 v7, 31, v6
	v_lshl_add_u64 v[6:7], v[6:7], 3, s[18:19]
	global_load_dwordx2 v[14:15], v[6:7], off
	v_add_u32_e32 v10, 0x200, v2
	s_and_b64 vcc, exec, s[0:1]
	v_mov_b32_e32 v6, s20
	s_waitcnt vmcnt(0) lgkmcnt(0)
	v_mul_f64 v[2:3], v[14:15], v[8:9]
	ds_write_b64 v1, v[2:3] offset:2048
	v_mov_b32_e32 v2, s26
	s_cbranch_vccnz .LBB92_95
; %bb.92:
	s_mov_b64 s[16:17], 0
	v_mov_b32_e32 v6, s20
	v_mov_b32_e32 v2, s26
.LBB92_93:                              ; =>This Inner Loop Header: Depth=1
	v_add_u32_e32 v3, v2, v6
	v_lshrrev_b32_e32 v7, 31, v3
	v_add_u32_e32 v3, v3, v7
	v_ashrrev_i32_e32 v8, 1, v3
	v_ashrrev_i32_e32 v9, 31, v8
	v_lshl_add_u64 v[14:15], v[8:9], 2, s[12:13]
	global_load_dword v3, v[14:15], off
	s_waitcnt vmcnt(0)
	v_subrev_u32_e32 v3, s22, v3
	v_cmp_lt_i32_e32 vcc, v10, v3
	s_nop 1
	v_cndmask_b32_e32 v2, v2, v8, vcc
	v_cndmask_b32_e32 v6, v8, v6, vcc
	v_add_u32_e32 v3, -1, v2
	v_cmp_ge_i32_e32 vcc, v6, v2
	v_cmp_eq_u32_e64 s[2:3], v6, v3
	s_or_b64 s[2:3], vcc, s[2:3]
	s_and_b64 s[2:3], exec, s[2:3]
	s_or_b64 s[16:17], s[2:3], s[16:17]
	s_andn2_b64 exec, exec, s[16:17]
	s_cbranch_execnz .LBB92_93
; %bb.94:
	s_or_b64 exec, exec, s[16:17]
.LBB92_95:
	v_ashrrev_i32_e32 v3, 31, v2
	v_lshl_add_u64 v[8:9], v[2:3], 2, s[12:13]
	global_load_dword v3, v[8:9], off
	global_load_dword v7, v[4:5], off offset:2048
	s_waitcnt vmcnt(1)
	v_subrev_u32_e32 v3, s22, v3
	v_cmp_lt_i32_e32 vcc, v10, v3
	s_nop 1
	v_cndmask_b32_e32 v8, v2, v6, vcc
	s_waitcnt vmcnt(0)
	v_subrev_u32_e32 v2, s22, v7
	v_cmp_ne_u32_e32 vcc, v2, v8
                                        ; implicit-def: $vgpr6_vgpr7
	s_and_saveexec_b64 s[2:3], vcc
	s_xor_b64 s[16:17], exec, s[2:3]
	s_cbranch_execz .LBB92_102
; %bb.96:
	s_load_dword s2, s[14:15], 0x0
	ds_read_b64 v[6:7], v1 offset:4096
	s_waitcnt lgkmcnt(0)
	s_sub_i32 s2, s2, s22
	v_cmp_gt_i32_e32 vcc, s2, v10
	s_and_saveexec_b64 s[24:25], vcc
	s_cbranch_execz .LBB92_101
; %bb.97:
	v_ashrrev_i32_e32 v9, 31, v8
	v_lshl_add_u64 v[8:9], v[8:9], 3, s[18:19]
	global_load_dwordx2 v[8:9], v[8:9], off
	v_cmp_gt_i32_e32 vcc, s30, v2
	v_cmp_le_i32_e64 s[2:3], s21, v2
	s_or_b64 s[2:3], vcc, s[2:3]
	s_waitcnt vmcnt(0)
	v_mul_f64 v[8:9], v[6:7], v[8:9]
	s_and_saveexec_b64 s[34:35], s[2:3]
	s_xor_b64 s[2:3], exec, s[34:35]
	s_cbranch_execz .LBB92_99
; %bb.98:
	v_ashrrev_i32_e32 v3, 31, v2
	v_lshl_add_u64 v[10:11], v[2:3], 3, s[10:11]
	global_atomic_add_f64 v[10:11], v[8:9], off
                                        ; implicit-def: $vgpr8_vgpr9
.LBB92_99:
	s_andn2_saveexec_b64 s[2:3], s[2:3]
; %bb.100:
	v_subrev_u32_e32 v3, s30, v2
	v_mov_b32_e32 v10, 0x2000
	v_lshl_add_u32 v3, v3, 3, v10
	ds_add_f64 v3, v[8:9]
.LBB92_101:
	s_or_b64 exec, exec, s[24:25]
.LBB92_102:
	s_andn2_saveexec_b64 s[2:3], s[16:17]
; %bb.103:
	ds_read_b64 v[6:7], v1 offset:4096
; %bb.104:
	s_or_b64 exec, exec, s[2:3]
	v_ashrrev_i32_e32 v3, 31, v2
	v_lshl_add_u64 v[2:3], v[2:3], 3, s[18:19]
	global_load_dwordx2 v[2:3], v[2:3], off
	s_and_b64 vcc, exec, s[0:1]
	v_mov_b32_e32 v8, s20
	s_waitcnt vmcnt(0) lgkmcnt(0)
	v_mul_f64 v[2:3], v[2:3], v[6:7]
	ds_write_b64 v1, v[2:3] offset:4096
	v_mov_b32_e32 v2, s26
	s_cbranch_vccnz .LBB92_108
; %bb.105:
	s_mov_b64 s[2:3], 0
	v_mov_b32_e32 v8, s20
	v_mov_b32_e32 v2, s26
.LBB92_106:                             ; =>This Inner Loop Header: Depth=1
	v_add_u32_e32 v3, v2, v8
	v_lshrrev_b32_e32 v6, 31, v3
	v_add_u32_e32 v3, v3, v6
	v_ashrrev_i32_e32 v6, 1, v3
	v_ashrrev_i32_e32 v7, 31, v6
	v_lshl_add_u64 v[10:11], v[6:7], 2, s[12:13]
	global_load_dword v3, v[10:11], off
	s_waitcnt vmcnt(0)
	v_subrev_u32_e32 v3, s22, v3
	v_cmp_lt_i32_e32 vcc, v12, v3
	s_nop 1
	v_cndmask_b32_e32 v2, v2, v6, vcc
	v_cndmask_b32_e32 v8, v6, v8, vcc
	v_add_u32_e32 v3, -1, v2
	v_cmp_ge_i32_e32 vcc, v8, v2
	v_cmp_eq_u32_e64 s[0:1], v8, v3
	s_or_b64 s[0:1], vcc, s[0:1]
	s_and_b64 s[0:1], exec, s[0:1]
	s_or_b64 s[2:3], s[0:1], s[2:3]
	s_andn2_b64 exec, exec, s[2:3]
	s_cbranch_execnz .LBB92_106
; %bb.107:
	s_or_b64 exec, exec, s[2:3]
.LBB92_108:
	v_ashrrev_i32_e32 v3, 31, v2
	v_lshl_add_u64 v[6:7], v[2:3], 2, s[12:13]
	global_load_dword v3, v[6:7], off
	global_load_dword v9, v[4:5], off offset:3072
                                        ; implicit-def: $vgpr4_vgpr5
	s_waitcnt vmcnt(1)
	v_subrev_u32_e32 v3, s22, v3
	v_cmp_lt_i32_e32 vcc, v12, v3
	s_nop 1
	v_cndmask_b32_e32 v6, v2, v8, vcc
	s_waitcnt vmcnt(0)
	v_subrev_u32_e32 v2, s22, v9
	v_cmp_ne_u32_e32 vcc, v2, v6
	s_and_saveexec_b64 s[0:1], vcc
	s_xor_b64 s[2:3], exec, s[0:1]
	s_cbranch_execz .LBB92_115
; %bb.109:
	s_load_dword s0, s[14:15], 0x0
	ds_read_b64 v[4:5], v1 offset:6144
	s_waitcnt lgkmcnt(0)
	s_sub_i32 s0, s0, s22
	v_cmp_gt_i32_e32 vcc, s0, v12
	s_and_saveexec_b64 s[14:15], vcc
	s_cbranch_execz .LBB92_114
; %bb.110:
	v_ashrrev_i32_e32 v7, 31, v6
	v_lshl_add_u64 v[6:7], v[6:7], 3, s[18:19]
	global_load_dwordx2 v[6:7], v[6:7], off
	v_cmp_gt_i32_e32 vcc, s30, v2
	v_cmp_le_i32_e64 s[0:1], s21, v2
	s_or_b64 s[0:1], vcc, s[0:1]
	s_waitcnt vmcnt(0)
	v_mul_f64 v[6:7], v[4:5], v[6:7]
	s_and_saveexec_b64 s[16:17], s[0:1]
	s_xor_b64 s[0:1], exec, s[16:17]
	s_cbranch_execz .LBB92_112
; %bb.111:
	v_ashrrev_i32_e32 v3, 31, v2
	v_lshl_add_u64 v[8:9], v[2:3], 3, s[10:11]
	global_atomic_add_f64 v[8:9], v[6:7], off
                                        ; implicit-def: $vgpr6_vgpr7
.LBB92_112:
	s_andn2_saveexec_b64 s[0:1], s[0:1]
; %bb.113:
	v_subrev_u32_e32 v3, s30, v2
	v_mov_b32_e32 v8, 0x2000
	v_lshl_add_u32 v3, v3, 3, v8
	ds_add_f64 v3, v[6:7]
.LBB92_114:
	s_or_b64 exec, exec, s[14:15]
.LBB92_115:
	s_andn2_saveexec_b64 s[0:1], s[2:3]
; %bb.116:
	ds_read_b64 v[4:5], v1 offset:6144
; %bb.117:
	s_or_b64 exec, exec, s[0:1]
	v_ashrrev_i32_e32 v3, 31, v2
	v_lshl_add_u64 v[2:3], v[2:3], 3, s[18:19]
	global_load_dwordx2 v[2:3], v[2:3], off
	s_waitcnt vmcnt(0) lgkmcnt(0)
	v_mul_f64 v[2:3], v[2:3], v[4:5]
	ds_write_b64 v1, v[2:3] offset:6144
.LBB92_118:
	s_or_b64 exec, exec, s[8:9]
	s_min_i32 s7, s21, s7
	s_sub_i32 s14, s7, s23
	v_cmp_gt_i32_e32 vcc, s14, v0
	s_waitcnt lgkmcnt(0)
	s_barrier
	s_and_saveexec_b64 s[0:1], vcc
	s_cbranch_execz .LBB92_121
; %bb.119:
	v_mov_b32_e32 v2, 0x2000
	v_lshl_add_u32 v2, v0, 3, v2
	s_mov_b64 s[2:3], 0
	v_mov_b32_e32 v3, v0
.LBB92_120:                             ; =>This Inner Loop Header: Depth=1
	ds_read_b64 v[4:5], v2
	v_add_u32_e32 v6, s30, v3
	v_ashrrev_i32_e32 v7, 31, v6
	v_lshl_add_u64 v[6:7], v[6:7], 3, s[10:11]
	v_add_u32_e32 v3, 0x100, v3
	s_waitcnt lgkmcnt(0)
	global_atomic_add_f64 v[6:7], v[4:5], off
	v_cmp_le_i32_e32 vcc, s14, v3
	s_or_b64 s[2:3], vcc, s[2:3]
	v_add_u32_e32 v2, 0x800, v2
	s_andn2_b64 exec, exec, s[2:3]
	s_cbranch_execnz .LBB92_120
.LBB92_121:
	s_or_b64 exec, exec, s[0:1]
	s_mul_i32 s0, s6, s23
	s_sub_i32 s0, s29, s0
	s_add_i32 s1, s6, 1
	s_sub_i32 s2, s0, s23
	s_cmp_ge_u32 s0, s23
	s_cselect_b32 s1, s1, s6
	s_cselect_b32 s0, s2, s0
	s_add_i32 s2, s1, 1
	s_cmp_ge_u32 s0, s23
	s_cselect_b32 s0, s2, s1
	s_add_i32 s0, s0, -1
	s_ashr_i32 s1, s0, 1
	s_or_b32 s0, s1, s0
	s_ashr_i32 s1, s0, 2
	s_or_b32 s0, s1, s0
	;; [unrolled: 2-line block ×5, first 2 shown]
	s_add_i32 s0, s0, 1
	s_ashr_i32 s15, s0, 1
	v_add_u32_e32 v2, s20, v0
	s_cmp_gt_i32 s15, 1
	s_mov_b64 s[0:1], -1
	s_barrier
	s_cbranch_scc1 .LBB92_130
; %bb.122:
	v_cmp_gt_i32_e32 vcc, s21, v2
	s_and_saveexec_b64 s[0:1], vcc
	s_cbranch_execz .LBB92_129
; %bb.123:
	s_sub_i32 s2, s7, s21
	s_lshl_b32 s2, s2, 3
	s_add_i32 s16, s2, 0x2000
	s_lshl_b32 s2, s28, 3
	s_sub_i32 s17, 0, s2
	s_mov_b64 s[2:3], 0
	v_mov_b32_e32 v4, v2
	s_branch .LBB92_125
.LBB92_124:                             ;   in Loop: Header=BB92_125 Depth=1
	s_or_b64 exec, exec, s[6:7]
	v_lshl_add_u32 v3, v4, 3, s16
	ds_read_b64 v[8:9], v3
	s_waitcnt lgkmcnt(0)
	v_add_f64 v[6:7], v[6:7], v[8:9]
	v_lshl_add_u64 v[8:9], v[4:5], 3, s[10:11]
	global_atomic_add_f64 v[8:9], v[6:7], off
	v_add_u32_e32 v4, s29, v4
	v_cmp_le_i32_e32 vcc, s21, v4
	s_or_b64 s[2:3], vcc, s[2:3]
	s_andn2_b64 exec, exec, s[2:3]
	s_cbranch_execz .LBB92_129
.LBB92_125:                             ; =>This Loop Header: Depth=1
                                        ;     Child Loop BB92_127 Depth 2
	v_ashrrev_i32_e32 v5, 31, v4
	v_lshl_add_u64 v[6:7], v[4:5], 2, s[12:13]
	global_load_dwordx2 v[8:9], v[6:7], off
	v_mov_b64_e32 v[6:7], 0
	s_waitcnt vmcnt(0)
	v_cmp_lt_i32_e32 vcc, v8, v9
	s_and_saveexec_b64 s[6:7], vcc
	s_cbranch_execz .LBB92_124
; %bb.126:                              ;   in Loop: Header=BB92_125 Depth=1
	v_subrev_u32_e32 v3, s28, v9
	v_subrev_u32_e32 v9, s28, v8
	v_lshl_add_u32 v8, v8, 3, s17
	v_mov_b64_e32 v[6:7], 0
	s_mov_b64 s[8:9], 0
.LBB92_127:                             ;   Parent Loop BB92_125 Depth=1
                                        ; =>  This Inner Loop Header: Depth=2
	ds_read_b64 v[10:11], v8
	v_add_u32_e32 v9, 1, v9
	v_cmp_ge_i32_e32 vcc, v9, v3
	v_add_u32_e32 v8, 8, v8
	s_or_b64 s[8:9], vcc, s[8:9]
	s_waitcnt lgkmcnt(0)
	v_add_f64 v[6:7], v[6:7], v[10:11]
	s_andn2_b64 exec, exec, s[8:9]
	s_cbranch_execnz .LBB92_127
; %bb.128:                              ;   in Loop: Header=BB92_125 Depth=1
	s_or_b64 exec, exec, s[8:9]
	s_branch .LBB92_124
.LBB92_129:
	s_or_b64 exec, exec, s[0:1]
	s_mov_b64 s[0:1], 0
.LBB92_130:
	s_andn2_b64 vcc, exec, s[0:1]
	s_cbranch_vccnz .LBB92_143
; %bb.131:
	v_cvt_f32_u32_e32 v3, s15
	s_sub_i32 s0, 0, s15
	v_mov_b64_e32 v[6:7], 0
	v_rcp_iflag_f32_e32 v3, v3
	s_nop 0
	v_mul_f32_e32 v3, 0x4f7ffffe, v3
	v_cvt_u32_f32_e32 v3, v3
	v_mul_lo_u32 v4, s0, v3
	v_mul_hi_u32 v4, v3, v4
	v_add_u32_e32 v3, v3, v4
	v_mul_hi_u32 v3, v0, v3
	v_mul_lo_u32 v4, v3, s15
	v_sub_u32_e32 v4, v0, v4
	v_add_u32_e32 v5, 1, v3
	v_cmp_le_u32_e32 vcc, s15, v4
	s_nop 1
	v_cndmask_b32_e32 v3, v3, v5, vcc
	v_subrev_u32_e32 v5, s15, v4
	v_cndmask_b32_e32 v4, v4, v5, vcc
	v_add_u32_e32 v5, 1, v3
	v_cmp_le_u32_e32 vcc, s15, v4
	s_nop 1
	v_cndmask_b32_e32 v3, v3, v5, vcc
	v_lshlrev_b32_e32 v4, 2, v3
	global_load_dwordx2 v[4:5], v4, s[4:5]
	v_cmp_gt_i32_e32 vcc, s23, v3
	s_and_saveexec_b64 s[0:1], vcc
	s_cbranch_execz .LBB92_139
; %bb.132:
	s_abs_i32 s4, s15
	v_cvt_f32_u32_e32 v6, s4
	s_waitcnt vmcnt(0)
	v_subrev_u32_e32 v3, s28, v5
	v_subrev_u32_e32 v4, s28, v4
	s_sub_i32 s2, 0, s4
	v_rcp_iflag_f32_e32 v5, v6
	v_sub_u32_e32 v6, v3, v4
	v_sub_u32_e32 v7, 0, v6
	v_ashrrev_i32_e32 v8, 31, v6
	v_mul_f32_e32 v5, 0x4f7ffffe, v5
	v_cvt_u32_f32_e32 v5, v5
	v_max_i32_e32 v9, v6, v7
	s_ashr_i32 s5, s15, 31
	v_mul_lo_u32 v6, s2, v5
	v_mul_hi_u32 v6, v5, v6
	v_add_u32_e32 v5, v5, v6
	v_mad_u64_u32 v[6:7], s[2:3], v9, v5, 0
	v_mul_lo_u32 v6, v7, s4
	v_sub_u32_e32 v6, v9, v6
	v_xor_b32_e32 v5, s5, v8
	v_add_u32_e32 v8, 1, v7
	v_cmp_le_u32_e32 vcc, s4, v6
	s_add_i32 s2, s15, -1
	v_and_b32_e32 v9, s2, v0
	v_cndmask_b32_e32 v7, v7, v8, vcc
	v_subrev_u32_e32 v8, s4, v6
	v_cndmask_b32_e32 v6, v6, v8, vcc
	v_add_u32_e32 v8, 1, v7
	v_cmp_le_u32_e32 vcc, s4, v6
	s_nop 1
	v_cndmask_b32_e32 v6, v7, v8, vcc
	v_xor_b32_e32 v6, v6, v5
	v_sub_u32_e32 v5, v6, v5
	v_cmp_lt_i32_e32 vcc, 0, v5
	v_mov_b64_e32 v[6:7], 0
	v_lshlrev_b32_e32 v8, 3, v9
	s_and_saveexec_b64 s[2:3], vcc
	s_cbranch_execz .LBB92_136
; %bb.133:
	v_lshl_add_u32 v10, v4, 3, v8
	s_lshl_b32 s6, s15, 3
	v_mov_b64_e32 v[6:7], 0
	s_mov_b64 s[4:5], 0
	v_mov_b32_e32 v11, v5
.LBB92_134:                             ; =>This Inner Loop Header: Depth=1
	ds_read_b64 v[12:13], v10
	v_add_u32_e32 v11, -1, v11
	v_cmp_eq_u32_e32 vcc, 0, v11
	v_add_u32_e32 v10, s6, v10
	s_or_b64 s[4:5], vcc, s[4:5]
	s_waitcnt lgkmcnt(0)
	v_add_f64 v[6:7], v[6:7], v[12:13]
	s_andn2_b64 exec, exec, s[4:5]
	s_cbranch_execnz .LBB92_134
; %bb.135:
	s_or_b64 exec, exec, s[4:5]
.LBB92_136:
	s_or_b64 exec, exec, s[2:3]
	v_mad_u64_u32 v[4:5], s[2:3], v5, s15, v[4:5]
	v_sub_u32_e32 v3, v3, v4
	v_cmp_lt_i32_e32 vcc, v9, v3
	s_and_saveexec_b64 s[2:3], vcc
	s_cbranch_execz .LBB92_138
; %bb.137:
	v_lshl_add_u32 v3, v4, 3, v8
	ds_read_b64 v[4:5], v3
	s_waitcnt lgkmcnt(0)
	v_add_f64 v[6:7], v[6:7], v[4:5]
.LBB92_138:
	s_or_b64 exec, exec, s[2:3]
.LBB92_139:
	s_or_b64 exec, exec, s[0:1]
	v_cmp_gt_i32_e32 vcc, s23, v0
	s_barrier
	ds_write_b64 v1, v[6:7]
	s_waitcnt lgkmcnt(0)
	s_barrier
	s_and_b64 exec, exec, vcc
	s_cbranch_execz .LBB92_143
; %bb.140:
	v_mul_lo_u32 v1, s15, v0
	v_lshlrev_b32_e32 v1, 3, v1
	s_waitcnt vmcnt(0)
	v_mov_b64_e32 v[4:5], 0
.LBB92_141:                             ; =>This Inner Loop Header: Depth=1
	ds_read_b64 v[6:7], v1
	s_add_i32 s15, s15, -1
	v_add_u32_e32 v1, 8, v1
	s_cmp_eq_u32 s15, 0
	s_waitcnt lgkmcnt(0)
	v_add_f64 v[4:5], v[4:5], v[6:7]
	s_cbranch_scc0 .LBB92_141
; %bb.142:
	s_lshl_b32 s0, s14, 3
	s_addk_i32 s0, 0x2000
	v_lshl_add_u32 v0, v0, 3, s0
	ds_read_b64 v[0:1], v0
	v_ashrrev_i32_e32 v3, 31, v2
	v_lshl_add_u64 v[2:3], v[2:3], 3, s[10:11]
	s_waitcnt lgkmcnt(0)
	v_add_f64 v[0:1], v[4:5], v[0:1]
	global_atomic_add_f64 v[2:3], v[0:1], off
.LBB92_143:
	s_endpgm
	.section	.rodata,"a",@progbits
	.p2align	6, 0x0
	.amdhsa_kernel _ZN9rocsparseL27csrmvn_symm_adaptive_kernelIiifdddEEvbT_S1_PKS1_NS_24const_host_device_scalarIT4_EES3_PKT0_PKT1_PKT2_S6_PT3_21rocsparse_index_base_b
		.amdhsa_group_segment_fixed_size 8192
		.amdhsa_private_segment_fixed_size 0
		.amdhsa_kernarg_size 344
		.amdhsa_user_sgpr_count 2
		.amdhsa_user_sgpr_dispatch_ptr 0
		.amdhsa_user_sgpr_queue_ptr 0
		.amdhsa_user_sgpr_kernarg_segment_ptr 1
		.amdhsa_user_sgpr_dispatch_id 0
		.amdhsa_user_sgpr_kernarg_preload_length 0
		.amdhsa_user_sgpr_kernarg_preload_offset 0
		.amdhsa_user_sgpr_private_segment_size 0
		.amdhsa_uses_dynamic_stack 0
		.amdhsa_enable_private_segment 0
		.amdhsa_system_sgpr_workgroup_id_x 1
		.amdhsa_system_sgpr_workgroup_id_y 0
		.amdhsa_system_sgpr_workgroup_id_z 0
		.amdhsa_system_sgpr_workgroup_info 0
		.amdhsa_system_vgpr_workitem_id 0
		.amdhsa_next_free_vgpr 18
		.amdhsa_next_free_sgpr 38
		.amdhsa_accum_offset 20
		.amdhsa_reserve_vcc 1
		.amdhsa_float_round_mode_32 0
		.amdhsa_float_round_mode_16_64 0
		.amdhsa_float_denorm_mode_32 3
		.amdhsa_float_denorm_mode_16_64 3
		.amdhsa_dx10_clamp 1
		.amdhsa_ieee_mode 1
		.amdhsa_fp16_overflow 0
		.amdhsa_tg_split 0
		.amdhsa_exception_fp_ieee_invalid_op 0
		.amdhsa_exception_fp_denorm_src 0
		.amdhsa_exception_fp_ieee_div_zero 0
		.amdhsa_exception_fp_ieee_overflow 0
		.amdhsa_exception_fp_ieee_underflow 0
		.amdhsa_exception_fp_ieee_inexact 0
		.amdhsa_exception_int_div_zero 0
	.end_amdhsa_kernel
	.section	.text._ZN9rocsparseL27csrmvn_symm_adaptive_kernelIiifdddEEvbT_S1_PKS1_NS_24const_host_device_scalarIT4_EES3_PKT0_PKT1_PKT2_S6_PT3_21rocsparse_index_base_b,"axG",@progbits,_ZN9rocsparseL27csrmvn_symm_adaptive_kernelIiifdddEEvbT_S1_PKS1_NS_24const_host_device_scalarIT4_EES3_PKT0_PKT1_PKT2_S6_PT3_21rocsparse_index_base_b,comdat
.Lfunc_end92:
	.size	_ZN9rocsparseL27csrmvn_symm_adaptive_kernelIiifdddEEvbT_S1_PKS1_NS_24const_host_device_scalarIT4_EES3_PKT0_PKT1_PKT2_S6_PT3_21rocsparse_index_base_b, .Lfunc_end92-_ZN9rocsparseL27csrmvn_symm_adaptive_kernelIiifdddEEvbT_S1_PKS1_NS_24const_host_device_scalarIT4_EES3_PKT0_PKT1_PKT2_S6_PT3_21rocsparse_index_base_b
                                        ; -- End function
	.set _ZN9rocsparseL27csrmvn_symm_adaptive_kernelIiifdddEEvbT_S1_PKS1_NS_24const_host_device_scalarIT4_EES3_PKT0_PKT1_PKT2_S6_PT3_21rocsparse_index_base_b.num_vgpr, 18
	.set _ZN9rocsparseL27csrmvn_symm_adaptive_kernelIiifdddEEvbT_S1_PKS1_NS_24const_host_device_scalarIT4_EES3_PKT0_PKT1_PKT2_S6_PT3_21rocsparse_index_base_b.num_agpr, 0
	.set _ZN9rocsparseL27csrmvn_symm_adaptive_kernelIiifdddEEvbT_S1_PKS1_NS_24const_host_device_scalarIT4_EES3_PKT0_PKT1_PKT2_S6_PT3_21rocsparse_index_base_b.numbered_sgpr, 38
	.set _ZN9rocsparseL27csrmvn_symm_adaptive_kernelIiifdddEEvbT_S1_PKS1_NS_24const_host_device_scalarIT4_EES3_PKT0_PKT1_PKT2_S6_PT3_21rocsparse_index_base_b.num_named_barrier, 0
	.set _ZN9rocsparseL27csrmvn_symm_adaptive_kernelIiifdddEEvbT_S1_PKS1_NS_24const_host_device_scalarIT4_EES3_PKT0_PKT1_PKT2_S6_PT3_21rocsparse_index_base_b.private_seg_size, 0
	.set _ZN9rocsparseL27csrmvn_symm_adaptive_kernelIiifdddEEvbT_S1_PKS1_NS_24const_host_device_scalarIT4_EES3_PKT0_PKT1_PKT2_S6_PT3_21rocsparse_index_base_b.uses_vcc, 1
	.set _ZN9rocsparseL27csrmvn_symm_adaptive_kernelIiifdddEEvbT_S1_PKS1_NS_24const_host_device_scalarIT4_EES3_PKT0_PKT1_PKT2_S6_PT3_21rocsparse_index_base_b.uses_flat_scratch, 0
	.set _ZN9rocsparseL27csrmvn_symm_adaptive_kernelIiifdddEEvbT_S1_PKS1_NS_24const_host_device_scalarIT4_EES3_PKT0_PKT1_PKT2_S6_PT3_21rocsparse_index_base_b.has_dyn_sized_stack, 0
	.set _ZN9rocsparseL27csrmvn_symm_adaptive_kernelIiifdddEEvbT_S1_PKS1_NS_24const_host_device_scalarIT4_EES3_PKT0_PKT1_PKT2_S6_PT3_21rocsparse_index_base_b.has_recursion, 0
	.set _ZN9rocsparseL27csrmvn_symm_adaptive_kernelIiifdddEEvbT_S1_PKS1_NS_24const_host_device_scalarIT4_EES3_PKT0_PKT1_PKT2_S6_PT3_21rocsparse_index_base_b.has_indirect_call, 0
	.section	.AMDGPU.csdata,"",@progbits
; Kernel info:
; codeLenInByte = 5412
; TotalNumSgprs: 44
; NumVgprs: 18
; NumAgprs: 0
; TotalNumVgprs: 18
; ScratchSize: 0
; MemoryBound: 0
; FloatMode: 240
; IeeeMode: 1
; LDSByteSize: 8192 bytes/workgroup (compile time only)
; SGPRBlocks: 5
; VGPRBlocks: 2
; NumSGPRsForWavesPerEU: 44
; NumVGPRsForWavesPerEU: 18
; AccumOffset: 20
; Occupancy: 8
; WaveLimiterHint : 1
; COMPUTE_PGM_RSRC2:SCRATCH_EN: 0
; COMPUTE_PGM_RSRC2:USER_SGPR: 2
; COMPUTE_PGM_RSRC2:TRAP_HANDLER: 0
; COMPUTE_PGM_RSRC2:TGID_X_EN: 1
; COMPUTE_PGM_RSRC2:TGID_Y_EN: 0
; COMPUTE_PGM_RSRC2:TGID_Z_EN: 0
; COMPUTE_PGM_RSRC2:TIDIG_COMP_CNT: 0
; COMPUTE_PGM_RSRC3_GFX90A:ACCUM_OFFSET: 4
; COMPUTE_PGM_RSRC3_GFX90A:TG_SPLIT: 0
	.section	.text._ZL33csrmvn_symm_large_adaptive_kernelIiifdddEvbT_PKS0_N9rocsparse24const_host_device_scalarIT4_EES2_PKT0_PKT1_PKT2_S6_PT3_21rocsparse_index_base_b,"axG",@progbits,_ZL33csrmvn_symm_large_adaptive_kernelIiifdddEvbT_PKS0_N9rocsparse24const_host_device_scalarIT4_EES2_PKT0_PKT1_PKT2_S6_PT3_21rocsparse_index_base_b,comdat
	.globl	_ZL33csrmvn_symm_large_adaptive_kernelIiifdddEvbT_PKS0_N9rocsparse24const_host_device_scalarIT4_EES2_PKT0_PKT1_PKT2_S6_PT3_21rocsparse_index_base_b ; -- Begin function _ZL33csrmvn_symm_large_adaptive_kernelIiifdddEvbT_PKS0_N9rocsparse24const_host_device_scalarIT4_EES2_PKT0_PKT1_PKT2_S6_PT3_21rocsparse_index_base_b
	.p2align	8
	.type	_ZL33csrmvn_symm_large_adaptive_kernelIiifdddEvbT_PKS0_N9rocsparse24const_host_device_scalarIT4_EES2_PKT0_PKT1_PKT2_S6_PT3_21rocsparse_index_base_b,@function
_ZL33csrmvn_symm_large_adaptive_kernelIiifdddEvbT_PKS0_N9rocsparse24const_host_device_scalarIT4_EES2_PKT0_PKT1_PKT2_S6_PT3_21rocsparse_index_base_b: ; @_ZL33csrmvn_symm_large_adaptive_kernelIiifdddEvbT_PKS0_N9rocsparse24const_host_device_scalarIT4_EES2_PKT0_PKT1_PKT2_S6_PT3_21rocsparse_index_base_b
; %bb.0:
	s_load_dwordx2 s[16:17], s[0:1], 0x48
	s_load_dwordx2 s[8:9], s[0:1], 0x10
	;; [unrolled: 1-line block ×3, first 2 shown]
	s_waitcnt lgkmcnt(0)
	s_bitcmp1_b32 s17, 0
	s_cselect_b64 s[10:11], -1, 0
	s_xor_b64 s[6:7], s[10:11], -1
	s_and_b64 vcc, exec, s[10:11]
	v_mov_b64_e32 v[2:3], s[8:9]
	s_cbranch_vccnz .LBB93_2
; %bb.1:
	v_mov_b64_e32 v[2:3], s[8:9]
	flat_load_dwordx2 v[2:3], v[2:3]
.LBB93_2:
	s_andn2_b64 vcc, exec, s[6:7]
	v_mov_b64_e32 v[4:5], s[4:5]
	s_cbranch_vccnz .LBB93_4
; %bb.3:
	v_mov_b64_e32 v[4:5], s[4:5]
	flat_load_dwordx2 v[4:5], v[4:5]
.LBB93_4:
	s_waitcnt vmcnt(0) lgkmcnt(0)
	v_cmp_neq_f64_e32 vcc, 0, v[2:3]
	v_cmp_neq_f64_e64 s[4:5], 1.0, v[4:5]
	s_or_b64 s[4:5], vcc, s[4:5]
	s_and_saveexec_b64 s[6:7], s[4:5]
	s_cbranch_execz .LBB93_34
; %bb.5:
	s_load_dwordx2 s[4:5], s[0:1], 0x8
	s_ashr_i32 s3, s2, 31
	s_mov_b32 s6, 0
	s_lshl_b64 s[2:3], s[2:3], 2
	s_mov_b32 s7, s6
	s_waitcnt lgkmcnt(0)
	s_add_u32 s2, s4, s2
	v_lshlrev_b32_e32 v10, 3, v0
	v_mov_b64_e32 v[4:5], s[6:7]
	s_addc_u32 s3, s5, s3
	ds_write2st64_b64 v10, v[4:5], v[4:5] offset1:4
	ds_write2st64_b64 v10, v[4:5], v[4:5] offset0:8 offset1:12
	s_waitcnt lgkmcnt(0)
	s_barrier
	s_load_dwordx2 s[18:19], s[2:3], 0x0
	s_load_dwordx8 s[8:15], s[0:1], 0x18
	s_load_dwordx2 s[20:21], s[0:1], 0x40
	v_subrev_u32_e32 v11, s16, v0
	s_waitcnt lgkmcnt(0)
	s_cmp_ge_i32 s18, s19
	s_cbranch_scc1 .LBB93_25
; %bb.6:
	v_cmp_gt_u32_e32 vcc, 64, v0
	v_cmp_gt_u32_e64 s[0:1], 16, v0
	v_cmp_gt_u32_e64 s[2:3], 4, v0
	v_cmp_eq_u32_e64 s[4:5], 0, v0
	s_mov_b64 s[22:23], 0x400
	v_mov_b32_e32 v12, 0
	s_mov_b32 s24, s18
	s_branch .LBB93_8
.LBB93_7:                               ;   in Loop: Header=BB93_8 Depth=1
	s_or_b64 exec, exec, s[26:27]
	s_add_i32 s24, s24, 1
	s_cmp_ge_i32 s24, s19
	s_cbranch_scc1 .LBB93_25
.LBB93_8:                               ; =>This Loop Header: Depth=1
                                        ;     Child Loop BB93_10 Depth 2
                                        ;     Child Loop BB93_22 Depth 2
	s_ashr_i32 s25, s24, 31
	s_lshl_b64 s[6:7], s[24:25], 2
	s_add_u32 s6, s8, s6
	s_addc_u32 s7, s9, s7
	s_load_dwordx2 s[26:27], s[6:7], 0x0
	v_mov_b64_e32 v[4:5], 0
	s_waitcnt lgkmcnt(0)
	v_add_u32_e32 v0, s26, v11
	s_sub_i32 s17, s27, s16
	v_cmp_gt_i32_e64 s[6:7], s17, v0
	s_and_saveexec_b64 s[26:27], s[6:7]
	s_cbranch_execz .LBB93_12
; %bb.9:                                ;   in Loop: Header=BB93_8 Depth=1
	v_ashrrev_i32_e32 v1, 31, v0
	v_lshlrev_b64 v[4:5], 2, v[0:1]
	v_lshl_add_u64 v[6:7], s[10:11], 0, v[4:5]
	v_lshl_add_u64 v[8:9], s[12:13], 0, v[4:5]
	v_mov_b64_e32 v[4:5], 0
	s_mov_b64 s[28:29], 0
.LBB93_10:                              ;   Parent Loop BB93_8 Depth=1
                                        ; =>  This Inner Loop Header: Depth=2
	global_load_dword v1, v[6:7], off
	global_load_dword v13, v[8:9], off
	v_add_u32_e32 v0, 0x100, v0
	v_cmp_le_i32_e64 s[6:7], s17, v0
	v_lshl_add_u64 v[6:7], v[6:7], 0, s[22:23]
	v_lshl_add_u64 v[8:9], v[8:9], 0, s[22:23]
	s_or_b64 s[28:29], s[6:7], s[28:29]
	s_waitcnt vmcnt(1)
	v_subrev_u32_e32 v14, s16, v1
	v_ashrrev_i32_e32 v15, 31, v14
	v_lshl_add_u64 v[14:15], v[14:15], 3, s[14:15]
	global_load_dwordx2 v[14:15], v[14:15], off
	s_waitcnt vmcnt(1)
	v_cvt_f64_f32_e32 v[16:17], v13
	s_waitcnt vmcnt(0)
	v_fmac_f64_e32 v[4:5], v[16:17], v[14:15]
	s_andn2_b64 exec, exec, s[28:29]
	s_cbranch_execnz .LBB93_10
; %bb.11:                               ;   in Loop: Header=BB93_8 Depth=1
	s_or_b64 exec, exec, s[28:29]
.LBB93_12:                              ;   in Loop: Header=BB93_8 Depth=1
	s_or_b64 exec, exec, s[26:27]
	ds_write_b64 v10, v[4:5]
	s_waitcnt lgkmcnt(0)
	s_barrier
	ds_read2st64_b64 v[4:7], v10 offset1:4
	ds_read2st64_b64 v[14:17], v10 offset0:8 offset1:12
	s_waitcnt lgkmcnt(0)
	v_add_f64 v[0:1], v[6:7], v[14:15]
	v_add_f64 v[0:1], v[0:1], v[16:17]
	;; [unrolled: 1-line block ×3, first 2 shown]
	ds_write_b64 v10, v[0:1]
	s_waitcnt lgkmcnt(0)
	s_barrier
	s_and_saveexec_b64 s[6:7], vcc
	s_cbranch_execz .LBB93_14
; %bb.13:                               ;   in Loop: Header=BB93_8 Depth=1
	ds_read2st64_b64 v[4:7], v10 offset1:1
	ds_read2st64_b64 v[14:17], v10 offset0:2 offset1:3
	s_waitcnt lgkmcnt(0)
	v_add_f64 v[0:1], v[6:7], v[14:15]
	v_add_f64 v[0:1], v[0:1], v[16:17]
	;; [unrolled: 1-line block ×3, first 2 shown]
	ds_write_b64 v10, v[0:1]
.LBB93_14:                              ;   in Loop: Header=BB93_8 Depth=1
	s_or_b64 exec, exec, s[6:7]
	s_waitcnt lgkmcnt(0)
	s_barrier
	s_and_saveexec_b64 s[6:7], s[0:1]
	s_cbranch_execz .LBB93_16
; %bb.15:                               ;   in Loop: Header=BB93_8 Depth=1
	ds_read2_b64 v[4:7], v10 offset1:16
	ds_read2_b64 v[14:17], v10 offset0:32 offset1:48
	s_waitcnt lgkmcnt(0)
	v_add_f64 v[0:1], v[6:7], v[14:15]
	v_add_f64 v[0:1], v[0:1], v[16:17]
	v_add_f64 v[0:1], v[4:5], v[0:1]
	ds_write_b64 v10, v[0:1]
.LBB93_16:                              ;   in Loop: Header=BB93_8 Depth=1
	s_or_b64 exec, exec, s[6:7]
	s_waitcnt lgkmcnt(0)
	s_barrier
	s_and_saveexec_b64 s[6:7], s[2:3]
	s_cbranch_execz .LBB93_18
; %bb.17:                               ;   in Loop: Header=BB93_8 Depth=1
	ds_read2_b64 v[4:7], v10 offset1:4
	ds_read2_b64 v[14:17], v10 offset0:8 offset1:12
	s_waitcnt lgkmcnt(0)
	v_add_f64 v[0:1], v[6:7], v[14:15]
	v_add_f64 v[0:1], v[0:1], v[16:17]
	;; [unrolled: 1-line block ×3, first 2 shown]
	ds_write_b64 v10, v[0:1]
.LBB93_18:                              ;   in Loop: Header=BB93_8 Depth=1
	s_or_b64 exec, exec, s[6:7]
	s_waitcnt lgkmcnt(0)
	s_barrier
	s_and_saveexec_b64 s[6:7], s[4:5]
	s_cbranch_execz .LBB93_20
; %bb.19:                               ;   in Loop: Header=BB93_8 Depth=1
	ds_read2_b64 v[4:7], v12 offset0:1 offset1:2
	ds_read_b64 v[0:1], v12 offset:24
	ds_read_b64 v[8:9], v10
	s_waitcnt lgkmcnt(2)
	v_add_f64 v[4:5], v[4:5], v[6:7]
	s_waitcnt lgkmcnt(1)
	v_add_f64 v[0:1], v[4:5], v[0:1]
	;; [unrolled: 2-line block ×3, first 2 shown]
	ds_write_b64 v10, v[0:1]
.LBB93_20:                              ;   in Loop: Header=BB93_8 Depth=1
	s_or_b64 exec, exec, s[6:7]
	s_waitcnt lgkmcnt(0)
	s_barrier
	s_and_saveexec_b64 s[26:27], s[4:5]
	s_cbranch_execz .LBB93_7
; %bb.21:                               ;   in Loop: Header=BB93_8 Depth=1
	ds_read_b64 v[0:1], v12
	s_mov_b64 s[6:7], exec
	s_waitcnt lgkmcnt(0)
	v_mul_f64 v[4:5], v[2:3], v[0:1]
	v_mov_b32_e32 v0, 0
	v_bfrev_b32_e32 v1, 1
.LBB93_22:                              ;   Parent Loop BB93_8 Depth=1
                                        ; =>  This Inner Loop Header: Depth=2
	s_ff1_i32_b64 s17, s[6:7]
	s_lshl_b64 s[30:31], 1, s17
	v_readlane_b32 s29, v5, s17
	v_readlane_b32 s28, v4, s17
	s_andn2_b64 s[6:7], s[6:7], s[30:31]
	s_cmp_lg_u64 s[6:7], 0
	v_add_f64 v[0:1], v[0:1], s[28:29]
	s_cbranch_scc1 .LBB93_22
; %bb.23:                               ;   in Loop: Header=BB93_8 Depth=1
	v_mbcnt_lo_u32_b32 v4, exec_lo, 0
	v_mbcnt_hi_u32_b32 v4, exec_hi, v4
	v_cmp_eq_u32_e64 s[6:7], 0, v4
	s_and_saveexec_b64 s[28:29], s[6:7]
	s_xor_b64 s[28:29], exec, s[28:29]
	s_cbranch_execz .LBB93_7
; %bb.24:                               ;   in Loop: Header=BB93_8 Depth=1
	s_lshl_b64 s[6:7], s[24:25], 3
	s_add_u32 s6, s20, s6
	s_addc_u32 s7, s21, s7
	global_atomic_add_f64 v12, v[0:1], s[6:7]
	s_branch .LBB93_7
.LBB93_25:
	s_ashr_i32 s1, s18, 31
	s_mov_b32 s0, s18
	s_lshl_b64 s[0:1], s[0:1], 2
	s_add_u32 s0, s8, s0
	s_addc_u32 s1, s9, s1
	s_ashr_i32 s3, s19, 31
	s_mov_b32 s2, s19
	s_lshl_b64 s[2:3], s[2:3], 2
	s_add_u32 s2, s8, s2
	s_addc_u32 s3, s9, s3
	s_load_dword s4, s[2:3], 0x0
	s_load_dword s5, s[0:1], 0x0
	s_waitcnt lgkmcnt(0)
	s_sub_i32 s17, s4, s16
	v_add_u32_e32 v0, s5, v11
	v_cmp_gt_i32_e32 vcc, s17, v0
	s_and_b64 exec, exec, vcc
	s_cbranch_execz .LBB93_34
; %bb.26:
	s_add_i32 s22, s19, -1
	s_cmp_lt_i32 s18, s22
	s_cselect_b64 s[0:1], -1, 0
	s_add_i32 s2, s19, -2
	s_cmp_lg_u32 s18, s2
	s_cselect_b64 s[2:3], -1, 0
	s_and_b64 s[0:1], s[0:1], s[2:3]
	v_cndmask_b32_e64 v1, 0, 1, s[0:1]
	s_mov_b64 s[4:5], 0
	v_cmp_ne_u32_e64 s[0:1], 1, v1
	s_branch .LBB93_28
.LBB93_27:                              ;   in Loop: Header=BB93_28 Depth=1
	s_or_b64 exec, exec, s[2:3]
	v_add_u32_e32 v0, 0x100, v0
	v_cmp_le_i32_e32 vcc, s17, v0
	s_or_b64 s[4:5], vcc, s[4:5]
	s_andn2_b64 exec, exec, s[4:5]
	s_cbranch_execz .LBB93_34
.LBB93_28:                              ; =>This Loop Header: Depth=1
                                        ;     Child Loop BB93_30 Depth 2
	s_and_b64 vcc, exec, s[0:1]
	v_mov_b32_e32 v6, s18
	v_mov_b32_e32 v4, s22
	s_cbranch_vccnz .LBB93_32
; %bb.29:                               ;   in Loop: Header=BB93_28 Depth=1
	s_mov_b64 s[6:7], 0
	v_mov_b32_e32 v6, s18
	v_mov_b32_e32 v4, s22
.LBB93_30:                              ;   Parent Loop BB93_28 Depth=1
                                        ; =>  This Inner Loop Header: Depth=2
	v_add_u32_e32 v1, v4, v6
	v_lshrrev_b32_e32 v5, 31, v1
	v_add_u32_e32 v1, v1, v5
	v_ashrrev_i32_e32 v8, 1, v1
	v_ashrrev_i32_e32 v9, 31, v8
	v_lshl_add_u64 v[10:11], v[8:9], 2, s[8:9]
	global_load_dword v1, v[10:11], off
	s_waitcnt vmcnt(0)
	v_subrev_u32_e32 v1, s16, v1
	v_cmp_lt_i32_e32 vcc, v0, v1
	s_nop 1
	v_cndmask_b32_e32 v4, v4, v8, vcc
	v_cndmask_b32_e32 v6, v8, v6, vcc
	v_add_u32_e32 v1, -1, v4
	v_cmp_ge_i32_e32 vcc, v6, v4
	v_cmp_eq_u32_e64 s[2:3], v6, v1
	s_or_b64 s[2:3], vcc, s[2:3]
	s_and_b64 s[2:3], exec, s[2:3]
	s_or_b64 s[6:7], s[2:3], s[6:7]
	s_andn2_b64 exec, exec, s[6:7]
	s_cbranch_execnz .LBB93_30
; %bb.31:                               ;   in Loop: Header=BB93_28 Depth=1
	s_or_b64 exec, exec, s[6:7]
.LBB93_32:                              ;   in Loop: Header=BB93_28 Depth=1
	v_ashrrev_i32_e32 v5, 31, v4
	v_lshl_add_u64 v[8:9], v[4:5], 2, s[8:9]
	global_load_dword v5, v[8:9], off
	v_ashrrev_i32_e32 v1, 31, v0
	v_lshl_add_u64 v[8:9], v[0:1], 2, s[10:11]
	global_load_dword v7, v[8:9], off
	s_waitcnt vmcnt(1)
	v_subrev_u32_e32 v5, s16, v5
	v_cmp_lt_i32_e32 vcc, v0, v5
	s_nop 1
	v_cndmask_b32_e32 v6, v4, v6, vcc
	s_waitcnt vmcnt(0)
	v_subrev_u32_e32 v4, s16, v7
	v_cmp_ne_u32_e32 vcc, v4, v6
	s_and_saveexec_b64 s[2:3], vcc
	s_cbranch_execz .LBB93_27
; %bb.33:                               ;   in Loop: Header=BB93_28 Depth=1
	v_lshl_add_u64 v[8:9], v[0:1], 2, s[12:13]
	global_load_dword v1, v[8:9], off
	v_ashrrev_i32_e32 v7, 31, v6
	v_lshl_add_u64 v[6:7], v[6:7], 3, s[14:15]
	global_load_dwordx2 v[6:7], v[6:7], off
	v_ashrrev_i32_e32 v5, 31, v4
	v_lshl_add_u64 v[4:5], v[4:5], 3, s[20:21]
	s_waitcnt vmcnt(1)
	v_cvt_f64_f32_e32 v[8:9], v1
	v_mul_f64 v[8:9], v[2:3], v[8:9]
	s_waitcnt vmcnt(0)
	v_mul_f64 v[6:7], v[6:7], v[8:9]
	global_atomic_add_f64 v[4:5], v[6:7], off
	s_branch .LBB93_27
.LBB93_34:
	s_endpgm
	.section	.rodata,"a",@progbits
	.p2align	6, 0x0
	.amdhsa_kernel _ZL33csrmvn_symm_large_adaptive_kernelIiifdddEvbT_PKS0_N9rocsparse24const_host_device_scalarIT4_EES2_PKT0_PKT1_PKT2_S6_PT3_21rocsparse_index_base_b
		.amdhsa_group_segment_fixed_size 8192
		.amdhsa_private_segment_fixed_size 0
		.amdhsa_kernarg_size 80
		.amdhsa_user_sgpr_count 2
		.amdhsa_user_sgpr_dispatch_ptr 0
		.amdhsa_user_sgpr_queue_ptr 0
		.amdhsa_user_sgpr_kernarg_segment_ptr 1
		.amdhsa_user_sgpr_dispatch_id 0
		.amdhsa_user_sgpr_kernarg_preload_length 0
		.amdhsa_user_sgpr_kernarg_preload_offset 0
		.amdhsa_user_sgpr_private_segment_size 0
		.amdhsa_uses_dynamic_stack 0
		.amdhsa_enable_private_segment 0
		.amdhsa_system_sgpr_workgroup_id_x 1
		.amdhsa_system_sgpr_workgroup_id_y 0
		.amdhsa_system_sgpr_workgroup_id_z 0
		.amdhsa_system_sgpr_workgroup_info 0
		.amdhsa_system_vgpr_workitem_id 0
		.amdhsa_next_free_vgpr 18
		.amdhsa_next_free_sgpr 32
		.amdhsa_accum_offset 20
		.amdhsa_reserve_vcc 1
		.amdhsa_float_round_mode_32 0
		.amdhsa_float_round_mode_16_64 0
		.amdhsa_float_denorm_mode_32 3
		.amdhsa_float_denorm_mode_16_64 3
		.amdhsa_dx10_clamp 1
		.amdhsa_ieee_mode 1
		.amdhsa_fp16_overflow 0
		.amdhsa_tg_split 0
		.amdhsa_exception_fp_ieee_invalid_op 0
		.amdhsa_exception_fp_denorm_src 0
		.amdhsa_exception_fp_ieee_div_zero 0
		.amdhsa_exception_fp_ieee_overflow 0
		.amdhsa_exception_fp_ieee_underflow 0
		.amdhsa_exception_fp_ieee_inexact 0
		.amdhsa_exception_int_div_zero 0
	.end_amdhsa_kernel
	.section	.text._ZL33csrmvn_symm_large_adaptive_kernelIiifdddEvbT_PKS0_N9rocsparse24const_host_device_scalarIT4_EES2_PKT0_PKT1_PKT2_S6_PT3_21rocsparse_index_base_b,"axG",@progbits,_ZL33csrmvn_symm_large_adaptive_kernelIiifdddEvbT_PKS0_N9rocsparse24const_host_device_scalarIT4_EES2_PKT0_PKT1_PKT2_S6_PT3_21rocsparse_index_base_b,comdat
.Lfunc_end93:
	.size	_ZL33csrmvn_symm_large_adaptive_kernelIiifdddEvbT_PKS0_N9rocsparse24const_host_device_scalarIT4_EES2_PKT0_PKT1_PKT2_S6_PT3_21rocsparse_index_base_b, .Lfunc_end93-_ZL33csrmvn_symm_large_adaptive_kernelIiifdddEvbT_PKS0_N9rocsparse24const_host_device_scalarIT4_EES2_PKT0_PKT1_PKT2_S6_PT3_21rocsparse_index_base_b
                                        ; -- End function
	.set _ZL33csrmvn_symm_large_adaptive_kernelIiifdddEvbT_PKS0_N9rocsparse24const_host_device_scalarIT4_EES2_PKT0_PKT1_PKT2_S6_PT3_21rocsparse_index_base_b.num_vgpr, 18
	.set _ZL33csrmvn_symm_large_adaptive_kernelIiifdddEvbT_PKS0_N9rocsparse24const_host_device_scalarIT4_EES2_PKT0_PKT1_PKT2_S6_PT3_21rocsparse_index_base_b.num_agpr, 0
	.set _ZL33csrmvn_symm_large_adaptive_kernelIiifdddEvbT_PKS0_N9rocsparse24const_host_device_scalarIT4_EES2_PKT0_PKT1_PKT2_S6_PT3_21rocsparse_index_base_b.numbered_sgpr, 32
	.set _ZL33csrmvn_symm_large_adaptive_kernelIiifdddEvbT_PKS0_N9rocsparse24const_host_device_scalarIT4_EES2_PKT0_PKT1_PKT2_S6_PT3_21rocsparse_index_base_b.num_named_barrier, 0
	.set _ZL33csrmvn_symm_large_adaptive_kernelIiifdddEvbT_PKS0_N9rocsparse24const_host_device_scalarIT4_EES2_PKT0_PKT1_PKT2_S6_PT3_21rocsparse_index_base_b.private_seg_size, 0
	.set _ZL33csrmvn_symm_large_adaptive_kernelIiifdddEvbT_PKS0_N9rocsparse24const_host_device_scalarIT4_EES2_PKT0_PKT1_PKT2_S6_PT3_21rocsparse_index_base_b.uses_vcc, 1
	.set _ZL33csrmvn_symm_large_adaptive_kernelIiifdddEvbT_PKS0_N9rocsparse24const_host_device_scalarIT4_EES2_PKT0_PKT1_PKT2_S6_PT3_21rocsparse_index_base_b.uses_flat_scratch, 0
	.set _ZL33csrmvn_symm_large_adaptive_kernelIiifdddEvbT_PKS0_N9rocsparse24const_host_device_scalarIT4_EES2_PKT0_PKT1_PKT2_S6_PT3_21rocsparse_index_base_b.has_dyn_sized_stack, 0
	.set _ZL33csrmvn_symm_large_adaptive_kernelIiifdddEvbT_PKS0_N9rocsparse24const_host_device_scalarIT4_EES2_PKT0_PKT1_PKT2_S6_PT3_21rocsparse_index_base_b.has_recursion, 0
	.set _ZL33csrmvn_symm_large_adaptive_kernelIiifdddEvbT_PKS0_N9rocsparse24const_host_device_scalarIT4_EES2_PKT0_PKT1_PKT2_S6_PT3_21rocsparse_index_base_b.has_indirect_call, 0
	.section	.AMDGPU.csdata,"",@progbits
; Kernel info:
; codeLenInByte = 1476
; TotalNumSgprs: 38
; NumVgprs: 18
; NumAgprs: 0
; TotalNumVgprs: 18
; ScratchSize: 0
; MemoryBound: 0
; FloatMode: 240
; IeeeMode: 1
; LDSByteSize: 8192 bytes/workgroup (compile time only)
; SGPRBlocks: 4
; VGPRBlocks: 2
; NumSGPRsForWavesPerEU: 38
; NumVGPRsForWavesPerEU: 18
; AccumOffset: 20
; Occupancy: 8
; WaveLimiterHint : 1
; COMPUTE_PGM_RSRC2:SCRATCH_EN: 0
; COMPUTE_PGM_RSRC2:USER_SGPR: 2
; COMPUTE_PGM_RSRC2:TRAP_HANDLER: 0
; COMPUTE_PGM_RSRC2:TGID_X_EN: 1
; COMPUTE_PGM_RSRC2:TGID_Y_EN: 0
; COMPUTE_PGM_RSRC2:TGID_Z_EN: 0
; COMPUTE_PGM_RSRC2:TIDIG_COMP_CNT: 0
; COMPUTE_PGM_RSRC3_GFX90A:ACCUM_OFFSET: 4
; COMPUTE_PGM_RSRC3_GFX90A:TG_SPLIT: 0
	.section	.text._ZN9rocsparseL22csrmvn_adaptive_kernelIlifdddEEvbT_PKS1_PjPKT0_NS_24const_host_device_scalarIT4_EES3_S7_PKT1_PKT2_SA_PT3_21rocsparse_index_base_b,"axG",@progbits,_ZN9rocsparseL22csrmvn_adaptive_kernelIlifdddEEvbT_PKS1_PjPKT0_NS_24const_host_device_scalarIT4_EES3_S7_PKT1_PKT2_SA_PT3_21rocsparse_index_base_b,comdat
	.globl	_ZN9rocsparseL22csrmvn_adaptive_kernelIlifdddEEvbT_PKS1_PjPKT0_NS_24const_host_device_scalarIT4_EES3_S7_PKT1_PKT2_SA_PT3_21rocsparse_index_base_b ; -- Begin function _ZN9rocsparseL22csrmvn_adaptive_kernelIlifdddEEvbT_PKS1_PjPKT0_NS_24const_host_device_scalarIT4_EES3_S7_PKT1_PKT2_SA_PT3_21rocsparse_index_base_b
	.p2align	8
	.type	_ZN9rocsparseL22csrmvn_adaptive_kernelIlifdddEEvbT_PKS1_PjPKT0_NS_24const_host_device_scalarIT4_EES3_S7_PKT1_PKT2_SA_PT3_21rocsparse_index_base_b,@function
_ZN9rocsparseL22csrmvn_adaptive_kernelIlifdddEEvbT_PKS1_PjPKT0_NS_24const_host_device_scalarIT4_EES3_S7_PKT1_PKT2_SA_PT3_21rocsparse_index_base_b: ; @_ZN9rocsparseL22csrmvn_adaptive_kernelIlifdddEEvbT_PKS1_PjPKT0_NS_24const_host_device_scalarIT4_EES3_S7_PKT1_PKT2_SA_PT3_21rocsparse_index_base_b
; %bb.0:
	s_load_dwordx2 s[42:43], s[0:1], 0x60
	s_load_dwordx2 s[8:9], s[0:1], 0x28
	;; [unrolled: 1-line block ×3, first 2 shown]
	s_waitcnt lgkmcnt(0)
	s_bitcmp1_b32 s43, 0
	s_cselect_b64 s[10:11], -1, 0
	s_xor_b64 s[6:7], s[10:11], -1
	s_and_b64 vcc, exec, s[10:11]
	v_mov_b64_e32 v[2:3], s[8:9]
	s_cbranch_vccnz .LBB94_2
; %bb.1:
	v_mov_b64_e32 v[2:3], s[8:9]
	flat_load_dwordx2 v[2:3], v[2:3]
.LBB94_2:
	s_andn2_b64 vcc, exec, s[6:7]
	v_mov_b64_e32 v[6:7], s[4:5]
	s_cbranch_vccnz .LBB94_4
; %bb.3:
	v_mov_b64_e32 v[4:5], s[4:5]
	flat_load_dwordx2 v[6:7], v[4:5]
.LBB94_4:
	s_waitcnt vmcnt(0) lgkmcnt(0)
	v_cmp_neq_f64_e32 vcc, 0, v[2:3]
	v_cmp_neq_f64_e64 s[4:5], 1.0, v[6:7]
	s_or_b64 s[4:5], vcc, s[4:5]
	s_and_saveexec_b64 s[6:7], s[4:5]
	s_cbranch_execz .LBB94_115
; %bb.5:
	s_load_dwordx2 s[4:5], s[0:1], 0x10
	s_load_dwordx2 s[6:7], s[0:1], 0x20
	s_ashr_i32 s3, s2, 31
	s_lshl_b64 s[8:9], s[2:3], 3
	s_waitcnt lgkmcnt(0)
	s_add_u32 s4, s4, s8
	s_addc_u32 s5, s5, s9
	s_load_dwordx4 s[36:39], s[4:5], 0x0
	s_load_dwordx2 s[22:23], s[0:1], 0x58
	s_load_dwordx8 s[24:31], s[0:1], 0x30
	s_lshl_b64 s[46:47], s[2:3], 2
	s_waitcnt lgkmcnt(0)
	s_sub_i32 s3, s38, s36
	s_add_u32 s4, s6, s46
	s_addc_u32 s5, s7, s47
	s_lshl_b64 s[44:45], s[36:37], 3
	s_add_u32 s34, s24, s44
	s_addc_u32 s35, s25, s45
	s_load_dword s33, s[4:5], 0x0
	s_load_dwordx2 s[40:41], s[34:35], 0x0
	s_cmp_lt_i32 s3, 2
	s_mov_b64 s[4:5], -1
	s_cbranch_scc0 .LBB94_71
; %bb.6:
	s_cmp_lg_u32 s3, 1
	s_cselect_b64 s[4:5], -1, 0
	s_waitcnt lgkmcnt(0)
	s_cmp_lg_u32 s33, 0
	s_cselect_b64 s[6:7], -1, 0
	s_or_b64 s[6:7], s[4:5], s[6:7]
	s_mov_b64 s[4:5], -1
	s_and_b64 vcc, exec, s[6:7]
	s_cbranch_vccnz .LBB94_35
; %bb.7:
	v_mov_b64_e32 v[4:5], s[36:37]
	v_cmp_le_i64_e32 vcc, s[38:39], v[4:5]
	s_cbranch_vccnz .LBB94_34
; %bb.8:
	v_subrev_co_u32_e32 v4, vcc, s42, v0
	s_movk_i32 s3, 0x80
	s_nop 0
	v_subb_co_u32_e64 v5, s[4:5], 0, 0, vcc
	v_mov_b32_e32 v1, 0
	v_lshlrev_b32_e32 v18, 3, v0
	v_cmp_gt_u32_e64 s[4:5], s3, v0
	v_cmp_gt_u32_e64 s[6:7], 64, v0
	;; [unrolled: 1-line block ×7, first 2 shown]
	v_cmp_eq_u32_e64 s[18:19], 0, v0
	v_cmp_neq_f64_e64 s[20:21], 0, v[6:7]
	s_mov_b64 s[48:49], 0x100
	s_mov_b64 s[50:51], 0x400
	v_mov_b64_e32 v[8:9], s[38:39]
	s_mov_b64 s[52:53], s[36:37]
	s_branch .LBB94_11
.LBB94_9:                               ;   in Loop: Header=BB94_11 Depth=1
	s_or_b64 exec, exec, s[58:59]
	s_add_u32 s54, s22, s54
	s_addc_u32 s55, s23, s55
	s_waitcnt lgkmcnt(0)
	global_store_dwordx2 v1, v[10:11], s[54:55]
.LBB94_10:                              ;   in Loop: Header=BB94_11 Depth=1
	s_or_b64 exec, exec, s[56:57]
	s_add_u32 s52, s52, 1
	s_addc_u32 s53, s53, 0
	v_cmp_ge_i64_e32 vcc, s[52:53], v[8:9]
	s_cbranch_vccnz .LBB94_34
.LBB94_11:                              ; =>This Loop Header: Depth=1
                                        ;     Child Loop BB94_13 Depth 2
	s_lshl_b64 s[54:55], s[52:53], 3
	s_add_u32 s56, s24, s54
	s_addc_u32 s57, s25, s55
	s_load_dwordx4 s[60:63], s[56:57], 0x0
	v_mov_b64_e32 v[10:11], 0
	s_waitcnt lgkmcnt(0)
	s_sub_u32 s56, s62, s42
	v_lshl_add_u64 v[12:13], s[60:61], 0, v[4:5]
	s_subb_u32 s57, s63, 0
	v_cmp_gt_i64_e32 vcc, s[56:57], v[12:13]
	s_and_saveexec_b64 s[58:59], vcc
	s_cbranch_execz .LBB94_15
; %bb.12:                               ;   in Loop: Header=BB94_11 Depth=1
	v_lshlrev_b64 v[10:11], 2, v[12:13]
	v_lshl_add_u64 v[14:15], s[28:29], 0, v[10:11]
	v_lshl_add_u64 v[16:17], s[26:27], 0, v[10:11]
	v_mov_b64_e32 v[10:11], 0
	s_mov_b64 s[60:61], 0
.LBB94_13:                              ;   Parent Loop BB94_11 Depth=1
                                        ; =>  This Inner Loop Header: Depth=2
	global_load_dword v19, v[16:17], off
	global_load_dword v22, v[14:15], off
	v_lshl_add_u64 v[12:13], v[12:13], 0, s[48:49]
	v_cmp_le_i64_e32 vcc, s[56:57], v[12:13]
	v_lshl_add_u64 v[14:15], v[14:15], 0, s[50:51]
	v_lshl_add_u64 v[16:17], v[16:17], 0, s[50:51]
	s_or_b64 s[60:61], vcc, s[60:61]
	s_waitcnt vmcnt(1)
	v_subrev_u32_e32 v20, s42, v19
	v_ashrrev_i32_e32 v21, 31, v20
	v_lshl_add_u64 v[20:21], v[20:21], 3, s[30:31]
	global_load_dwordx2 v[20:21], v[20:21], off
	s_waitcnt vmcnt(1)
	v_cvt_f64_f32_e32 v[22:23], v22
	v_mul_f64 v[22:23], v[2:3], v[22:23]
	s_waitcnt vmcnt(0)
	v_fmac_f64_e32 v[10:11], v[22:23], v[20:21]
	s_andn2_b64 exec, exec, s[60:61]
	s_cbranch_execnz .LBB94_13
; %bb.14:                               ;   in Loop: Header=BB94_11 Depth=1
	s_or_b64 exec, exec, s[60:61]
.LBB94_15:                              ;   in Loop: Header=BB94_11 Depth=1
	s_or_b64 exec, exec, s[58:59]
	ds_write_b64 v18, v[10:11]
	s_waitcnt lgkmcnt(0)
	s_barrier
	s_and_saveexec_b64 s[56:57], s[4:5]
	s_cbranch_execz .LBB94_17
; %bb.16:                               ;   in Loop: Header=BB94_11 Depth=1
	ds_read2st64_b64 v[10:13], v18 offset1:2
	s_waitcnt lgkmcnt(0)
	v_add_f64 v[10:11], v[10:11], v[12:13]
	ds_write_b64 v18, v[10:11]
.LBB94_17:                              ;   in Loop: Header=BB94_11 Depth=1
	s_or_b64 exec, exec, s[56:57]
	s_waitcnt lgkmcnt(0)
	s_barrier
	s_and_saveexec_b64 s[56:57], s[6:7]
	s_cbranch_execz .LBB94_19
; %bb.18:                               ;   in Loop: Header=BB94_11 Depth=1
	ds_read2st64_b64 v[10:13], v18 offset1:1
	s_waitcnt lgkmcnt(0)
	v_add_f64 v[10:11], v[10:11], v[12:13]
	ds_write_b64 v18, v[10:11]
.LBB94_19:                              ;   in Loop: Header=BB94_11 Depth=1
	s_or_b64 exec, exec, s[56:57]
	s_waitcnt lgkmcnt(0)
	s_barrier
	s_and_saveexec_b64 s[56:57], s[8:9]
	s_cbranch_execz .LBB94_21
; %bb.20:                               ;   in Loop: Header=BB94_11 Depth=1
	ds_read2_b64 v[10:13], v18 offset1:32
	s_waitcnt lgkmcnt(0)
	v_add_f64 v[10:11], v[10:11], v[12:13]
	ds_write_b64 v18, v[10:11]
.LBB94_21:                              ;   in Loop: Header=BB94_11 Depth=1
	s_or_b64 exec, exec, s[56:57]
	s_waitcnt lgkmcnt(0)
	s_barrier
	s_and_saveexec_b64 s[56:57], s[10:11]
	s_cbranch_execz .LBB94_23
; %bb.22:                               ;   in Loop: Header=BB94_11 Depth=1
	ds_read2_b64 v[10:13], v18 offset1:16
	s_waitcnt lgkmcnt(0)
	v_add_f64 v[10:11], v[10:11], v[12:13]
	ds_write_b64 v18, v[10:11]
.LBB94_23:                              ;   in Loop: Header=BB94_11 Depth=1
	;; [unrolled: 11-line block ×5, first 2 shown]
	s_or_b64 exec, exec, s[56:57]
	s_waitcnt lgkmcnt(0)
	s_barrier
	s_and_saveexec_b64 s[56:57], s[18:19]
	s_cbranch_execz .LBB94_31
; %bb.30:                               ;   in Loop: Header=BB94_11 Depth=1
	ds_read_b128 v[10:13], v1
	s_waitcnt lgkmcnt(0)
	v_add_f64 v[10:11], v[10:11], v[12:13]
	ds_write_b64 v1, v[10:11]
.LBB94_31:                              ;   in Loop: Header=BB94_11 Depth=1
	s_or_b64 exec, exec, s[56:57]
	s_waitcnt lgkmcnt(0)
	s_barrier
	s_and_saveexec_b64 s[56:57], s[18:19]
	s_cbranch_execz .LBB94_10
; %bb.32:                               ;   in Loop: Header=BB94_11 Depth=1
	ds_read_b64 v[10:11], v1
	s_and_saveexec_b64 s[58:59], s[20:21]
	s_cbranch_execz .LBB94_9
; %bb.33:                               ;   in Loop: Header=BB94_11 Depth=1
	s_add_u32 s60, s22, s54
	s_addc_u32 s61, s23, s55
	global_load_dwordx2 v[12:13], v1, s[60:61]
	s_waitcnt vmcnt(0) lgkmcnt(0)
	v_fmac_f64_e32 v[10:11], v[6:7], v[12:13]
	s_branch .LBB94_9
.LBB94_34:
	s_mov_b64 s[4:5], 0
.LBB94_35:
	s_andn2_b64 vcc, exec, s[4:5]
	s_cbranch_vccnz .LBB94_70
; %bb.36:
	s_load_dwordx2 s[4:5], s[0:1], 0x18
	s_sub_i32 s6, s2, s33
	v_mov_b32_e32 v1, 0
	v_or_b32_e32 v4, s33, v0
	v_cmp_eq_u32_e32 vcc, 0, v4
	s_waitcnt lgkmcnt(0)
	s_add_u32 s2, s4, s46
	s_addc_u32 s3, s5, s47
	global_load_dword v14, v1, s[2:3]
	v_mov_b64_e32 v[4:5], 0
	s_and_saveexec_b64 s[8:9], vcc
	s_cbranch_execz .LBB94_40
; %bb.37:
	s_add_u32 s12, s22, s44
	s_addc_u32 s13, s23, s45
	global_load_dwordx2 v[4:5], v1, s[12:13]
	s_mov_b64 s[10:11], exec
	v_mbcnt_lo_u32_b32 v10, s10, 0
	v_mbcnt_hi_u32_b32 v10, s11, v10
	v_add_f64 v[8:9], v[6:7], -1.0
	v_cmp_eq_u32_e32 vcc, 0, v10
	s_waitcnt vmcnt(0) expcnt(0) lgkmcnt(0)
	s_and_saveexec_b64 s[12:13], vcc
	s_cbranch_execz .LBB94_39
; %bb.38:
	s_ashr_i32 s7, s6, 31
	s_lshl_b64 s[14:15], s[6:7], 2
	s_add_u32 s14, s4, s14
	s_addc_u32 s15, s5, s15
	s_bcnt1_i32_b64 s7, s[10:11]
	s_and_b32 s7, s7, 1
	v_mov_b32_e32 v10, 0
	v_mov_b32_e32 v11, s7
	global_atomic_xor v10, v11, s[14:15]
.LBB94_39:
	s_or_b64 exec, exec, s[12:13]
	v_mul_f64 v[4:5], v[8:9], v[4:5]
.LBB94_40:
	s_or_b64 exec, exec, s[8:9]
	s_load_dwordx2 s[8:9], s[34:35], 0x8
	s_sub_u32 s11, s40, s42
	s_mul_i32 s10, s33, 0xc00
	s_subb_u32 s13, s41, 0
	s_mul_hi_i32 s7, s33, 0xc00
	s_add_u32 s12, s11, s10
	s_addc_u32 s13, s13, s7
	s_waitcnt lgkmcnt(0)
	s_sub_u32 s10, s8, s42
	s_subb_u32 s11, s9, 0
	v_lshl_add_u64 v[8:9], s[12:13], 0, v[0:1]
	v_cmp_gt_i64_e32 vcc, s[10:11], v[8:9]
	s_and_saveexec_b64 s[8:9], vcc
	s_cbranch_execz .LBB94_44
; %bb.41:
	s_add_u32 s12, s12, 0xc00
	s_addc_u32 s13, s13, 0
	v_mov_b64_e32 v[10:11], s[10:11]
	v_cmp_lt_i64_e32 vcc, s[12:13], v[10:11]
	s_and_b64 s[14:15], vcc, exec
	v_lshlrev_b64 v[12:13], 2, v[8:9]
	s_cselect_b32 s11, s13, s11
	s_cselect_b32 s10, s12, s10
	v_lshl_add_u64 v[10:11], s[28:29], 0, v[12:13]
	v_lshl_add_u64 v[12:13], s[26:27], 0, v[12:13]
	s_mov_b64 s[12:13], 0
	s_mov_b64 s[14:15], 0x100
	;; [unrolled: 1-line block ×3, first 2 shown]
.LBB94_42:                              ; =>This Inner Loop Header: Depth=1
	global_load_dword v1, v[12:13], off
	global_load_dword v15, v[10:11], off
	v_lshl_add_u64 v[8:9], v[8:9], 0, s[14:15]
	v_cmp_le_i64_e32 vcc, s[10:11], v[8:9]
	v_lshl_add_u64 v[10:11], v[10:11], 0, s[16:17]
	v_lshl_add_u64 v[12:13], v[12:13], 0, s[16:17]
	s_or_b64 s[12:13], vcc, s[12:13]
	s_waitcnt vmcnt(1)
	v_subrev_u32_e32 v16, s42, v1
	v_ashrrev_i32_e32 v17, 31, v16
	v_lshl_add_u64 v[16:17], v[16:17], 3, s[30:31]
	global_load_dwordx2 v[16:17], v[16:17], off
	s_waitcnt vmcnt(1)
	v_cvt_f64_f32_e32 v[18:19], v15
	v_mul_f64 v[18:19], v[2:3], v[18:19]
	s_waitcnt vmcnt(0)
	v_fmac_f64_e32 v[4:5], v[18:19], v[16:17]
	s_andn2_b64 exec, exec, s[12:13]
	s_cbranch_execnz .LBB94_42
; %bb.43:
	s_or_b64 exec, exec, s[12:13]
.LBB94_44:
	s_or_b64 exec, exec, s[8:9]
	s_movk_i32 s7, 0x80
	v_lshlrev_b32_e32 v1, 3, v0
	v_cmp_gt_u32_e32 vcc, s7, v0
	ds_write_b64 v1, v[4:5]
	s_waitcnt lgkmcnt(0)
	s_barrier
	s_and_saveexec_b64 s[8:9], vcc
	s_cbranch_execz .LBB94_46
; %bb.45:
	ds_read2st64_b64 v[8:11], v1 offset1:2
	s_waitcnt lgkmcnt(0)
	v_add_f64 v[4:5], v[8:9], v[10:11]
	ds_write_b64 v1, v[4:5]
.LBB94_46:
	s_or_b64 exec, exec, s[8:9]
	v_cmp_gt_u32_e32 vcc, 64, v0
	s_waitcnt lgkmcnt(0)
	s_barrier
	s_and_saveexec_b64 s[8:9], vcc
	s_cbranch_execz .LBB94_48
; %bb.47:
	ds_read2st64_b64 v[8:11], v1 offset1:1
	s_waitcnt lgkmcnt(0)
	v_add_f64 v[4:5], v[8:9], v[10:11]
	ds_write_b64 v1, v[4:5]
.LBB94_48:
	s_or_b64 exec, exec, s[8:9]
	v_cmp_gt_u32_e32 vcc, 32, v0
	s_waitcnt lgkmcnt(0)
	s_barrier
	s_and_saveexec_b64 s[8:9], vcc
	s_cbranch_execz .LBB94_50
; %bb.49:
	ds_read2_b64 v[8:11], v1 offset1:32
	s_waitcnt lgkmcnt(0)
	v_add_f64 v[4:5], v[8:9], v[10:11]
	ds_write_b64 v1, v[4:5]
.LBB94_50:
	s_or_b64 exec, exec, s[8:9]
	v_cmp_gt_u32_e32 vcc, 16, v0
	s_waitcnt lgkmcnt(0)
	s_barrier
	s_and_saveexec_b64 s[8:9], vcc
	s_cbranch_execz .LBB94_52
; %bb.51:
	ds_read2_b64 v[8:11], v1 offset1:16
	s_waitcnt lgkmcnt(0)
	v_add_f64 v[4:5], v[8:9], v[10:11]
	ds_write_b64 v1, v[4:5]
.LBB94_52:
	;; [unrolled: 12-line block ×5, first 2 shown]
	s_or_b64 exec, exec, s[8:9]
	v_cmp_eq_u32_e32 vcc, 0, v0
	s_waitcnt lgkmcnt(0)
	s_barrier
	s_and_saveexec_b64 s[8:9], vcc
	s_cbranch_execz .LBB94_60
; %bb.59:
	v_mov_b32_e32 v1, 0
	ds_read_b128 v[8:11], v1
	s_waitcnt lgkmcnt(0)
	v_add_f64 v[4:5], v[8:9], v[10:11]
	ds_write_b64 v1, v[4:5]
.LBB94_60:
	s_or_b64 exec, exec, s[8:9]
	s_waitcnt lgkmcnt(0)
	s_barrier
	s_and_saveexec_b64 s[8:9], vcc
	s_cbranch_execz .LBB94_69
; %bb.61:
	s_cmp_eq_u32 s33, 0
	s_cbranch_scc1 .LBB94_67
; %bb.62:
	s_ashr_i32 s7, s6, 31
	s_lshl_b64 s[6:7], s[6:7], 2
	s_add_u32 s4, s4, s6
	s_addc_u32 s5, s5, s7
	v_mov_b32_e32 v1, 0
	s_branch .LBB94_64
.LBB94_63:                              ;   in Loop: Header=BB94_64 Depth=1
	s_or_b64 exec, exec, s[6:7]
	s_waitcnt vmcnt(0)
	v_readfirstlane_b32 s6, v4
	s_nop 1
	v_cmp_eq_u32_e32 vcc, s6, v14
	s_cbranch_vccz .LBB94_66
.LBB94_64:                              ; =>This Inner Loop Header: Depth=1
	v_mbcnt_lo_u32_b32 v4, exec_lo, 0
	v_mbcnt_hi_u32_b32 v4, exec_hi, v4
	v_cmp_eq_u32_e32 vcc, 0, v4
                                        ; implicit-def: $vgpr4
	s_and_saveexec_b64 s[6:7], vcc
	s_cbranch_execz .LBB94_63
; %bb.65:                               ;   in Loop: Header=BB94_64 Depth=1
	global_load_dword v4, v1, s[4:5] sc1
	s_branch .LBB94_63
.LBB94_66:
	v_mov_b32_e32 v1, 0
	global_load_ushort v4, v1, s[2:3]
	s_waitcnt vmcnt(0)
	v_xor_b32_e32 v4, 1, v4
	global_store_short v1, v4, s[2:3]
.LBB94_67:
	s_mov_b64 s[2:3], exec
	v_mbcnt_lo_u32_b32 v1, s2, 0
	v_mbcnt_hi_u32_b32 v1, s3, v1
	v_cmp_eq_u32_e32 vcc, 0, v1
	s_and_b64 s[4:5], exec, vcc
	s_mov_b64 exec, s[4:5]
	s_cbranch_execz .LBB94_69
; %bb.68:
	v_mov_b32_e32 v1, 0
	ds_read_b64 v[4:5], v1
	s_add_u32 s4, s22, s44
	s_addc_u32 s5, s23, s45
	s_bcnt1_i32_b64 s2, s[2:3]
	v_cvt_f64_u32_e32 v[8:9], s2
	s_waitcnt lgkmcnt(0)
	v_mul_f64 v[4:5], v[4:5], v[8:9]
	global_atomic_add_f64 v1, v[4:5], s[4:5]
.LBB94_69:
	s_or_b64 exec, exec, s[8:9]
.LBB94_70:
	s_mov_b64 s[4:5], 0
.LBB94_71:
	s_andn2_b64 vcc, exec, s[4:5]
	s_cbranch_vccnz .LBB94_115
; %bb.72:
	s_load_dwordx2 s[0:1], s[0:1], 0x8
	v_subrev_co_u32_e32 v4, vcc, s42, v0
	v_mov_b32_e32 v1, 0
	s_nop 0
	v_subb_co_u32_e64 v5, s[2:3], 0, 0, vcc
	s_waitcnt lgkmcnt(0)
	v_lshl_add_u64 v[4:5], s[40:41], 0, v[4:5]
	s_mov_b64 s[2:3], 0x300
	v_lshl_add_u64 v[8:9], v[4:5], 0, s[2:3]
	v_cmp_le_i64_e32 vcc, s[0:1], v[8:9]
	s_and_saveexec_b64 s[0:1], vcc
	s_xor_b64 s[0:1], exec, s[0:1]
	s_cbranch_execz .LBB94_77
; %bb.73:
	s_lshl_b64 s[2:3], s[38:39], 3
	s_add_u32 s2, s24, s2
	s_addc_u32 s3, s25, s3
	s_load_dwordx2 s[2:3], s[2:3], 0x0
	s_waitcnt lgkmcnt(0)
	s_sub_u32 s2, s2, s42
	s_subb_u32 s3, s3, 0
	v_cmp_gt_i64_e32 vcc, s[2:3], v[4:5]
	s_and_saveexec_b64 s[4:5], vcc
	s_cbranch_execz .LBB94_76
; %bb.74:
	v_lshlrev_b64 v[10:11], 2, v[4:5]
	v_lshlrev_b32_e32 v12, 3, v0
	v_lshl_add_u64 v[8:9], s[28:29], 0, v[10:11]
	v_lshl_add_u64 v[10:11], s[26:27], 0, v[10:11]
	s_mov_b64 s[6:7], 0
	s_mov_b64 s[8:9], 0x100
	;; [unrolled: 1-line block ×3, first 2 shown]
.LBB94_75:                              ; =>This Inner Loop Header: Depth=1
	global_load_dword v13, v[10:11], off
	global_load_dword v16, v[8:9], off
	v_lshl_add_u64 v[4:5], v[4:5], 0, s[8:9]
	v_cmp_le_i64_e32 vcc, s[2:3], v[4:5]
	v_lshl_add_u64 v[8:9], v[8:9], 0, s[10:11]
	v_lshl_add_u64 v[10:11], v[10:11], 0, s[10:11]
	s_or_b64 s[6:7], vcc, s[6:7]
	s_waitcnt vmcnt(1)
	v_subrev_u32_e32 v14, s42, v13
	v_ashrrev_i32_e32 v15, 31, v14
	v_lshl_add_u64 v[14:15], v[14:15], 3, s[30:31]
	global_load_dwordx2 v[14:15], v[14:15], off
	s_waitcnt vmcnt(1)
	v_cvt_f64_f32_e32 v[16:17], v16
	v_mul_f64 v[16:17], v[2:3], v[16:17]
	s_waitcnt vmcnt(0)
	v_mul_f64 v[14:15], v[16:17], v[14:15]
	ds_write_b64 v12, v[14:15]
	v_add_u32_e32 v12, 0x800, v12
	s_andn2_b64 exec, exec, s[6:7]
	s_cbranch_execnz .LBB94_75
.LBB94_76:
	s_or_b64 exec, exec, s[4:5]
                                        ; implicit-def: $vgpr4_vgpr5
                                        ; implicit-def: $vgpr2_vgpr3
.LBB94_77:
	s_or_saveexec_b64 s[0:1], s[0:1]
	v_lshlrev_b32_e32 v10, 3, v0
	s_xor_b64 exec, exec, s[0:1]
	s_cbranch_execz .LBB94_79
; %bb.78:
	v_lshlrev_b64 v[4:5], 2, v[4:5]
	v_lshl_add_u64 v[8:9], s[26:27], 0, v[4:5]
	global_load_dword v11, v[8:9], off
	global_load_dword v12, v[8:9], off offset:1024
	global_load_dword v13, v[8:9], off offset:2048
	global_load_dword v14, v[8:9], off offset:3072
	v_lshl_add_u64 v[4:5], s[28:29], 0, v[4:5]
	global_load_dword v24, v[4:5], off
	global_load_dword v25, v[4:5], off offset:1024
	global_load_dword v26, v[4:5], off offset:2048
	;; [unrolled: 1-line block ×3, first 2 shown]
	s_waitcnt vmcnt(7)
	v_subrev_u32_e32 v4, s42, v11
	s_waitcnt vmcnt(6)
	v_subrev_u32_e32 v8, s42, v12
	;; [unrolled: 2-line block ×4, first 2 shown]
	v_ashrrev_i32_e32 v5, 31, v4
	v_ashrrev_i32_e32 v9, 31, v8
	;; [unrolled: 1-line block ×4, first 2 shown]
	v_lshl_add_u64 v[4:5], v[4:5], 3, s[30:31]
	v_lshl_add_u64 v[8:9], v[8:9], 3, s[30:31]
	;; [unrolled: 1-line block ×4, first 2 shown]
	global_load_dwordx2 v[16:17], v[4:5], off
	global_load_dwordx2 v[18:19], v[8:9], off
	;; [unrolled: 1-line block ×4, first 2 shown]
	s_waitcnt vmcnt(7)
	v_cvt_f64_f32_e32 v[4:5], v24
	s_waitcnt vmcnt(6)
	v_cvt_f64_f32_e32 v[8:9], v25
	s_waitcnt vmcnt(5)
	v_cvt_f64_f32_e32 v[12:13], v26
	s_waitcnt vmcnt(4)
	v_cvt_f64_f32_e32 v[14:15], v27
	v_mul_f64 v[4:5], v[2:3], v[4:5]
	v_mul_f64 v[8:9], v[2:3], v[8:9]
	;; [unrolled: 1-line block ×4, first 2 shown]
	s_waitcnt vmcnt(3)
	v_mul_f64 v[4:5], v[4:5], v[16:17]
	s_waitcnt vmcnt(2)
	v_mul_f64 v[8:9], v[8:9], v[18:19]
	;; [unrolled: 2-line block ×4, first 2 shown]
	ds_write2st64_b64 v10, v[4:5], v[8:9] offset1:4
	ds_write2st64_b64 v10, v[12:13], v[2:3] offset0:8 offset1:12
.LBB94_79:
	s_or_b64 exec, exec, s[0:1]
	s_cmp_lt_i32 s33, 2
	s_mov_b64 s[0:1], -1
	s_waitcnt lgkmcnt(0)
	s_barrier
	s_cbranch_scc0 .LBB94_90
; %bb.80:
	v_lshl_add_u64 v[8:9], s[36:37], 0, v[0:1]
	v_cmp_gt_i64_e32 vcc, s[38:39], v[8:9]
	s_and_saveexec_b64 s[2:3], vcc
	s_cbranch_execz .LBB94_89
; %bb.81:
	s_lshl_b32 s0, s40, 3
	s_mov_b64 s[4:5], 0
	v_cmp_neq_f64_e32 vcc, 0, v[6:7]
	s_sub_i32 s12, 0, s0
	s_mov_b64 s[6:7], 0x100
	s_branch .LBB94_83
.LBB94_82:                              ;   in Loop: Header=BB94_83 Depth=1
	s_or_b64 exec, exec, s[0:1]
	v_lshl_add_u64 v[8:9], v[8:9], 0, s[6:7]
	v_cmp_le_i64_e64 s[0:1], s[38:39], v[8:9]
	s_or_b64 s[4:5], s[0:1], s[4:5]
	global_store_dwordx2 v[2:3], v[4:5], off
	s_andn2_b64 exec, exec, s[4:5]
	s_cbranch_execz .LBB94_89
.LBB94_83:                              ; =>This Loop Header: Depth=1
                                        ;     Child Loop BB94_85 Depth 2
	v_lshl_add_u64 v[2:3], v[8:9], 3, s[24:25]
	global_load_dwordx4 v[2:5], v[2:3], off
	s_waitcnt vmcnt(0)
	v_subrev_u32_e32 v1, s40, v2
	v_subrev_u32_e32 v3, s40, v4
	v_cmp_lt_i32_e64 s[0:1], v1, v3
	v_mov_b64_e32 v[4:5], 0
	s_and_saveexec_b64 s[8:9], s[0:1]
	s_cbranch_execz .LBB94_87
; %bb.84:                               ;   in Loop: Header=BB94_83 Depth=1
	v_lshl_add_u32 v2, v2, 3, s12
	v_mov_b64_e32 v[4:5], 0
	s_mov_b64 s[10:11], 0
.LBB94_85:                              ;   Parent Loop BB94_83 Depth=1
                                        ; =>  This Inner Loop Header: Depth=2
	ds_read_b64 v[12:13], v2
	v_add_u32_e32 v1, 1, v1
	v_cmp_ge_i32_e64 s[0:1], v1, v3
	v_add_u32_e32 v2, 8, v2
	s_or_b64 s[10:11], s[0:1], s[10:11]
	s_waitcnt lgkmcnt(0)
	v_add_f64 v[4:5], v[4:5], v[12:13]
	s_andn2_b64 exec, exec, s[10:11]
	s_cbranch_execnz .LBB94_85
; %bb.86:                               ;   in Loop: Header=BB94_83 Depth=1
	s_or_b64 exec, exec, s[10:11]
.LBB94_87:                              ;   in Loop: Header=BB94_83 Depth=1
	s_or_b64 exec, exec, s[8:9]
	v_lshl_add_u64 v[2:3], v[8:9], 3, s[22:23]
	s_and_saveexec_b64 s[0:1], vcc
	s_cbranch_execz .LBB94_82
; %bb.88:                               ;   in Loop: Header=BB94_83 Depth=1
	global_load_dwordx2 v[12:13], v[2:3], off
	s_waitcnt vmcnt(0)
	v_fmac_f64_e32 v[4:5], v[6:7], v[12:13]
	s_branch .LBB94_82
.LBB94_89:
	s_or_b64 exec, exec, s[2:3]
	s_mov_b64 s[0:1], 0
.LBB94_90:
	s_andn2_b64 vcc, exec, s[0:1]
	s_cbranch_vccnz .LBB94_115
; %bb.91:
	s_flbit_i32_b32 s0, s33
	s_xor_b32 s0, s0, 31
	v_lshrrev_b32_e32 v4, s0, v0
	v_mov_b32_e32 v5, 0
	v_lshl_add_u64 v[2:3], s[36:37], 0, v[4:5]
	s_add_i32 s0, s33, -1
	v_and_b32_e32 v5, s0, v0
	v_cmp_le_i64_e32 vcc, s[38:39], v[2:3]
	v_cmp_gt_i64_e64 s[0:1], s[38:39], v[2:3]
	v_mov_b64_e32 v[0:1], 0
	s_and_saveexec_b64 s[2:3], s[0:1]
	s_cbranch_execz .LBB94_97
; %bb.92:
	v_lshlrev_b32_e32 v0, 3, v4
	global_load_dword v1, v0, s[34:35] offset:8
	global_load_dword v8, v0, s[34:35]
	s_waitcnt vmcnt(1)
	v_subrev_u32_e32 v4, s40, v1
	s_waitcnt vmcnt(0)
	v_subrev_u32_e32 v0, s40, v8
	v_add_u32_e32 v8, v5, v0
	v_cmp_lt_i32_e64 s[0:1], v8, v4
	v_mov_b64_e32 v[0:1], 0
	s_and_saveexec_b64 s[4:5], s[0:1]
	s_cbranch_execz .LBB94_96
; %bb.93:
	v_lshlrev_b32_e32 v9, 3, v8
	s_lshl_b32 s8, s33, 3
	v_mov_b64_e32 v[0:1], 0
	s_mov_b64 s[6:7], 0
.LBB94_94:                              ; =>This Inner Loop Header: Depth=1
	ds_read_b64 v[12:13], v9
	v_add_u32_e32 v8, s33, v8
	v_cmp_ge_i32_e64 s[0:1], v8, v4
	v_add_u32_e32 v9, s8, v9
	s_or_b64 s[6:7], s[0:1], s[6:7]
	s_waitcnt lgkmcnt(0)
	v_add_f64 v[0:1], v[0:1], v[12:13]
	s_andn2_b64 exec, exec, s[6:7]
	s_cbranch_execnz .LBB94_94
; %bb.95:
	s_or_b64 exec, exec, s[6:7]
.LBB94_96:
	s_or_b64 exec, exec, s[4:5]
.LBB94_97:
	s_or_b64 exec, exec, s[2:3]
	s_cmpk_lt_u32 s33, 0x81
	s_barrier
	ds_write_b64 v10, v[0:1]
	s_waitcnt lgkmcnt(0)
	s_barrier
	s_cbranch_scc1 .LBB94_99
; %bb.98:
	ds_read_b64 v[8:9], v10 offset:1024
	s_waitcnt lgkmcnt(0)
	s_barrier
	v_add_f64 v[0:1], v[0:1], v[8:9]
	ds_write_b64 v10, v[0:1]
.LBB94_99:
	s_cmpk_lt_u32 s33, 0x41
	s_waitcnt lgkmcnt(0)
	s_barrier
	s_cbranch_scc1 .LBB94_101
; %bb.100:
	ds_read_b64 v[8:9], v10 offset:512
	s_waitcnt lgkmcnt(0)
	s_barrier
	v_add_f64 v[0:1], v[0:1], v[8:9]
	ds_write_b64 v10, v[0:1]
.LBB94_101:
	s_cmp_lt_u32 s33, 33
	s_waitcnt lgkmcnt(0)
	s_barrier
	s_cbranch_scc1 .LBB94_103
; %bb.102:
	ds_read_b64 v[8:9], v10 offset:256
	s_waitcnt lgkmcnt(0)
	s_barrier
	v_add_f64 v[0:1], v[0:1], v[8:9]
	ds_write_b64 v10, v[0:1]
.LBB94_103:
	s_cmp_lt_u32 s33, 17
	;; [unrolled: 11-line block ×4, first 2 shown]
	s_waitcnt lgkmcnt(0)
	s_barrier
	s_cbranch_scc1 .LBB94_109
; %bb.108:
	ds_read_b64 v[8:9], v10 offset:32
	s_waitcnt lgkmcnt(0)
	s_barrier
	v_add_f64 v[0:1], v[0:1], v[8:9]
	ds_write_b64 v10, v[0:1]
.LBB94_109:
	s_cmp_eq_u32 s33, 2
	s_waitcnt lgkmcnt(0)
	s_barrier
	s_cbranch_scc1 .LBB94_111
; %bb.110:
	ds_read_b64 v[8:9], v10 offset:16
	s_waitcnt lgkmcnt(0)
	s_barrier
	v_add_f64 v[0:1], v[0:1], v[8:9]
	ds_write_b64 v10, v[0:1]
.LBB94_111:
	s_waitcnt lgkmcnt(0)
	s_barrier
	ds_read_b64 v[8:9], v10 offset:8
	v_cmp_eq_u32_e64 s[0:1], 0, v5
	s_xor_b64 s[2:3], vcc, -1
	s_and_b64 s[0:1], s[0:1], s[2:3]
	s_waitcnt lgkmcnt(0)
	v_add_f64 v[0:1], v[0:1], v[8:9]
	s_barrier
	ds_write_b64 v10, v[0:1]
	s_and_b64 exec, exec, s[0:1]
	s_cbranch_execz .LBB94_115
; %bb.112:
	v_cmp_neq_f64_e32 vcc, 0, v[6:7]
	v_lshl_add_u64 v[2:3], v[2:3], 3, s[22:23]
	s_and_saveexec_b64 s[0:1], vcc
	s_cbranch_execz .LBB94_114
; %bb.113:
	global_load_dwordx2 v[4:5], v[2:3], off
	s_waitcnt vmcnt(0)
	v_fmac_f64_e32 v[0:1], v[6:7], v[4:5]
.LBB94_114:
	s_or_b64 exec, exec, s[0:1]
	global_store_dwordx2 v[2:3], v[0:1], off
.LBB94_115:
	s_endpgm
	.section	.rodata,"a",@progbits
	.p2align	6, 0x0
	.amdhsa_kernel _ZN9rocsparseL22csrmvn_adaptive_kernelIlifdddEEvbT_PKS1_PjPKT0_NS_24const_host_device_scalarIT4_EES3_S7_PKT1_PKT2_SA_PT3_21rocsparse_index_base_b
		.amdhsa_group_segment_fixed_size 8192
		.amdhsa_private_segment_fixed_size 0
		.amdhsa_kernarg_size 104
		.amdhsa_user_sgpr_count 2
		.amdhsa_user_sgpr_dispatch_ptr 0
		.amdhsa_user_sgpr_queue_ptr 0
		.amdhsa_user_sgpr_kernarg_segment_ptr 1
		.amdhsa_user_sgpr_dispatch_id 0
		.amdhsa_user_sgpr_kernarg_preload_length 0
		.amdhsa_user_sgpr_kernarg_preload_offset 0
		.amdhsa_user_sgpr_private_segment_size 0
		.amdhsa_uses_dynamic_stack 0
		.amdhsa_enable_private_segment 0
		.amdhsa_system_sgpr_workgroup_id_x 1
		.amdhsa_system_sgpr_workgroup_id_y 0
		.amdhsa_system_sgpr_workgroup_id_z 0
		.amdhsa_system_sgpr_workgroup_info 0
		.amdhsa_system_vgpr_workitem_id 0
		.amdhsa_next_free_vgpr 28
		.amdhsa_next_free_sgpr 64
		.amdhsa_accum_offset 28
		.amdhsa_reserve_vcc 1
		.amdhsa_float_round_mode_32 0
		.amdhsa_float_round_mode_16_64 0
		.amdhsa_float_denorm_mode_32 3
		.amdhsa_float_denorm_mode_16_64 3
		.amdhsa_dx10_clamp 1
		.amdhsa_ieee_mode 1
		.amdhsa_fp16_overflow 0
		.amdhsa_tg_split 0
		.amdhsa_exception_fp_ieee_invalid_op 0
		.amdhsa_exception_fp_denorm_src 0
		.amdhsa_exception_fp_ieee_div_zero 0
		.amdhsa_exception_fp_ieee_overflow 0
		.amdhsa_exception_fp_ieee_underflow 0
		.amdhsa_exception_fp_ieee_inexact 0
		.amdhsa_exception_int_div_zero 0
	.end_amdhsa_kernel
	.section	.text._ZN9rocsparseL22csrmvn_adaptive_kernelIlifdddEEvbT_PKS1_PjPKT0_NS_24const_host_device_scalarIT4_EES3_S7_PKT1_PKT2_SA_PT3_21rocsparse_index_base_b,"axG",@progbits,_ZN9rocsparseL22csrmvn_adaptive_kernelIlifdddEEvbT_PKS1_PjPKT0_NS_24const_host_device_scalarIT4_EES3_S7_PKT1_PKT2_SA_PT3_21rocsparse_index_base_b,comdat
.Lfunc_end94:
	.size	_ZN9rocsparseL22csrmvn_adaptive_kernelIlifdddEEvbT_PKS1_PjPKT0_NS_24const_host_device_scalarIT4_EES3_S7_PKT1_PKT2_SA_PT3_21rocsparse_index_base_b, .Lfunc_end94-_ZN9rocsparseL22csrmvn_adaptive_kernelIlifdddEEvbT_PKS1_PjPKT0_NS_24const_host_device_scalarIT4_EES3_S7_PKT1_PKT2_SA_PT3_21rocsparse_index_base_b
                                        ; -- End function
	.set _ZN9rocsparseL22csrmvn_adaptive_kernelIlifdddEEvbT_PKS1_PjPKT0_NS_24const_host_device_scalarIT4_EES3_S7_PKT1_PKT2_SA_PT3_21rocsparse_index_base_b.num_vgpr, 28
	.set _ZN9rocsparseL22csrmvn_adaptive_kernelIlifdddEEvbT_PKS1_PjPKT0_NS_24const_host_device_scalarIT4_EES3_S7_PKT1_PKT2_SA_PT3_21rocsparse_index_base_b.num_agpr, 0
	.set _ZN9rocsparseL22csrmvn_adaptive_kernelIlifdddEEvbT_PKS1_PjPKT0_NS_24const_host_device_scalarIT4_EES3_S7_PKT1_PKT2_SA_PT3_21rocsparse_index_base_b.numbered_sgpr, 64
	.set _ZN9rocsparseL22csrmvn_adaptive_kernelIlifdddEEvbT_PKS1_PjPKT0_NS_24const_host_device_scalarIT4_EES3_S7_PKT1_PKT2_SA_PT3_21rocsparse_index_base_b.num_named_barrier, 0
	.set _ZN9rocsparseL22csrmvn_adaptive_kernelIlifdddEEvbT_PKS1_PjPKT0_NS_24const_host_device_scalarIT4_EES3_S7_PKT1_PKT2_SA_PT3_21rocsparse_index_base_b.private_seg_size, 0
	.set _ZN9rocsparseL22csrmvn_adaptive_kernelIlifdddEEvbT_PKS1_PjPKT0_NS_24const_host_device_scalarIT4_EES3_S7_PKT1_PKT2_SA_PT3_21rocsparse_index_base_b.uses_vcc, 1
	.set _ZN9rocsparseL22csrmvn_adaptive_kernelIlifdddEEvbT_PKS1_PjPKT0_NS_24const_host_device_scalarIT4_EES3_S7_PKT1_PKT2_SA_PT3_21rocsparse_index_base_b.uses_flat_scratch, 0
	.set _ZN9rocsparseL22csrmvn_adaptive_kernelIlifdddEEvbT_PKS1_PjPKT0_NS_24const_host_device_scalarIT4_EES3_S7_PKT1_PKT2_SA_PT3_21rocsparse_index_base_b.has_dyn_sized_stack, 0
	.set _ZN9rocsparseL22csrmvn_adaptive_kernelIlifdddEEvbT_PKS1_PjPKT0_NS_24const_host_device_scalarIT4_EES3_S7_PKT1_PKT2_SA_PT3_21rocsparse_index_base_b.has_recursion, 0
	.set _ZN9rocsparseL22csrmvn_adaptive_kernelIlifdddEEvbT_PKS1_PjPKT0_NS_24const_host_device_scalarIT4_EES3_S7_PKT1_PKT2_SA_PT3_21rocsparse_index_base_b.has_indirect_call, 0
	.section	.AMDGPU.csdata,"",@progbits
; Kernel info:
; codeLenInByte = 3816
; TotalNumSgprs: 70
; NumVgprs: 28
; NumAgprs: 0
; TotalNumVgprs: 28
; ScratchSize: 0
; MemoryBound: 0
; FloatMode: 240
; IeeeMode: 1
; LDSByteSize: 8192 bytes/workgroup (compile time only)
; SGPRBlocks: 8
; VGPRBlocks: 3
; NumSGPRsForWavesPerEU: 70
; NumVGPRsForWavesPerEU: 28
; AccumOffset: 28
; Occupancy: 8
; WaveLimiterHint : 1
; COMPUTE_PGM_RSRC2:SCRATCH_EN: 0
; COMPUTE_PGM_RSRC2:USER_SGPR: 2
; COMPUTE_PGM_RSRC2:TRAP_HANDLER: 0
; COMPUTE_PGM_RSRC2:TGID_X_EN: 1
; COMPUTE_PGM_RSRC2:TGID_Y_EN: 0
; COMPUTE_PGM_RSRC2:TGID_Z_EN: 0
; COMPUTE_PGM_RSRC2:TIDIG_COMP_CNT: 0
; COMPUTE_PGM_RSRC3_GFX90A:ACCUM_OFFSET: 6
; COMPUTE_PGM_RSRC3_GFX90A:TG_SPLIT: 0
	.section	.text._ZN9rocsparseL27csrmvn_symm_adaptive_kernelIlifdddEEvbT_S1_PKS1_NS_24const_host_device_scalarIT4_EES3_PKT0_PKT1_PKT2_S6_PT3_21rocsparse_index_base_b,"axG",@progbits,_ZN9rocsparseL27csrmvn_symm_adaptive_kernelIlifdddEEvbT_S1_PKS1_NS_24const_host_device_scalarIT4_EES3_PKT0_PKT1_PKT2_S6_PT3_21rocsparse_index_base_b,comdat
	.globl	_ZN9rocsparseL27csrmvn_symm_adaptive_kernelIlifdddEEvbT_S1_PKS1_NS_24const_host_device_scalarIT4_EES3_PKT0_PKT1_PKT2_S6_PT3_21rocsparse_index_base_b ; -- Begin function _ZN9rocsparseL27csrmvn_symm_adaptive_kernelIlifdddEEvbT_S1_PKS1_NS_24const_host_device_scalarIT4_EES3_PKT0_PKT1_PKT2_S6_PT3_21rocsparse_index_base_b
	.p2align	8
	.type	_ZN9rocsparseL27csrmvn_symm_adaptive_kernelIlifdddEEvbT_S1_PKS1_NS_24const_host_device_scalarIT4_EES3_PKT0_PKT1_PKT2_S6_PT3_21rocsparse_index_base_b,@function
_ZN9rocsparseL27csrmvn_symm_adaptive_kernelIlifdddEEvbT_S1_PKS1_NS_24const_host_device_scalarIT4_EES3_PKT0_PKT1_PKT2_S6_PT3_21rocsparse_index_base_b: ; @_ZN9rocsparseL27csrmvn_symm_adaptive_kernelIlifdddEEvbT_S1_PKS1_NS_24const_host_device_scalarIT4_EES3_PKT0_PKT1_PKT2_S6_PT3_21rocsparse_index_base_b
; %bb.0:
	s_load_dwordx2 s[28:29], s[0:1], 0x58
	s_load_dwordx2 s[8:9], s[0:1], 0x20
	;; [unrolled: 1-line block ×3, first 2 shown]
	s_waitcnt lgkmcnt(0)
	s_bitcmp1_b32 s29, 0
	s_cselect_b64 s[10:11], -1, 0
	s_xor_b64 s[6:7], s[10:11], -1
	s_and_b64 vcc, exec, s[10:11]
	v_mov_b64_e32 v[6:7], s[8:9]
	s_cbranch_vccnz .LBB95_2
; %bb.1:
	v_mov_b64_e32 v[2:3], s[8:9]
	flat_load_dwordx2 v[6:7], v[2:3]
.LBB95_2:
	s_andn2_b64 vcc, exec, s[6:7]
	v_mov_b64_e32 v[2:3], s[4:5]
	s_cbranch_vccnz .LBB95_4
; %bb.3:
	v_mov_b64_e32 v[2:3], s[4:5]
	flat_load_dwordx2 v[2:3], v[2:3]
.LBB95_4:
	s_waitcnt vmcnt(0) lgkmcnt(0)
	v_cmp_neq_f64_e32 vcc, 0, v[6:7]
	v_cmp_neq_f64_e64 s[4:5], 1.0, v[2:3]
	s_or_b64 s[4:5], vcc, s[4:5]
	s_and_saveexec_b64 s[6:7], s[4:5]
	s_cbranch_execz .LBB95_139
; %bb.5:
	s_load_dwordx2 s[4:5], s[0:1], 0x18
	s_ashr_i32 s3, s2, 31
	s_mov_b32 s6, 0
	s_lshl_b64 s[2:3], s[2:3], 3
	s_mov_b32 s7, s6
	s_waitcnt lgkmcnt(0)
	s_add_u32 s2, s4, s2
	v_lshlrev_b32_e32 v16, 3, v0
	v_mov_b64_e32 v[2:3], s[6:7]
	s_addc_u32 s3, s5, s3
	ds_write2st64_b64 v16, v[2:3], v[2:3] offset1:4
	ds_write2st64_b64 v16, v[2:3], v[2:3] offset0:8 offset1:12
	s_waitcnt lgkmcnt(0)
	s_barrier
	s_load_dwordx4 s[20:23], s[2:3], 0x0
	s_load_dwordx8 s[12:19], s[0:1], 0x28
	s_load_dwordx2 s[24:25], s[0:1], 0x50
	s_mov_b64 s[2:3], -1
	s_waitcnt lgkmcnt(0)
	s_sub_u32 s26, s22, s20
	s_subb_u32 s27, s23, s21
	v_cmp_gt_i64_e64 s[4:5], s[26:27], 2
	s_and_b64 vcc, exec, s[4:5]
	s_cbranch_vccnz .LBB95_38
; %bb.6:
	v_mov_b64_e32 v[2:3], s[20:21]
	v_cmp_le_i64_e32 vcc, s[22:23], v[2:3]
	v_subrev_co_u32_e64 v2, s[2:3], s28, v0
	v_mov_b32_e32 v1, 0
	s_nop 0
	v_subb_co_u32_e64 v3, s[2:3], 0, 0, s[2:3]
	s_cbranch_vccnz .LBB95_28
; %bb.7:
	s_movk_i32 s2, 0x100
	v_cmp_gt_u32_e64 s[2:3], s2, v0
	v_cmp_gt_u32_e64 s[4:5], 64, v0
	;; [unrolled: 1-line block ×4, first 2 shown]
	v_cmp_eq_u32_e64 s[10:11], 0, v0
	s_mov_b64 s[30:31], 0x100
	s_mov_b64 s[34:35], 0x400
	v_mov_b64_e32 v[4:5], s[22:23]
	s_mov_b64 s[36:37], s[20:21]
	s_branch .LBB95_9
.LBB95_8:                               ;   in Loop: Header=BB95_9 Depth=1
	s_or_b64 exec, exec, s[40:41]
	s_add_u32 s36, s36, 1
	s_addc_u32 s37, s37, 0
	v_cmp_ge_i64_e32 vcc, s[36:37], v[4:5]
	s_cbranch_vccnz .LBB95_28
.LBB95_9:                               ; =>This Loop Header: Depth=1
                                        ;     Child Loop BB95_11 Depth 2
                                        ;     Child Loop BB95_25 Depth 2
	s_lshl_b64 s[38:39], s[36:37], 3
	s_add_u32 s40, s12, s38
	s_addc_u32 s41, s13, s39
	s_load_dwordx4 s[44:47], s[40:41], 0x0
	v_mov_b64_e32 v[8:9], 0
	s_waitcnt lgkmcnt(0)
	s_sub_u32 s40, s46, s28
	v_lshl_add_u64 v[10:11], s[44:45], 0, v[2:3]
	s_subb_u32 s41, s47, 0
	v_cmp_gt_i64_e32 vcc, s[40:41], v[10:11]
	s_and_saveexec_b64 s[42:43], vcc
	s_cbranch_execz .LBB95_13
; %bb.10:                               ;   in Loop: Header=BB95_9 Depth=1
	v_lshlrev_b64 v[8:9], 2, v[10:11]
	v_lshl_add_u64 v[12:13], s[14:15], 0, v[8:9]
	v_lshl_add_u64 v[14:15], s[16:17], 0, v[8:9]
	v_mov_b64_e32 v[8:9], 0
	s_mov_b64 s[44:45], 0
.LBB95_11:                              ;   Parent Loop BB95_9 Depth=1
                                        ; =>  This Inner Loop Header: Depth=2
	global_load_dword v17, v[12:13], off
	global_load_dword v20, v[14:15], off
	v_lshl_add_u64 v[10:11], v[10:11], 0, s[30:31]
	v_cmp_le_i64_e32 vcc, s[40:41], v[10:11]
	v_lshl_add_u64 v[12:13], v[12:13], 0, s[34:35]
	v_lshl_add_u64 v[14:15], v[14:15], 0, s[34:35]
	s_or_b64 s[44:45], vcc, s[44:45]
	s_waitcnt vmcnt(1)
	v_subrev_u32_e32 v18, s28, v17
	v_ashrrev_i32_e32 v19, 31, v18
	v_lshl_add_u64 v[18:19], v[18:19], 3, s[18:19]
	global_load_dwordx2 v[18:19], v[18:19], off
	s_waitcnt vmcnt(1)
	v_cvt_f64_f32_e32 v[20:21], v20
	s_waitcnt vmcnt(0)
	v_fmac_f64_e32 v[8:9], v[20:21], v[18:19]
	s_andn2_b64 exec, exec, s[44:45]
	s_cbranch_execnz .LBB95_11
; %bb.12:                               ;   in Loop: Header=BB95_9 Depth=1
	s_or_b64 exec, exec, s[44:45]
.LBB95_13:                              ;   in Loop: Header=BB95_9 Depth=1
	s_or_b64 exec, exec, s[42:43]
	ds_write_b64 v16, v[8:9]
	s_waitcnt lgkmcnt(0)
	s_barrier
	s_and_saveexec_b64 s[40:41], s[2:3]
	s_cbranch_execz .LBB95_15
; %bb.14:                               ;   in Loop: Header=BB95_9 Depth=1
	ds_read2st64_b64 v[8:11], v16 offset1:4
	ds_read2st64_b64 v[12:15], v16 offset0:8 offset1:12
	s_waitcnt lgkmcnt(0)
	v_add_f64 v[10:11], v[10:11], v[12:13]
	v_add_f64 v[10:11], v[10:11], v[14:15]
	v_add_f64 v[8:9], v[8:9], v[10:11]
	ds_write_b64 v16, v[8:9]
.LBB95_15:                              ;   in Loop: Header=BB95_9 Depth=1
	s_or_b64 exec, exec, s[40:41]
	s_waitcnt lgkmcnt(0)
	s_barrier
	s_and_saveexec_b64 s[40:41], s[4:5]
	s_cbranch_execz .LBB95_17
; %bb.16:                               ;   in Loop: Header=BB95_9 Depth=1
	ds_read2st64_b64 v[8:11], v16 offset1:1
	ds_read2st64_b64 v[12:15], v16 offset0:2 offset1:3
	s_waitcnt lgkmcnt(0)
	v_add_f64 v[10:11], v[10:11], v[12:13]
	v_add_f64 v[10:11], v[10:11], v[14:15]
	;; [unrolled: 1-line block ×3, first 2 shown]
	ds_write_b64 v16, v[8:9]
.LBB95_17:                              ;   in Loop: Header=BB95_9 Depth=1
	s_or_b64 exec, exec, s[40:41]
	s_waitcnt lgkmcnt(0)
	s_barrier
	s_and_saveexec_b64 s[40:41], s[6:7]
	s_cbranch_execz .LBB95_19
; %bb.18:                               ;   in Loop: Header=BB95_9 Depth=1
	ds_read2_b64 v[8:11], v16 offset1:16
	ds_read2_b64 v[12:15], v16 offset0:32 offset1:48
	s_waitcnt lgkmcnt(0)
	v_add_f64 v[10:11], v[10:11], v[12:13]
	v_add_f64 v[10:11], v[10:11], v[14:15]
	v_add_f64 v[8:9], v[8:9], v[10:11]
	ds_write_b64 v16, v[8:9]
.LBB95_19:                              ;   in Loop: Header=BB95_9 Depth=1
	s_or_b64 exec, exec, s[40:41]
	s_waitcnt lgkmcnt(0)
	s_barrier
	s_and_saveexec_b64 s[40:41], s[8:9]
	s_cbranch_execz .LBB95_21
; %bb.20:                               ;   in Loop: Header=BB95_9 Depth=1
	ds_read2_b64 v[8:11], v16 offset1:4
	ds_read2_b64 v[12:15], v16 offset0:8 offset1:12
	s_waitcnt lgkmcnt(0)
	v_add_f64 v[10:11], v[10:11], v[12:13]
	v_add_f64 v[10:11], v[10:11], v[14:15]
	;; [unrolled: 1-line block ×3, first 2 shown]
	ds_write_b64 v16, v[8:9]
.LBB95_21:                              ;   in Loop: Header=BB95_9 Depth=1
	s_or_b64 exec, exec, s[40:41]
	s_waitcnt lgkmcnt(0)
	s_barrier
	s_and_saveexec_b64 s[40:41], s[10:11]
	s_cbranch_execz .LBB95_23
; %bb.22:                               ;   in Loop: Header=BB95_9 Depth=1
	ds_read2_b64 v[8:11], v1 offset0:1 offset1:2
	ds_read_b64 v[12:13], v1 offset:24
	ds_read_b64 v[14:15], v16
	s_waitcnt lgkmcnt(2)
	v_add_f64 v[8:9], v[8:9], v[10:11]
	s_waitcnt lgkmcnt(1)
	v_add_f64 v[8:9], v[8:9], v[12:13]
	;; [unrolled: 2-line block ×3, first 2 shown]
	ds_write_b64 v16, v[8:9]
.LBB95_23:                              ;   in Loop: Header=BB95_9 Depth=1
	s_or_b64 exec, exec, s[40:41]
	s_waitcnt lgkmcnt(0)
	s_barrier
	s_and_saveexec_b64 s[40:41], s[10:11]
	s_cbranch_execz .LBB95_8
; %bb.24:                               ;   in Loop: Header=BB95_9 Depth=1
	ds_read_b64 v[8:9], v1
	s_mov_b64 s[42:43], exec
	s_waitcnt lgkmcnt(0)
	v_mul_f64 v[10:11], v[6:7], v[8:9]
	v_mov_b32_e32 v8, 0
	v_bfrev_b32_e32 v9, 1
.LBB95_25:                              ;   Parent Loop BB95_9 Depth=1
                                        ; =>  This Inner Loop Header: Depth=2
	s_ff1_i32_b64 s29, s[42:43]
	s_lshl_b64 s[46:47], 1, s29
	v_readlane_b32 s45, v11, s29
	v_readlane_b32 s44, v10, s29
	s_andn2_b64 s[42:43], s[42:43], s[46:47]
	s_cmp_lg_u64 s[42:43], 0
	v_add_f64 v[8:9], v[8:9], s[44:45]
	s_cbranch_scc1 .LBB95_25
; %bb.26:                               ;   in Loop: Header=BB95_9 Depth=1
	v_mbcnt_lo_u32_b32 v10, exec_lo, 0
	v_mbcnt_hi_u32_b32 v10, exec_hi, v10
	v_cmp_eq_u32_e32 vcc, 0, v10
	s_and_saveexec_b64 s[42:43], vcc
	s_xor_b64 s[42:43], exec, s[42:43]
	s_cbranch_execz .LBB95_8
; %bb.27:                               ;   in Loop: Header=BB95_9 Depth=1
	s_add_u32 s38, s24, s38
	s_addc_u32 s39, s25, s39
	global_atomic_add_f64 v1, v[8:9], s[38:39]
	s_branch .LBB95_8
.LBB95_28:
	s_lshl_b64 s[2:3], s[20:21], 3
	s_add_u32 s2, s12, s2
	s_addc_u32 s3, s13, s3
	s_lshl_b64 s[4:5], s[22:23], 3
	s_add_u32 s4, s12, s4
	s_addc_u32 s5, s13, s5
	s_load_dwordx2 s[6:7], s[4:5], 0x0
	s_load_dwordx2 s[8:9], s[2:3], 0x0
	s_waitcnt lgkmcnt(0)
	s_sub_u32 s6, s6, s28
	s_subb_u32 s7, s7, 0
	v_lshl_add_u64 v[2:3], s[8:9], 0, v[2:3]
	v_cmp_gt_i64_e32 vcc, s[6:7], v[2:3]
	s_and_saveexec_b64 s[8:9], vcc
	s_cbranch_execz .LBB95_37
; %bb.29:
	s_add_u32 s10, s22, -1
	s_addc_u32 s11, s23, -1
	s_add_u32 s2, s22, -2
	s_addc_u32 s3, s23, -1
	v_mov_b64_e32 v[4:5], s[10:11]
	s_cmp_lg_u64 s[20:21], s[2:3]
	v_cmp_lt_i64_e32 vcc, s[20:21], v[4:5]
	s_cselect_b64 s[2:3], -1, 0
	s_and_b64 s[2:3], vcc, s[2:3]
	v_cndmask_b32_e64 v1, 0, 1, s[2:3]
	s_mov_b64 s[30:31], 0
	v_cmp_ne_u32_e64 s[2:3], 1, v1
	v_mov_b32_e32 v5, 0
	s_mov_b64 s[34:35], 0x100
	s_branch .LBB95_31
.LBB95_30:                              ;   in Loop: Header=BB95_31 Depth=1
	s_or_b64 exec, exec, s[4:5]
	v_lshl_add_u64 v[2:3], v[2:3], 0, s[34:35]
	v_cmp_le_i64_e32 vcc, s[6:7], v[2:3]
	s_or_b64 s[30:31], vcc, s[30:31]
	s_andn2_b64 exec, exec, s[30:31]
	s_cbranch_execz .LBB95_37
.LBB95_31:                              ; =>This Loop Header: Depth=1
                                        ;     Child Loop BB95_33 Depth 2
	s_and_b64 vcc, exec, s[2:3]
	v_mov_b64_e32 v[8:9], s[20:21]
	v_mov_b64_e32 v[10:11], s[10:11]
	s_cbranch_vccnz .LBB95_35
; %bb.32:                               ;   in Loop: Header=BB95_31 Depth=1
	s_mov_b64 s[36:37], 0
	v_mov_b64_e32 v[8:9], s[20:21]
	v_mov_b64_e32 v[10:11], s[10:11]
.LBB95_33:                              ;   Parent Loop BB95_31 Depth=1
                                        ; =>  This Inner Loop Header: Depth=2
	v_lshl_add_u64 v[12:13], v[10:11], 0, v[8:9]
	v_lshrrev_b32_e32 v4, 31, v13
	v_lshl_add_u64 v[12:13], v[12:13], 0, v[4:5]
	v_ashrrev_i64 v[12:13], 1, v[12:13]
	v_lshl_add_u64 v[14:15], v[12:13], 3, s[12:13]
	global_load_dwordx2 v[14:15], v[14:15], off
	s_waitcnt vmcnt(0)
	v_subrev_co_u32_e32 v14, vcc, s28, v14
	s_nop 1
	v_subbrev_co_u32_e32 v15, vcc, 0, v15, vcc
	v_cmp_lt_i64_e32 vcc, v[2:3], v[14:15]
	s_nop 1
	v_cndmask_b32_e32 v11, v11, v13, vcc
	v_cndmask_b32_e32 v10, v10, v12, vcc
	;; [unrolled: 1-line block ×4, first 2 shown]
	v_lshl_add_u64 v[12:13], v[10:11], 0, -1
	v_cmp_ge_i64_e32 vcc, v[8:9], v[10:11]
	v_cmp_eq_u64_e64 s[4:5], v[8:9], v[12:13]
	s_or_b64 s[4:5], vcc, s[4:5]
	s_and_b64 s[4:5], exec, s[4:5]
	s_or_b64 s[36:37], s[4:5], s[36:37]
	s_andn2_b64 exec, exec, s[36:37]
	s_cbranch_execnz .LBB95_33
; %bb.34:                               ;   in Loop: Header=BB95_31 Depth=1
	s_or_b64 exec, exec, s[36:37]
.LBB95_35:                              ;   in Loop: Header=BB95_31 Depth=1
	v_lshl_add_u64 v[12:13], v[10:11], 3, s[12:13]
	global_load_dwordx2 v[12:13], v[12:13], off
	v_lshl_add_u64 v[14:15], v[2:3], 2, s[14:15]
	global_load_dword v1, v[14:15], off
	s_waitcnt vmcnt(1)
	v_subrev_co_u32_e32 v14, vcc, s28, v12
	s_nop 1
	v_subbrev_co_u32_e32 v15, vcc, 0, v13, vcc
	s_waitcnt vmcnt(0)
	v_subrev_u32_e32 v12, s28, v1
	v_cmp_lt_i64_e32 vcc, v[2:3], v[14:15]
	v_ashrrev_i32_e32 v13, 31, v12
	s_nop 0
	v_cndmask_b32_e32 v9, v11, v9, vcc
	v_cndmask_b32_e32 v8, v10, v8, vcc
	v_cmp_ne_u64_e32 vcc, v[8:9], v[12:13]
	s_and_saveexec_b64 s[4:5], vcc
	s_cbranch_execz .LBB95_30
; %bb.36:                               ;   in Loop: Header=BB95_31 Depth=1
	v_lshl_add_u64 v[10:11], v[2:3], 2, s[16:17]
	global_load_dword v1, v[10:11], off
	v_lshl_add_u64 v[8:9], v[8:9], 3, s[18:19]
	global_load_dwordx2 v[8:9], v[8:9], off
	v_lshl_add_u64 v[10:11], v[12:13], 3, s[24:25]
	s_waitcnt vmcnt(1)
	v_cvt_f64_f32_e32 v[12:13], v1
	v_mul_f64 v[12:13], v[6:7], v[12:13]
	s_waitcnt vmcnt(0)
	v_mul_f64 v[8:9], v[8:9], v[12:13]
	global_atomic_add_f64 v[10:11], v[8:9], off
	s_branch .LBB95_30
.LBB95_37:
	s_or_b64 exec, exec, s[8:9]
	s_mov_b64 s[2:3], 0
.LBB95_38:
	s_and_b64 vcc, exec, s[2:3]
	s_cbranch_vccz .LBB95_139
; %bb.39:
	s_load_dword s2, s[0:1], 0x6c
	s_mov_b32 s31, 0
	v_mov_b64_e32 v[2:3], s[26:27]
	s_mov_b64 s[34:35], 0
	s_waitcnt lgkmcnt(0)
	s_and_b32 s30, s2, 0xffff
	v_cmp_lt_u64_e32 vcc, s[30:31], v[2:3]
	s_cbranch_vccnz .LBB95_41
; %bb.40:
	v_cvt_f32_u32_e32 v1, s26
	s_sub_i32 s2, 0, s26
	v_rcp_iflag_f32_e32 v1, v1
	s_nop 0
	v_mul_f32_e32 v1, 0x4f7ffffe, v1
	v_cvt_u32_f32_e32 v1, v1
	s_nop 0
	v_readfirstlane_b32 s3, v1
	s_mul_i32 s2, s2, s3
	s_mul_hi_u32 s2, s3, s2
	s_add_i32 s3, s3, s2
	s_mul_hi_u32 s2, s30, s3
	s_mul_i32 s4, s2, s26
	s_sub_i32 s4, s30, s4
	s_add_i32 s3, s2, 1
	s_sub_i32 s5, s4, s26
	s_cmp_ge_u32 s4, s26
	s_cselect_b32 s2, s3, s2
	s_cselect_b32 s4, s5, s4
	s_add_i32 s3, s2, 1
	s_cmp_ge_u32 s4, s26
	s_cselect_b32 s34, s3, s2
.LBB95_41:
	s_load_dwordx4 s[4:7], s[0:1], 0x8
	s_lshl_b64 s[0:1], s[20:21], 3
	s_add_u32 s10, s12, s0
	s_addc_u32 s11, s13, s1
	s_load_dwordx2 s[8:9], s[10:11], 0x0
	v_subrev_co_u32_e32 v2, vcc, s28, v0
	v_mov_b32_e32 v1, 0
	s_nop 0
	v_subb_co_u32_e64 v3, s[0:1], 0, 0, vcc
	s_waitcnt lgkmcnt(0)
	v_lshl_add_u64 v[4:5], s[8:9], 0, v[2:3]
	s_mov_b64 s[0:1], 0x300
	v_lshl_add_u64 v[2:3], v[4:5], 0, s[0:1]
	v_cmp_le_i64_e32 vcc, s[4:5], v[2:3]
	s_and_saveexec_b64 s[0:1], vcc
	s_xor_b64 s[2:3], exec, s[0:1]
	s_cbranch_execnz .LBB95_44
; %bb.42:
	s_andn2_saveexec_b64 s[0:1], s[2:3]
	s_cbranch_execnz .LBB95_48
.LBB95_43:
	s_or_b64 exec, exec, s[0:1]
	v_cmp_gt_i64_e64 s[0:1], s[6:7], v[0:1]
	s_and_saveexec_b64 s[2:3], s[0:1]
	s_cbranch_execnz .LBB95_49
	s_branch .LBB95_51
.LBB95_44:
	s_lshl_b64 s[0:1], s[22:23], 3
	s_add_u32 s0, s12, s0
	s_addc_u32 s1, s13, s1
	s_load_dwordx2 s[0:1], s[0:1], 0x0
	s_waitcnt lgkmcnt(0)
	s_sub_u32 s4, s0, s8
	s_subb_u32 s5, s1, s9
	v_cmp_gt_i64_e64 s[0:1], s[4:5], v[0:1]
	s_and_saveexec_b64 s[36:37], s[0:1]
	s_cbranch_execz .LBB95_47
; %bb.45:
	v_lshl_add_u64 v[8:9], v[4:5], 2, s[16:17]
	s_mov_b64 s[38:39], 0
	s_mov_b64 s[40:41], 0x400
	;; [unrolled: 1-line block ×3, first 2 shown]
	v_mov_b32_e32 v12, v16
	v_mov_b64_e32 v[10:11], v[0:1]
.LBB95_46:                              ; =>This Inner Loop Header: Depth=1
	global_load_dword v13, v[8:9], off
	v_lshl_add_u64 v[10:11], v[10:11], 0, s[42:43]
	v_cmp_le_i64_e64 s[0:1], s[4:5], v[10:11]
	v_lshl_add_u64 v[8:9], v[8:9], 0, s[40:41]
	s_or_b64 s[38:39], s[0:1], s[38:39]
	s_waitcnt vmcnt(0)
	v_cvt_f64_f32_e32 v[14:15], v13
	v_mul_f64 v[14:15], v[6:7], v[14:15]
	ds_write_b64 v12, v[14:15]
	v_add_u32_e32 v12, 0x800, v12
	s_andn2_b64 exec, exec, s[38:39]
	s_cbranch_execnz .LBB95_46
.LBB95_47:
	s_or_b64 exec, exec, s[36:37]
                                        ; implicit-def: $vgpr6_vgpr7
	s_andn2_saveexec_b64 s[0:1], s[2:3]
	s_cbranch_execz .LBB95_43
.LBB95_48:
	v_lshl_add_u64 v[8:9], v[4:5], 2, s[16:17]
	global_load_dword v10, v[8:9], off
	global_load_dword v11, v[8:9], off offset:1024
	global_load_dword v12, v[8:9], off offset:2048
	;; [unrolled: 1-line block ×3, first 2 shown]
	s_waitcnt vmcnt(3)
	v_cvt_f64_f32_e32 v[8:9], v10
	s_waitcnt vmcnt(2)
	v_cvt_f64_f32_e32 v[10:11], v11
	;; [unrolled: 2-line block ×4, first 2 shown]
	v_mul_f64 v[8:9], v[6:7], v[8:9]
	v_mul_f64 v[10:11], v[6:7], v[10:11]
	;; [unrolled: 1-line block ×4, first 2 shown]
	ds_write2st64_b64 v16, v[8:9], v[10:11] offset1:4
	ds_write2st64_b64 v16, v[12:13], v[6:7] offset0:8 offset1:12
	s_or_b64 exec, exec, s[0:1]
	v_cmp_gt_i64_e64 s[0:1], s[6:7], v[0:1]
	s_and_saveexec_b64 s[2:3], s[0:1]
	s_cbranch_execz .LBB95_51
.LBB95_49:
	v_mov_b32_e32 v6, 0x2000
	v_mov_b32_e32 v10, 0
	v_lshl_add_u32 v8, v0, 3, v6
	s_mov_b64 s[4:5], 0
	v_mov_b32_e32 v11, v10
	s_mov_b64 s[16:17], 0x100
	v_mov_b64_e32 v[6:7], v[0:1]
.LBB95_50:                              ; =>This Inner Loop Header: Depth=1
	v_lshl_add_u64 v[6:7], v[6:7], 0, s[16:17]
	v_cmp_le_i64_e64 s[0:1], s[6:7], v[6:7]
	ds_write_b64 v8, v[10:11]
	s_or_b64 s[4:5], s[0:1], s[4:5]
	v_add_u32_e32 v8, 0x800, v8
	s_andn2_b64 exec, exec, s[4:5]
	s_cbranch_execnz .LBB95_50
.LBB95_51:
	s_or_b64 exec, exec, s[2:3]
	s_sub_u32 s2, s22, s6
	v_mov_b64_e32 v[6:7], s[6:7]
	s_subb_u32 s3, s23, s7
	v_cmp_ge_i64_e64 s[0:1], s[22:23], v[6:7]
	s_and_b64 s[0:1], s[0:1], exec
	s_cselect_b32 s5, s3, 0
	s_cselect_b32 s4, s2, 0
	s_waitcnt lgkmcnt(0)
	s_barrier
	s_and_saveexec_b64 s[0:1], vcc
	s_xor_b64 s[16:17], exec, s[0:1]
	s_cbranch_execz .LBB95_68
; %bb.52:
	s_lshl_b64 s[0:1], s[22:23], 3
	s_add_u32 s0, s12, s0
	s_addc_u32 s1, s13, s1
	s_load_dwordx2 s[0:1], s[0:1], 0x0
	s_waitcnt lgkmcnt(0)
	s_sub_u32 s36, s0, s8
	s_subb_u32 s37, s1, s9
	v_cmp_gt_i64_e32 vcc, s[36:37], v[0:1]
	s_and_saveexec_b64 s[38:39], vcc
	s_cbranch_execz .LBB95_67
; %bb.53:
	s_add_u32 s40, s22, -1
	s_addc_u32 s41, s23, -1
	s_add_u32 s2, s22, -2
	s_addc_u32 s3, s23, -1
	s_cmp_lg_u64 s[20:21], s[2:3]
	s_cselect_b64 s[2:3], -1, 0
	s_sub_u32 s42, s0, s28
	v_cndmask_b32_e64 v2, 0, 1, s[2:3]
	s_subb_u32 s43, s1, 0
	s_mov_b64 s[44:45], 0
	v_cmp_ne_u32_e64 s[0:1], 1, v2
	v_mov_b32_e32 v3, 0
	v_mov_b32_e32 v17, 0x2000
	s_mov_b64 s[46:47], 0
	s_branch .LBB95_56
.LBB95_54:                              ;   in Loop: Header=BB95_56 Depth=1
	s_or_b64 exec, exec, s[2:3]
.LBB95_55:                              ;   in Loop: Header=BB95_56 Depth=1
	s_or_b64 exec, exec, s[48:49]
	v_lshl_add_u64 v[8:9], v[8:9], 3, s[18:19]
	global_load_dwordx2 v[8:9], v[8:9], off
	s_add_u32 s46, s46, 0x100
	s_addc_u32 s47, s47, 0
	v_lshlrev_b32_e32 v2, 3, v6
	v_lshl_add_u64 v[6:7], s[46:47], 0, v[0:1]
	v_cmp_le_i64_e32 vcc, s[36:37], v[6:7]
	s_or_b64 s[44:45], vcc, s[44:45]
	s_waitcnt vmcnt(0) lgkmcnt(0)
	v_mul_f64 v[6:7], v[8:9], v[10:11]
	ds_write_b64 v2, v[6:7]
	s_andn2_b64 exec, exec, s[44:45]
	s_cbranch_execz .LBB95_67
.LBB95_56:                              ; =>This Loop Header: Depth=1
                                        ;     Child Loop BB95_58 Depth 2
	v_lshl_add_u64 v[10:11], s[46:47], 0, v[4:5]
	s_and_b64 vcc, exec, s[0:1]
	v_mov_b64_e32 v[12:13], s[20:21]
	v_mov_b64_e32 v[14:15], s[40:41]
	s_cbranch_vccnz .LBB95_60
; %bb.57:                               ;   in Loop: Header=BB95_56 Depth=1
	s_mov_b64 s[48:49], 0
	v_mov_b64_e32 v[12:13], s[20:21]
	v_mov_b64_e32 v[14:15], s[40:41]
.LBB95_58:                              ;   Parent Loop BB95_56 Depth=1
                                        ; =>  This Inner Loop Header: Depth=2
	v_lshl_add_u64 v[6:7], v[14:15], 0, v[12:13]
	v_lshrrev_b32_e32 v2, 31, v7
	v_lshl_add_u64 v[6:7], v[6:7], 0, v[2:3]
	v_ashrrev_i64 v[6:7], 1, v[6:7]
	v_lshl_add_u64 v[8:9], v[6:7], 3, s[12:13]
	global_load_dwordx2 v[8:9], v[8:9], off
	s_waitcnt vmcnt(0)
	v_subrev_co_u32_e32 v8, vcc, s28, v8
	s_nop 1
	v_subbrev_co_u32_e32 v9, vcc, 0, v9, vcc
	v_cmp_lt_i64_e32 vcc, v[10:11], v[8:9]
	s_nop 1
	v_cndmask_b32_e32 v15, v15, v7, vcc
	v_cndmask_b32_e32 v14, v14, v6, vcc
	;; [unrolled: 1-line block ×4, first 2 shown]
	v_lshl_add_u64 v[6:7], v[14:15], 0, -1
	v_cmp_ge_i64_e32 vcc, v[12:13], v[14:15]
	v_cmp_eq_u64_e64 s[2:3], v[12:13], v[6:7]
	s_or_b64 s[2:3], vcc, s[2:3]
	s_and_b64 s[2:3], exec, s[2:3]
	s_or_b64 s[48:49], s[2:3], s[48:49]
	s_andn2_b64 exec, exec, s[48:49]
	s_cbranch_execnz .LBB95_58
; %bb.59:                               ;   in Loop: Header=BB95_56 Depth=1
	s_or_b64 exec, exec, s[48:49]
.LBB95_60:                              ;   in Loop: Header=BB95_56 Depth=1
	v_lshl_add_u64 v[6:7], v[14:15], 3, s[12:13]
	global_load_dwordx2 v[8:9], v[6:7], off
	v_lshl_add_u64 v[6:7], v[10:11], 2, s[14:15]
	global_load_dword v2, v[6:7], off
	v_lshl_add_u64 v[6:7], s[46:47], 0, v[0:1]
	v_cmp_le_i64_e32 vcc, s[42:43], v[10:11]
	s_waitcnt vmcnt(1)
	v_subrev_co_u32_e64 v18, s[2:3], s28, v8
	s_nop 1
	v_subbrev_co_u32_e64 v19, s[2:3], 0, v9, s[2:3]
	s_waitcnt vmcnt(0)
	v_subrev_u32_e32 v8, s28, v2
	v_cmp_lt_i64_e64 s[2:3], v[10:11], v[18:19]
	v_ashrrev_i32_e32 v9, 31, v8
	v_lshlrev_b32_e32 v2, 3, v6
	v_cndmask_b32_e64 v13, v15, v13, s[2:3]
	v_cndmask_b32_e64 v12, v14, v12, s[2:3]
	v_cmp_eq_u64_e64 s[2:3], v[12:13], v[8:9]
	s_or_b64 s[2:3], s[2:3], vcc
                                        ; implicit-def: $vgpr10_vgpr11
	s_and_saveexec_b64 s[48:49], s[2:3]
	s_xor_b64 s[2:3], exec, s[48:49]
; %bb.61:                               ;   in Loop: Header=BB95_56 Depth=1
	ds_read_b64 v[10:11], v2
                                        ; implicit-def: $vgpr2
                                        ; implicit-def: $vgpr12_vgpr13
; %bb.62:                               ;   in Loop: Header=BB95_56 Depth=1
	s_andn2_saveexec_b64 s[48:49], s[2:3]
	s_cbranch_execz .LBB95_55
; %bb.63:                               ;   in Loop: Header=BB95_56 Depth=1
	v_cmp_gt_i64_e32 vcc, s[4:5], v[8:9]
	v_cmp_le_i64_e64 s[2:3], s[22:23], v[8:9]
	s_or_b64 s[2:3], vcc, s[2:3]
	v_lshl_add_u64 v[12:13], v[12:13], 3, s[18:19]
                                        ; implicit-def: $vgpr10_vgpr11
	s_and_saveexec_b64 s[50:51], s[2:3]
	s_xor_b64 s[2:3], exec, s[50:51]
	s_cbranch_execz .LBB95_65
; %bb.64:                               ;   in Loop: Header=BB95_56 Depth=1
	global_load_dwordx2 v[12:13], v[12:13], off
	s_waitcnt lgkmcnt(0)
	ds_read_b64 v[10:11], v2
	v_lshl_add_u64 v[14:15], v[8:9], 3, s[24:25]
                                        ; implicit-def: $vgpr2
	s_waitcnt vmcnt(0) lgkmcnt(0)
	v_mul_f64 v[12:13], v[10:11], v[12:13]
	global_atomic_add_f64 v[14:15], v[12:13], off
                                        ; implicit-def: $vgpr12_vgpr13
.LBB95_65:                              ;   in Loop: Header=BB95_56 Depth=1
	s_andn2_saveexec_b64 s[2:3], s[2:3]
	s_cbranch_execz .LBB95_54
; %bb.66:                               ;   in Loop: Header=BB95_56 Depth=1
	global_load_dwordx2 v[12:13], v[12:13], off
	s_waitcnt lgkmcnt(0)
	ds_read_b64 v[10:11], v2
	v_subrev_u32_e32 v2, s4, v8
	v_lshl_add_u32 v2, v2, 3, v17
	s_waitcnt vmcnt(0) lgkmcnt(0)
	v_mul_f64 v[12:13], v[10:11], v[12:13]
	ds_add_f64 v2, v[12:13]
	s_branch .LBB95_54
.LBB95_67:
	s_or_b64 exec, exec, s[38:39]
                                        ; implicit-def: $vgpr2_vgpr3
                                        ; implicit-def: $vgpr4_vgpr5
.LBB95_68:
	s_andn2_saveexec_b64 s[16:17], s[16:17]
	s_cbranch_execz .LBB95_110
; %bb.69:
	s_add_u32 s36, s22, -1
	s_addc_u32 s37, s23, -1
	s_add_u32 s0, s22, -2
	s_addc_u32 s1, s23, -1
	s_cmp_lg_u64 s[20:21], s[0:1]
	s_cselect_b64 s[2:3], -1, 0
	s_cmp_eq_u64 s[20:21], s[0:1]
	v_mov_b64_e32 v[8:9], s[20:21]
	v_mov_b64_e32 v[10:11], s[36:37]
	s_cbranch_scc1 .LBB95_73
; %bb.70:
	s_mov_b64 s[38:39], 0
	v_mov_b64_e32 v[8:9], s[20:21]
	v_mov_b64_e32 v[10:11], s[36:37]
	v_mov_b32_e32 v7, 0
.LBB95_71:                              ; =>This Inner Loop Header: Depth=1
	v_lshl_add_u64 v[12:13], v[10:11], 0, v[8:9]
	v_lshrrev_b32_e32 v6, 31, v13
	v_lshl_add_u64 v[12:13], v[12:13], 0, v[6:7]
	v_ashrrev_i64 v[12:13], 1, v[12:13]
	v_lshl_add_u64 v[14:15], v[12:13], 3, s[12:13]
	global_load_dwordx2 v[14:15], v[14:15], off
	s_waitcnt vmcnt(0)
	v_subrev_co_u32_e32 v14, vcc, s28, v14
	s_nop 1
	v_subbrev_co_u32_e32 v15, vcc, 0, v15, vcc
	v_cmp_lt_i64_e32 vcc, v[4:5], v[14:15]
	s_nop 1
	v_cndmask_b32_e32 v11, v11, v13, vcc
	v_cndmask_b32_e32 v10, v10, v12, vcc
	;; [unrolled: 1-line block ×4, first 2 shown]
	v_lshl_add_u64 v[12:13], v[10:11], 0, -1
	v_cmp_ge_i64_e32 vcc, v[8:9], v[10:11]
	v_cmp_eq_u64_e64 s[0:1], v[8:9], v[12:13]
	s_or_b64 s[0:1], vcc, s[0:1]
	s_and_b64 s[0:1], exec, s[0:1]
	s_or_b64 s[38:39], s[0:1], s[38:39]
	s_andn2_b64 exec, exec, s[38:39]
	s_cbranch_execnz .LBB95_71
; %bb.72:
	s_or_b64 exec, exec, s[38:39]
.LBB95_73:
	v_lshl_add_u64 v[6:7], v[10:11], 3, s[12:13]
	global_load_dwordx2 v[12:13], v[6:7], off
	v_lshl_add_u64 v[6:7], v[4:5], 2, s[14:15]
	global_load_dword v17, v[6:7], off
	s_lshl_b64 s[0:1], s[22:23], 3
	s_add_u32 s14, s12, s0
	s_addc_u32 s15, s13, s1
	s_waitcnt vmcnt(1)
	v_subrev_co_u32_e32 v14, vcc, s28, v12
	s_nop 1
	v_subbrev_co_u32_e32 v15, vcc, 0, v13, vcc
	s_waitcnt vmcnt(0)
	v_subrev_u32_e32 v12, s28, v17
	v_cmp_lt_i64_e32 vcc, v[4:5], v[14:15]
	v_ashrrev_i32_e32 v13, 31, v12
	s_nop 0
	v_cndmask_b32_e32 v9, v11, v9, vcc
	v_cndmask_b32_e32 v8, v10, v8, vcc
	v_cmp_ne_u64_e32 vcc, v[8:9], v[12:13]
	s_and_saveexec_b64 s[38:39], vcc
	s_cbranch_execz .LBB95_79
; %bb.74:
	s_load_dwordx2 s[0:1], s[14:15], 0x0
	s_waitcnt lgkmcnt(0)
	s_sub_u32 s0, s0, s28
	s_subb_u32 s1, s1, 0
	v_cmp_gt_i64_e32 vcc, s[0:1], v[4:5]
	s_and_b64 exec, exec, vcc
	s_cbranch_execz .LBB95_79
; %bb.75:
	v_cmp_gt_i64_e32 vcc, s[4:5], v[12:13]
	v_cmp_le_i64_e64 s[0:1], s[22:23], v[12:13]
	s_or_b64 s[0:1], vcc, s[0:1]
	v_lshl_add_u64 v[8:9], v[8:9], 3, s[18:19]
	s_and_saveexec_b64 s[40:41], s[0:1]
	s_xor_b64 s[0:1], exec, s[40:41]
	s_cbranch_execz .LBB95_77
; %bb.76:
	global_load_dwordx2 v[8:9], v[8:9], off
	ds_read_b64 v[10:11], v16
	v_lshl_add_u64 v[14:15], v[12:13], 3, s[24:25]
	s_waitcnt vmcnt(0) lgkmcnt(0)
	v_mul_f64 v[8:9], v[10:11], v[8:9]
	global_atomic_add_f64 v[14:15], v[8:9], off
                                        ; implicit-def: $vgpr8_vgpr9
.LBB95_77:
	s_andn2_saveexec_b64 s[0:1], s[0:1]
	s_cbranch_execz .LBB95_79
; %bb.78:
	global_load_dwordx2 v[8:9], v[8:9], off
	ds_read_b64 v[10:11], v16
	v_subrev_u32_e32 v14, s4, v12
	v_mov_b32_e32 v15, 0x2000
	v_lshl_add_u32 v14, v14, 3, v15
	s_waitcnt vmcnt(0) lgkmcnt(0)
	v_mul_f64 v[8:9], v[10:11], v[8:9]
	ds_add_f64 v14, v[8:9]
.LBB95_79:
	s_or_b64 exec, exec, s[38:39]
	v_lshl_add_u64 v[8:9], v[12:13], 3, s[18:19]
	global_load_dwordx2 v[12:13], v[8:9], off
	ds_read_b64 v[14:15], v16
	s_mov_b64 s[0:1], 0x100
	v_cndmask_b32_e64 v17, 0, 1, s[2:3]
	v_mov_b64_e32 v[10:11], s[20:21]
	v_lshl_add_u64 v[8:9], v[4:5], 0, s[0:1]
	v_cmp_ne_u32_e64 s[0:1], 1, v17
	s_andn2_b64 vcc, exec, s[2:3]
	s_waitcnt vmcnt(0) lgkmcnt(0)
	v_mul_f64 v[12:13], v[12:13], v[14:15]
	ds_write_b64 v16, v[12:13]
	v_mov_b64_e32 v[12:13], s[36:37]
	s_cbranch_vccnz .LBB95_83
; %bb.80:
	s_mov_b64 s[38:39], 0
	v_mov_b64_e32 v[10:11], s[20:21]
	v_mov_b64_e32 v[12:13], s[36:37]
	v_mov_b32_e32 v15, 0
.LBB95_81:                              ; =>This Inner Loop Header: Depth=1
	v_lshl_add_u64 v[18:19], v[12:13], 0, v[10:11]
	v_lshrrev_b32_e32 v14, 31, v19
	v_lshl_add_u64 v[18:19], v[18:19], 0, v[14:15]
	v_ashrrev_i64 v[18:19], 1, v[18:19]
	v_lshl_add_u64 v[20:21], v[18:19], 3, s[12:13]
	global_load_dwordx2 v[20:21], v[20:21], off
	s_waitcnt vmcnt(0)
	v_subrev_co_u32_e32 v20, vcc, s28, v20
	s_nop 1
	v_subbrev_co_u32_e32 v21, vcc, 0, v21, vcc
	v_cmp_lt_i64_e32 vcc, v[8:9], v[20:21]
	s_nop 1
	v_cndmask_b32_e32 v13, v13, v19, vcc
	v_cndmask_b32_e32 v12, v12, v18, vcc
	;; [unrolled: 1-line block ×4, first 2 shown]
	v_lshl_add_u64 v[18:19], v[12:13], 0, -1
	v_cmp_ge_i64_e32 vcc, v[10:11], v[12:13]
	v_cmp_eq_u64_e64 s[2:3], v[10:11], v[18:19]
	s_or_b64 s[2:3], vcc, s[2:3]
	s_and_b64 s[2:3], exec, s[2:3]
	s_or_b64 s[38:39], s[2:3], s[38:39]
	s_andn2_b64 exec, exec, s[38:39]
	s_cbranch_execnz .LBB95_81
; %bb.82:
	s_or_b64 exec, exec, s[38:39]
.LBB95_83:
	v_lshl_add_u64 v[14:15], v[12:13], 3, s[12:13]
	global_load_dwordx2 v[18:19], v[14:15], off
	global_load_dword v17, v[6:7], off offset:1024
	s_waitcnt vmcnt(1)
	v_subrev_co_u32_e32 v18, vcc, s28, v18
	s_nop 1
	v_subbrev_co_u32_e32 v19, vcc, 0, v19, vcc
	s_waitcnt vmcnt(0)
	v_subrev_u32_e32 v14, s28, v17
	v_cmp_lt_i64_e32 vcc, v[8:9], v[18:19]
	v_ashrrev_i32_e32 v15, 31, v14
	s_nop 0
	v_cndmask_b32_e32 v11, v13, v11, vcc
	v_cndmask_b32_e32 v10, v12, v10, vcc
	v_cmp_ne_u64_e32 vcc, v[10:11], v[14:15]
	s_and_saveexec_b64 s[38:39], vcc
	s_cbranch_execz .LBB95_89
; %bb.84:
	s_load_dwordx2 s[2:3], s[14:15], 0x0
	s_waitcnt lgkmcnt(0)
	s_sub_u32 s2, s2, s28
	s_subb_u32 s3, s3, 0
	v_cmp_gt_i64_e32 vcc, s[2:3], v[8:9]
	s_and_b64 exec, exec, vcc
	s_cbranch_execz .LBB95_89
; %bb.85:
	v_cmp_gt_i64_e32 vcc, s[4:5], v[14:15]
	v_cmp_le_i64_e64 s[2:3], s[22:23], v[14:15]
	s_or_b64 s[2:3], vcc, s[2:3]
	v_lshl_add_u64 v[8:9], v[10:11], 3, s[18:19]
	s_and_saveexec_b64 s[40:41], s[2:3]
	s_xor_b64 s[2:3], exec, s[40:41]
	s_cbranch_execz .LBB95_87
; %bb.86:
	global_load_dwordx2 v[8:9], v[8:9], off
	ds_read_b64 v[10:11], v16 offset:2048
	v_lshl_add_u64 v[12:13], v[14:15], 3, s[24:25]
	s_waitcnt vmcnt(0) lgkmcnt(0)
	v_mul_f64 v[8:9], v[10:11], v[8:9]
	global_atomic_add_f64 v[12:13], v[8:9], off
                                        ; implicit-def: $vgpr8_vgpr9
.LBB95_87:
	s_andn2_saveexec_b64 s[2:3], s[2:3]
	s_cbranch_execz .LBB95_89
; %bb.88:
	global_load_dwordx2 v[8:9], v[8:9], off
	ds_read_b64 v[10:11], v16 offset:2048
	v_subrev_u32_e32 v12, s4, v14
	v_mov_b32_e32 v13, 0x2000
	v_lshl_add_u32 v12, v12, 3, v13
	s_waitcnt vmcnt(0) lgkmcnt(0)
	v_mul_f64 v[8:9], v[10:11], v[8:9]
	ds_add_f64 v12, v[8:9]
.LBB95_89:
	s_or_b64 exec, exec, s[38:39]
	v_lshl_add_u64 v[8:9], v[14:15], 3, s[18:19]
	global_load_dwordx2 v[10:11], v[8:9], off
	ds_read_b64 v[12:13], v16 offset:2048
	s_mov_b64 s[2:3], 0x200
	s_and_b64 vcc, exec, s[0:1]
	v_mov_b64_e32 v[8:9], s[20:21]
	v_lshl_add_u64 v[4:5], v[4:5], 0, s[2:3]
	s_waitcnt vmcnt(0) lgkmcnt(0)
	v_mul_f64 v[10:11], v[10:11], v[12:13]
	ds_write_b64 v16, v[10:11] offset:2048
	v_mov_b64_e32 v[10:11], s[36:37]
	s_cbranch_vccnz .LBB95_93
; %bb.90:
	s_mov_b64 s[38:39], 0
	v_mov_b64_e32 v[8:9], s[20:21]
	v_mov_b64_e32 v[10:11], s[36:37]
	v_mov_b32_e32 v13, 0
.LBB95_91:                              ; =>This Inner Loop Header: Depth=1
	v_lshl_add_u64 v[14:15], v[10:11], 0, v[8:9]
	v_lshrrev_b32_e32 v12, 31, v15
	v_lshl_add_u64 v[14:15], v[14:15], 0, v[12:13]
	v_ashrrev_i64 v[14:15], 1, v[14:15]
	v_lshl_add_u64 v[18:19], v[14:15], 3, s[12:13]
	global_load_dwordx2 v[18:19], v[18:19], off
	s_waitcnt vmcnt(0)
	v_subrev_co_u32_e32 v18, vcc, s28, v18
	s_nop 1
	v_subbrev_co_u32_e32 v19, vcc, 0, v19, vcc
	v_cmp_lt_i64_e32 vcc, v[4:5], v[18:19]
	s_nop 1
	v_cndmask_b32_e32 v11, v11, v15, vcc
	v_cndmask_b32_e32 v10, v10, v14, vcc
	;; [unrolled: 1-line block ×4, first 2 shown]
	v_lshl_add_u64 v[14:15], v[10:11], 0, -1
	v_cmp_ge_i64_e32 vcc, v[8:9], v[10:11]
	v_cmp_eq_u64_e64 s[2:3], v[8:9], v[14:15]
	s_or_b64 s[2:3], vcc, s[2:3]
	s_and_b64 s[2:3], exec, s[2:3]
	s_or_b64 s[38:39], s[2:3], s[38:39]
	s_andn2_b64 exec, exec, s[38:39]
	s_cbranch_execnz .LBB95_91
; %bb.92:
	s_or_b64 exec, exec, s[38:39]
.LBB95_93:
	v_lshl_add_u64 v[12:13], v[10:11], 3, s[12:13]
	global_load_dwordx2 v[14:15], v[12:13], off
	global_load_dword v17, v[6:7], off offset:2048
	s_waitcnt vmcnt(1)
	v_subrev_co_u32_e32 v14, vcc, s28, v14
	s_nop 1
	v_subbrev_co_u32_e32 v15, vcc, 0, v15, vcc
	s_waitcnt vmcnt(0)
	v_subrev_u32_e32 v12, s28, v17
	v_cmp_lt_i64_e32 vcc, v[4:5], v[14:15]
	v_ashrrev_i32_e32 v13, 31, v12
	s_nop 0
	v_cndmask_b32_e32 v9, v11, v9, vcc
	v_cndmask_b32_e32 v8, v10, v8, vcc
	v_cmp_ne_u64_e32 vcc, v[8:9], v[12:13]
	s_and_saveexec_b64 s[38:39], vcc
	s_cbranch_execz .LBB95_99
; %bb.94:
	s_load_dwordx2 s[2:3], s[14:15], 0x0
	s_waitcnt lgkmcnt(0)
	s_sub_u32 s2, s2, s28
	s_subb_u32 s3, s3, 0
	v_cmp_gt_i64_e32 vcc, s[2:3], v[4:5]
	s_and_b64 exec, exec, vcc
	s_cbranch_execz .LBB95_99
; %bb.95:
	v_cmp_gt_i64_e32 vcc, s[4:5], v[12:13]
	v_cmp_le_i64_e64 s[2:3], s[22:23], v[12:13]
	s_or_b64 s[2:3], vcc, s[2:3]
	v_lshl_add_u64 v[4:5], v[8:9], 3, s[18:19]
	s_and_saveexec_b64 s[40:41], s[2:3]
	s_xor_b64 s[2:3], exec, s[40:41]
	s_cbranch_execz .LBB95_97
; %bb.96:
	global_load_dwordx2 v[4:5], v[4:5], off
	ds_read_b64 v[8:9], v16 offset:4096
	v_lshl_add_u64 v[10:11], v[12:13], 3, s[24:25]
	s_waitcnt vmcnt(0) lgkmcnt(0)
	v_mul_f64 v[4:5], v[8:9], v[4:5]
	global_atomic_add_f64 v[10:11], v[4:5], off
                                        ; implicit-def: $vgpr4_vgpr5
.LBB95_97:
	s_andn2_saveexec_b64 s[2:3], s[2:3]
	s_cbranch_execz .LBB95_99
; %bb.98:
	global_load_dwordx2 v[4:5], v[4:5], off
	ds_read_b64 v[8:9], v16 offset:4096
	v_subrev_u32_e32 v10, s4, v12
	v_mov_b32_e32 v11, 0x2000
	v_lshl_add_u32 v10, v10, 3, v11
	s_waitcnt vmcnt(0) lgkmcnt(0)
	v_mul_f64 v[4:5], v[8:9], v[4:5]
	ds_add_f64 v10, v[4:5]
.LBB95_99:
	s_or_b64 exec, exec, s[38:39]
	v_lshl_add_u64 v[4:5], v[12:13], 3, s[18:19]
	global_load_dwordx2 v[8:9], v[4:5], off
	ds_read_b64 v[10:11], v16 offset:4096
	s_and_b64 vcc, exec, s[0:1]
	v_mov_b64_e32 v[4:5], s[20:21]
	s_waitcnt vmcnt(0) lgkmcnt(0)
	v_mul_f64 v[8:9], v[8:9], v[10:11]
	ds_write_b64 v16, v[8:9] offset:4096
	v_mov_b64_e32 v[8:9], s[36:37]
	s_cbranch_vccnz .LBB95_103
; %bb.100:
	s_mov_b64 s[2:3], 0
	v_mov_b64_e32 v[4:5], s[20:21]
	v_mov_b64_e32 v[8:9], s[36:37]
	v_mov_b32_e32 v11, 0
.LBB95_101:                             ; =>This Inner Loop Header: Depth=1
	v_lshl_add_u64 v[12:13], v[8:9], 0, v[4:5]
	v_lshrrev_b32_e32 v10, 31, v13
	v_lshl_add_u64 v[12:13], v[12:13], 0, v[10:11]
	v_ashrrev_i64 v[12:13], 1, v[12:13]
	v_lshl_add_u64 v[14:15], v[12:13], 3, s[12:13]
	global_load_dwordx2 v[14:15], v[14:15], off
	s_waitcnt vmcnt(0)
	v_subrev_co_u32_e32 v14, vcc, s28, v14
	s_nop 1
	v_subbrev_co_u32_e32 v15, vcc, 0, v15, vcc
	v_cmp_lt_i64_e32 vcc, v[2:3], v[14:15]
	s_nop 1
	v_cndmask_b32_e32 v9, v9, v13, vcc
	v_cndmask_b32_e32 v8, v8, v12, vcc
	;; [unrolled: 1-line block ×4, first 2 shown]
	v_lshl_add_u64 v[12:13], v[8:9], 0, -1
	v_cmp_ge_i64_e32 vcc, v[4:5], v[8:9]
	v_cmp_eq_u64_e64 s[0:1], v[4:5], v[12:13]
	s_or_b64 s[0:1], vcc, s[0:1]
	s_and_b64 s[0:1], exec, s[0:1]
	s_or_b64 s[2:3], s[0:1], s[2:3]
	s_andn2_b64 exec, exec, s[2:3]
	s_cbranch_execnz .LBB95_101
; %bb.102:
	s_or_b64 exec, exec, s[2:3]
.LBB95_103:
	global_load_dword v12, v[6:7], off offset:3072
	v_lshl_add_u64 v[6:7], v[8:9], 3, s[12:13]
	global_load_dwordx2 v[10:11], v[6:7], off
	s_waitcnt vmcnt(1)
	v_subrev_u32_e32 v6, s28, v12
	v_ashrrev_i32_e32 v7, 31, v6
	s_waitcnt vmcnt(0)
	v_subrev_co_u32_e32 v10, vcc, s28, v10
	s_nop 1
	v_subbrev_co_u32_e32 v11, vcc, 0, v11, vcc
	v_cmp_lt_i64_e32 vcc, v[2:3], v[10:11]
	s_nop 1
	v_cndmask_b32_e32 v5, v9, v5, vcc
	v_cndmask_b32_e32 v4, v8, v4, vcc
	v_cmp_ne_u64_e32 vcc, v[4:5], v[6:7]
	s_and_saveexec_b64 s[2:3], vcc
	s_cbranch_execz .LBB95_109
; %bb.104:
	s_load_dwordx2 s[0:1], s[14:15], 0x0
	s_waitcnt lgkmcnt(0)
	s_sub_u32 s0, s0, s28
	s_subb_u32 s1, s1, 0
	v_cmp_gt_i64_e32 vcc, s[0:1], v[2:3]
	s_and_b64 exec, exec, vcc
	s_cbranch_execz .LBB95_109
; %bb.105:
	v_cmp_gt_i64_e32 vcc, s[4:5], v[6:7]
	v_cmp_le_i64_e64 s[0:1], s[22:23], v[6:7]
	s_or_b64 s[0:1], vcc, s[0:1]
	v_lshl_add_u64 v[2:3], v[4:5], 3, s[18:19]
	s_and_saveexec_b64 s[14:15], s[0:1]
	s_xor_b64 s[0:1], exec, s[14:15]
	s_cbranch_execz .LBB95_107
; %bb.106:
	global_load_dwordx2 v[2:3], v[2:3], off
	ds_read_b64 v[4:5], v16 offset:6144
	v_lshl_add_u64 v[8:9], v[6:7], 3, s[24:25]
	s_waitcnt vmcnt(0) lgkmcnt(0)
	v_mul_f64 v[2:3], v[4:5], v[2:3]
	global_atomic_add_f64 v[8:9], v[2:3], off
                                        ; implicit-def: $vgpr2_vgpr3
.LBB95_107:
	s_andn2_saveexec_b64 s[0:1], s[0:1]
	s_cbranch_execz .LBB95_109
; %bb.108:
	global_load_dwordx2 v[2:3], v[2:3], off
	ds_read_b64 v[4:5], v16 offset:6144
	v_subrev_u32_e32 v8, s4, v6
	v_mov_b32_e32 v9, 0x2000
	v_lshl_add_u32 v8, v8, 3, v9
	s_waitcnt vmcnt(0) lgkmcnt(0)
	v_mul_f64 v[2:3], v[4:5], v[2:3]
	ds_add_f64 v8, v[2:3]
.LBB95_109:
	s_or_b64 exec, exec, s[2:3]
	v_lshl_add_u64 v[2:3], v[6:7], 3, s[18:19]
	global_load_dwordx2 v[2:3], v[2:3], off
	ds_read_b64 v[4:5], v16 offset:6144
	s_waitcnt vmcnt(0) lgkmcnt(0)
	v_mul_f64 v[2:3], v[2:3], v[4:5]
	ds_write_b64 v16, v[2:3] offset:6144
.LBB95_110:
	s_or_b64 exec, exec, s[16:17]
	v_mov_b64_e32 v[2:3], s[6:7]
	v_cmp_lt_i64_e32 vcc, s[22:23], v[2:3]
	s_and_b64 s[0:1], vcc, exec
	s_cselect_b32 s16, s22, s6
	s_cselect_b32 s0, s23, s7
	s_sub_u32 s2, s16, s26
	s_subb_u32 s3, s0, s27
	v_cmp_gt_i64_e32 vcc, s[2:3], v[0:1]
	s_waitcnt lgkmcnt(0)
	s_barrier
	s_and_saveexec_b64 s[0:1], vcc
	s_cbranch_execz .LBB95_113
; %bb.111:
	v_mov_b64_e32 v[2:3], s[6:7]
	v_cmp_gt_i64_e32 vcc, s[22:23], v[2:3]
	s_and_b64 s[4:5], vcc, exec
	s_cselect_b32 s5, s23, s7
	s_cselect_b32 s4, s22, s6
	v_lshlrev_b32_e32 v2, 3, v0
	v_mov_b32_e32 v3, 0
	v_lshl_add_u64 v[2:3], s[4:5], 3, v[2:3]
	s_lshl_b64 s[4:5], s[6:7], 3
	v_mov_b32_e32 v4, s5
	v_subrev_co_u32_e32 v2, vcc, s4, v2
	s_mov_b64 s[4:5], 0
	s_nop 0
	v_subb_co_u32_e32 v3, vcc, v3, v4, vcc
	v_mov_b32_e32 v4, 0x2000
	v_lshl_add_u64 v[2:3], s[24:25], 0, v[2:3]
	v_lshl_add_u32 v6, v0, 3, v4
	s_mov_b64 s[6:7], 0x100
	s_mov_b64 s[14:15], 0x800
	v_mov_b64_e32 v[4:5], v[0:1]
.LBB95_112:                             ; =>This Inner Loop Header: Depth=1
	ds_read_b64 v[8:9], v6
	v_lshl_add_u64 v[4:5], v[4:5], 0, s[6:7]
	v_cmp_le_i64_e32 vcc, s[2:3], v[4:5]
	v_add_u32_e32 v6, 0x800, v6
	s_or_b64 s[4:5], vcc, s[4:5]
	s_waitcnt lgkmcnt(0)
	global_atomic_add_f64 v[2:3], v[8:9], off
	v_lshl_add_u64 v[2:3], v[2:3], 0, s[14:15]
	s_andn2_b64 exec, exec, s[4:5]
	s_cbranch_execnz .LBB95_112
.LBB95_113:
	s_or_b64 exec, exec, s[0:1]
	s_add_i32 s0, s34, -1
	s_ashr_i32 s1, s0, 1
	s_or_b32 s0, s1, s0
	s_ashr_i32 s1, s0, 2
	s_or_b32 s0, s1, s0
	;; [unrolled: 2-line block ×5, first 2 shown]
	s_add_i32 s0, s0, 1
	s_ashr_i32 s3, s0, 1
	v_lshl_add_u64 v[6:7], s[20:21], 0, v[0:1]
	s_cmp_gt_i32 s3, 1
	s_mov_b64 s[0:1], -1
	s_barrier
	s_cbranch_scc1 .LBB95_122
; %bb.114:
	v_cmp_gt_i64_e32 vcc, s[22:23], v[6:7]
	s_and_saveexec_b64 s[0:1], vcc
	s_cbranch_execz .LBB95_121
; %bb.115:
	s_sub_i32 s4, s16, s22
	s_lshl_b32 s4, s4, 3
	s_add_i32 s16, s4, 0x2000
	s_lshl_b32 s4, s8, 3
	s_sub_i32 s17, 0, s4
	s_mov_b64 s[4:5], 0
	v_mov_b64_e32 v[8:9], v[6:7]
	s_branch .LBB95_117
.LBB95_116:                             ;   in Loop: Header=BB95_117 Depth=1
	s_or_b64 exec, exec, s[6:7]
	v_lshl_add_u32 v2, v8, 3, s16
	ds_read_b64 v[2:3], v2
	v_lshl_add_u64 v[4:5], v[8:9], 3, s[24:25]
	v_lshl_add_u64 v[8:9], v[8:9], 0, s[30:31]
	v_cmp_le_i64_e32 vcc, s[22:23], v[8:9]
	s_or_b64 s[4:5], vcc, s[4:5]
	s_waitcnt lgkmcnt(0)
	v_add_f64 v[2:3], v[10:11], v[2:3]
	global_atomic_add_f64 v[4:5], v[2:3], off
	s_andn2_b64 exec, exec, s[4:5]
	s_cbranch_execz .LBB95_121
.LBB95_117:                             ; =>This Loop Header: Depth=1
                                        ;     Child Loop BB95_119 Depth 2
	v_lshl_add_u64 v[2:3], v[8:9], 3, s[12:13]
	global_load_dwordx4 v[2:5], v[2:3], off
	v_mov_b64_e32 v[10:11], 0
	s_waitcnt vmcnt(0)
	v_cmp_lt_i64_e32 vcc, v[2:3], v[4:5]
	s_and_saveexec_b64 s[6:7], vcc
	s_cbranch_execz .LBB95_116
; %bb.118:                              ;   in Loop: Header=BB95_117 Depth=1
	v_mov_b32_e32 v10, s9
	v_subrev_co_u32_e32 v4, vcc, s8, v4
	s_mov_b64 s[14:15], 0
	s_nop 0
	v_subb_co_u32_e32 v5, vcc, v5, v10, vcc
	v_subrev_co_u32_e32 v12, vcc, s8, v2
	v_lshl_add_u32 v2, v2, 3, s17
	s_nop 0
	v_subb_co_u32_e32 v13, vcc, v3, v10, vcc
	v_mov_b64_e32 v[10:11], 0
.LBB95_119:                             ;   Parent Loop BB95_117 Depth=1
                                        ; =>  This Inner Loop Header: Depth=2
	ds_read_b64 v[14:15], v2
	v_lshl_add_u64 v[12:13], v[12:13], 0, 1
	v_cmp_ge_i64_e32 vcc, v[12:13], v[4:5]
	v_add_u32_e32 v2, 8, v2
	s_or_b64 s[14:15], vcc, s[14:15]
	s_waitcnt lgkmcnt(0)
	v_add_f64 v[10:11], v[10:11], v[14:15]
	s_andn2_b64 exec, exec, s[14:15]
	s_cbranch_execnz .LBB95_119
; %bb.120:                              ;   in Loop: Header=BB95_117 Depth=1
	s_or_b64 exec, exec, s[14:15]
	s_branch .LBB95_116
.LBB95_121:
	s_or_b64 exec, exec, s[0:1]
	s_mov_b64 s[0:1], 0
.LBB95_122:
	s_andn2_b64 vcc, exec, s[0:1]
	s_cbranch_vccnz .LBB95_139
; %bb.123:
	v_cvt_f32_u32_e32 v2, s3
	s_sub_i32 s12, 0, s3
	v_mov_b32_e32 v5, 0
	v_mov_b32_e32 v12, s9
	v_rcp_iflag_f32_e32 v2, v2
	s_nop 0
	v_mul_f32_e32 v2, 0x4f7ffffe, v2
	v_cvt_u32_f32_e32 v2, v2
	v_mul_lo_u32 v3, s12, v2
	v_mul_hi_u32 v3, v2, v3
	v_add_u32_e32 v2, v2, v3
	v_mul_hi_u32 v2, v0, v2
	v_mul_lo_u32 v3, v2, s3
	v_sub_u32_e32 v3, v0, v3
	v_add_u32_e32 v4, 1, v2
	v_cmp_le_u32_e32 vcc, s3, v3
	s_nop 1
	v_cndmask_b32_e32 v2, v2, v4, vcc
	v_subrev_u32_e32 v4, s3, v3
	v_cndmask_b32_e32 v3, v3, v4, vcc
	v_add_u32_e32 v4, 1, v2
	v_cmp_le_u32_e32 vcc, s3, v3
	s_nop 1
	v_cndmask_b32_e32 v4, v2, v4, vcc
	v_lshl_add_u64 v[2:3], v[4:5], 3, s[10:11]
	global_load_dwordx4 v[8:11], v[2:3], off
	v_mov_b32_e32 v3, s9
	s_waitcnt vmcnt(0)
	v_subrev_co_u32_e32 v2, vcc, s8, v8
	s_nop 1
	v_subb_co_u32_e32 v3, vcc, v9, v3, vcc
	v_subrev_co_u32_e32 v14, vcc, s8, v10
	v_mov_b32_e32 v10, v5
	s_nop 0
	v_subb_co_u32_e32 v15, vcc, v11, v12, vcc
	v_sub_co_u32_e32 v8, vcc, v14, v2
	s_nop 1
	v_subb_co_u32_e32 v9, vcc, v15, v3, vcc
	v_mov_b32_e32 v11, v9
	v_cmp_ne_u64_e32 vcc, 0, v[10:11]
                                        ; implicit-def: $vgpr10_vgpr11
	s_and_saveexec_b64 s[0:1], vcc
	s_xor_b64 s[4:5], exec, s[0:1]
	s_cbranch_execz .LBB95_125
; %bb.124:
	s_add_u32 s0, s3, 0
	s_addc_u32 s1, 0, 0
	s_xor_b64 s[6:7], s[0:1], 0
	v_cvt_f32_u32_e32 v10, s6
	v_cvt_f32_u32_e32 v11, s7
	s_sub_u32 s8, 0, s6
	s_subb_u32 s9, 0, s7
	v_ashrrev_i32_e32 v12, 31, v9
	v_fmamk_f32 v10, v11, 0x4f800000, v10
	v_rcp_f32_e32 v10, v10
	v_mov_b32_e32 v13, v12
	v_lshl_add_u64 v[8:9], v[8:9], 0, v[12:13]
	v_xor_b32_e32 v17, v8, v12
	v_mul_f32_e32 v10, 0x5f7ffffc, v10
	v_mul_f32_e32 v11, 0x2f800000, v10
	v_trunc_f32_e32 v11, v11
	v_fmamk_f32 v10, v11, 0xcf800000, v10
	v_cvt_u32_f32_e32 v11, v11
	v_cvt_u32_f32_e32 v10, v10
	v_xor_b32_e32 v13, v9, v12
	v_readfirstlane_b32 s10, v11
	v_readfirstlane_b32 s0, v10
	s_mul_i32 s1, s8, s10
	s_mul_hi_u32 s13, s8, s0
	s_mul_i32 s11, s9, s0
	s_add_i32 s1, s13, s1
	s_mul_i32 s14, s8, s0
	s_add_i32 s1, s1, s11
	s_mul_i32 s13, s0, s1
	s_mul_hi_u32 s15, s0, s14
	s_mul_hi_u32 s11, s0, s1
	s_add_u32 s13, s15, s13
	s_addc_u32 s11, 0, s11
	s_mul_hi_u32 s16, s10, s14
	s_mul_i32 s14, s10, s14
	s_add_u32 s13, s13, s14
	s_mul_hi_u32 s15, s10, s1
	s_addc_u32 s11, s11, s16
	s_addc_u32 s13, s15, 0
	s_mul_i32 s1, s10, s1
	s_add_u32 s1, s11, s1
	s_addc_u32 s11, 0, s13
	s_add_u32 s13, s0, s1
	s_cselect_b64 s[0:1], -1, 0
	s_cmp_lg_u64 s[0:1], 0
	s_addc_u32 s10, s10, s11
	s_mul_i32 s0, s8, s10
	s_mul_hi_u32 s1, s8, s13
	s_add_i32 s0, s1, s0
	s_mul_i32 s9, s9, s13
	s_add_i32 s0, s0, s9
	s_mul_i32 s8, s8, s13
	s_mul_hi_u32 s9, s10, s8
	s_mul_i32 s11, s10, s8
	s_mul_i32 s15, s13, s0
	s_mul_hi_u32 s8, s13, s8
	s_mul_hi_u32 s14, s13, s0
	s_add_u32 s8, s8, s15
	s_addc_u32 s14, 0, s14
	s_add_u32 s8, s8, s11
	s_mul_hi_u32 s1, s10, s0
	s_addc_u32 s8, s14, s9
	s_addc_u32 s1, s1, 0
	s_mul_i32 s0, s10, s0
	s_add_u32 s0, s8, s0
	s_addc_u32 s8, 0, s1
	s_add_u32 s9, s13, s0
	s_cselect_b64 s[0:1], -1, 0
	s_cmp_lg_u64 s[0:1], 0
	s_addc_u32 s8, s10, s8
	v_mad_u64_u32 v[8:9], s[0:1], v17, s8, 0
	v_mul_hi_u32 v10, v17, s9
	v_mov_b32_e32 v11, v5
	v_lshl_add_u64 v[8:9], v[10:11], 0, v[8:9]
	v_mad_u64_u32 v[18:19], s[0:1], v13, s9, 0
	v_add_co_u32_e32 v8, vcc, v8, v18
	v_mad_u64_u32 v[10:11], s[0:1], v13, s8, 0
	s_nop 0
	v_addc_co_u32_e32 v8, vcc, v9, v19, vcc
	v_mov_b32_e32 v9, v5
	s_nop 0
	v_addc_co_u32_e32 v11, vcc, 0, v11, vcc
	v_lshl_add_u64 v[8:9], v[8:9], 0, v[10:11]
	v_mul_lo_u32 v18, s7, v8
	v_mul_lo_u32 v19, s6, v9
	v_mad_u64_u32 v[10:11], s[0:1], s6, v8, 0
	v_add3_u32 v20, v11, v19, v18
	v_sub_u32_e32 v11, v13, v20
	v_mov_b32_e32 v18, s7
	v_sub_co_u32_e32 v17, vcc, v17, v10
	s_nop 1
	v_subb_co_u32_e64 v10, s[0:1], v11, v18, vcc
	v_subrev_co_u32_e64 v11, s[0:1], s6, v17
	v_subb_co_u32_e32 v13, vcc, v13, v20, vcc
	s_nop 0
	v_subbrev_co_u32_e64 v10, s[0:1], 0, v10, s[0:1]
	v_cmp_le_u32_e64 s[0:1], s7, v10
	v_cmp_le_u32_e32 vcc, s7, v13
	s_nop 0
	v_cndmask_b32_e64 v18, 0, -1, s[0:1]
	v_cmp_le_u32_e64 s[0:1], s6, v11
	s_nop 1
	v_cndmask_b32_e64 v11, 0, -1, s[0:1]
	v_cmp_eq_u32_e64 s[0:1], s7, v10
	s_nop 1
	v_cndmask_b32_e64 v21, v18, v11, s[0:1]
	v_lshl_add_u64 v[10:11], v[8:9], 0, 2
	v_lshl_add_u64 v[18:19], v[8:9], 0, 1
	v_cmp_ne_u32_e64 s[0:1], 0, v21
	s_nop 1
	v_cndmask_b32_e64 v11, v19, v11, s[0:1]
	v_cndmask_b32_e64 v19, 0, -1, vcc
	v_cmp_le_u32_e32 vcc, s6, v17
	v_cndmask_b32_e64 v10, v18, v10, s[0:1]
	s_nop 0
	v_cndmask_b32_e64 v17, 0, -1, vcc
	v_cmp_eq_u32_e32 vcc, s7, v13
	s_nop 1
	v_cndmask_b32_e32 v13, v19, v17, vcc
	v_cmp_ne_u32_e32 vcc, 0, v13
	s_nop 1
	v_cndmask_b32_e32 v8, v8, v10, vcc
	v_cndmask_b32_e32 v9, v9, v11, vcc
	v_xor_b32_e32 v8, v8, v12
	v_xor_b32_e32 v9, v9, v12
	v_sub_co_u32_e32 v10, vcc, v8, v12
                                        ; implicit-def: $vgpr8
	s_nop 1
	v_subb_co_u32_e32 v11, vcc, v9, v12, vcc
.LBB95_125:
	s_andn2_saveexec_b64 s[0:1], s[4:5]
	s_cbranch_execz .LBB95_127
; %bb.126:
	v_cvt_f32_u32_e32 v9, s3
	v_rcp_iflag_f32_e32 v9, v9
	s_nop 0
	v_mul_f32_e32 v9, 0x4f7ffffe, v9
	v_cvt_u32_f32_e32 v9, v9
	v_mul_lo_u32 v10, s12, v9
	v_mul_hi_u32 v10, v9, v10
	v_add_u32_e32 v9, v9, v10
	v_mul_hi_u32 v9, v8, v9
	v_mul_lo_u32 v10, v9, s3
	v_sub_u32_e32 v8, v8, v10
	v_add_u32_e32 v11, 1, v9
	v_subrev_u32_e32 v10, s3, v8
	v_cmp_le_u32_e32 vcc, s3, v8
	s_nop 1
	v_cndmask_b32_e32 v8, v8, v10, vcc
	v_cndmask_b32_e32 v9, v9, v11, vcc
	v_add_u32_e32 v10, 1, v9
	v_cmp_le_u32_e32 vcc, s3, v8
	v_mov_b32_e32 v11, 0
	s_nop 0
	v_cndmask_b32_e32 v10, v9, v10, vcc
.LBB95_127:
	s_or_b64 exec, exec, s[0:1]
	v_cmp_gt_i64_e32 vcc, s[26:27], v[4:5]
	v_mov_b64_e32 v[4:5], 0
	s_and_saveexec_b64 s[0:1], vcc
	s_cbranch_execz .LBB95_135
; %bb.128:
	s_add_i32 s4, s3, -1
	v_and_b32_e32 v8, s4, v0
	s_mov_b64 s[4:5], 0
	v_cmp_lt_i64_e32 vcc, 0, v[10:11]
	v_mov_b64_e32 v[4:5], 0
	v_lshlrev_b32_e32 v17, 3, v8
	s_and_saveexec_b64 s[6:7], vcc
	s_cbranch_execz .LBB95_132
; %bb.129:
	v_lshl_add_u32 v9, v2, 3, v17
	s_lshl_b32 s8, s3, 3
	v_mov_b64_e32 v[4:5], 0
	v_mov_b64_e32 v[12:13], v[10:11]
.LBB95_130:                             ; =>This Inner Loop Header: Depth=1
	ds_read_b64 v[18:19], v9
	v_lshl_add_u64 v[12:13], v[12:13], 0, -1
	v_cmp_eq_u64_e32 vcc, 0, v[12:13]
	v_add_u32_e32 v9, s8, v9
	s_or_b64 s[4:5], vcc, s[4:5]
	s_waitcnt lgkmcnt(0)
	v_add_f64 v[4:5], v[4:5], v[18:19]
	s_andn2_b64 exec, exec, s[4:5]
	s_cbranch_execnz .LBB95_130
; %bb.131:
	s_or_b64 exec, exec, s[4:5]
.LBB95_132:
	s_or_b64 exec, exec, s[6:7]
	v_mad_u64_u32 v[2:3], s[4:5], v10, s3, v[2:3]
	v_mov_b32_e32 v10, v3
	v_mad_u64_u32 v[10:11], s[4:5], v11, s3, v[10:11]
	v_sub_co_u32_e32 v12, vcc, v14, v2
	v_mov_b32_e32 v9, 0
	s_nop 0
	v_subb_co_u32_e32 v13, vcc, v15, v10, vcc
	v_cmp_gt_i64_e32 vcc, v[12:13], v[8:9]
	s_and_saveexec_b64 s[4:5], vcc
	s_cbranch_execz .LBB95_134
; %bb.133:
	v_lshl_add_u32 v2, v2, 3, v17
	ds_read_b64 v[2:3], v2
	s_waitcnt lgkmcnt(0)
	v_add_f64 v[4:5], v[4:5], v[2:3]
.LBB95_134:
	s_or_b64 exec, exec, s[4:5]
.LBB95_135:
	s_or_b64 exec, exec, s[0:1]
	v_cmp_gt_i64_e32 vcc, s[26:27], v[0:1]
	s_barrier
	ds_write_b64 v16, v[4:5]
	s_waitcnt lgkmcnt(0)
	s_barrier
	s_and_b64 exec, exec, vcc
	s_cbranch_execz .LBB95_139
; %bb.136:
	v_mul_lo_u32 v1, s3, v0
	v_lshlrev_b32_e32 v1, 3, v1
	v_mov_b64_e32 v[2:3], 0
.LBB95_137:                             ; =>This Inner Loop Header: Depth=1
	ds_read_b64 v[4:5], v1
	s_add_i32 s3, s3, -1
	v_add_u32_e32 v1, 8, v1
	s_cmp_eq_u32 s3, 0
	s_waitcnt lgkmcnt(0)
	v_add_f64 v[2:3], v[2:3], v[4:5]
	s_cbranch_scc0 .LBB95_137
; %bb.138:
	s_lshl_b32 s0, s2, 3
	s_addk_i32 s0, 0x2000
	v_lshl_add_u32 v0, v0, 3, s0
	ds_read_b64 v[0:1], v0
	s_waitcnt lgkmcnt(0)
	v_add_f64 v[0:1], v[2:3], v[0:1]
	v_lshl_add_u64 v[2:3], v[6:7], 3, s[24:25]
	global_atomic_add_f64 v[2:3], v[0:1], off
.LBB95_139:
	s_endpgm
	.section	.rodata,"a",@progbits
	.p2align	6, 0x0
	.amdhsa_kernel _ZN9rocsparseL27csrmvn_symm_adaptive_kernelIlifdddEEvbT_S1_PKS1_NS_24const_host_device_scalarIT4_EES3_PKT0_PKT1_PKT2_S6_PT3_21rocsparse_index_base_b
		.amdhsa_group_segment_fixed_size 8192
		.amdhsa_private_segment_fixed_size 0
		.amdhsa_kernarg_size 352
		.amdhsa_user_sgpr_count 2
		.amdhsa_user_sgpr_dispatch_ptr 0
		.amdhsa_user_sgpr_queue_ptr 0
		.amdhsa_user_sgpr_kernarg_segment_ptr 1
		.amdhsa_user_sgpr_dispatch_id 0
		.amdhsa_user_sgpr_kernarg_preload_length 0
		.amdhsa_user_sgpr_kernarg_preload_offset 0
		.amdhsa_user_sgpr_private_segment_size 0
		.amdhsa_uses_dynamic_stack 0
		.amdhsa_enable_private_segment 0
		.amdhsa_system_sgpr_workgroup_id_x 1
		.amdhsa_system_sgpr_workgroup_id_y 0
		.amdhsa_system_sgpr_workgroup_id_z 0
		.amdhsa_system_sgpr_workgroup_info 0
		.amdhsa_system_vgpr_workitem_id 0
		.amdhsa_next_free_vgpr 22
		.amdhsa_next_free_sgpr 52
		.amdhsa_accum_offset 24
		.amdhsa_reserve_vcc 1
		.amdhsa_float_round_mode_32 0
		.amdhsa_float_round_mode_16_64 0
		.amdhsa_float_denorm_mode_32 3
		.amdhsa_float_denorm_mode_16_64 3
		.amdhsa_dx10_clamp 1
		.amdhsa_ieee_mode 1
		.amdhsa_fp16_overflow 0
		.amdhsa_tg_split 0
		.amdhsa_exception_fp_ieee_invalid_op 0
		.amdhsa_exception_fp_denorm_src 0
		.amdhsa_exception_fp_ieee_div_zero 0
		.amdhsa_exception_fp_ieee_overflow 0
		.amdhsa_exception_fp_ieee_underflow 0
		.amdhsa_exception_fp_ieee_inexact 0
		.amdhsa_exception_int_div_zero 0
	.end_amdhsa_kernel
	.section	.text._ZN9rocsparseL27csrmvn_symm_adaptive_kernelIlifdddEEvbT_S1_PKS1_NS_24const_host_device_scalarIT4_EES3_PKT0_PKT1_PKT2_S6_PT3_21rocsparse_index_base_b,"axG",@progbits,_ZN9rocsparseL27csrmvn_symm_adaptive_kernelIlifdddEEvbT_S1_PKS1_NS_24const_host_device_scalarIT4_EES3_PKT0_PKT1_PKT2_S6_PT3_21rocsparse_index_base_b,comdat
.Lfunc_end95:
	.size	_ZN9rocsparseL27csrmvn_symm_adaptive_kernelIlifdddEEvbT_S1_PKS1_NS_24const_host_device_scalarIT4_EES3_PKT0_PKT1_PKT2_S6_PT3_21rocsparse_index_base_b, .Lfunc_end95-_ZN9rocsparseL27csrmvn_symm_adaptive_kernelIlifdddEEvbT_S1_PKS1_NS_24const_host_device_scalarIT4_EES3_PKT0_PKT1_PKT2_S6_PT3_21rocsparse_index_base_b
                                        ; -- End function
	.set _ZN9rocsparseL27csrmvn_symm_adaptive_kernelIlifdddEEvbT_S1_PKS1_NS_24const_host_device_scalarIT4_EES3_PKT0_PKT1_PKT2_S6_PT3_21rocsparse_index_base_b.num_vgpr, 22
	.set _ZN9rocsparseL27csrmvn_symm_adaptive_kernelIlifdddEEvbT_S1_PKS1_NS_24const_host_device_scalarIT4_EES3_PKT0_PKT1_PKT2_S6_PT3_21rocsparse_index_base_b.num_agpr, 0
	.set _ZN9rocsparseL27csrmvn_symm_adaptive_kernelIlifdddEEvbT_S1_PKS1_NS_24const_host_device_scalarIT4_EES3_PKT0_PKT1_PKT2_S6_PT3_21rocsparse_index_base_b.numbered_sgpr, 52
	.set _ZN9rocsparseL27csrmvn_symm_adaptive_kernelIlifdddEEvbT_S1_PKS1_NS_24const_host_device_scalarIT4_EES3_PKT0_PKT1_PKT2_S6_PT3_21rocsparse_index_base_b.num_named_barrier, 0
	.set _ZN9rocsparseL27csrmvn_symm_adaptive_kernelIlifdddEEvbT_S1_PKS1_NS_24const_host_device_scalarIT4_EES3_PKT0_PKT1_PKT2_S6_PT3_21rocsparse_index_base_b.private_seg_size, 0
	.set _ZN9rocsparseL27csrmvn_symm_adaptive_kernelIlifdddEEvbT_S1_PKS1_NS_24const_host_device_scalarIT4_EES3_PKT0_PKT1_PKT2_S6_PT3_21rocsparse_index_base_b.uses_vcc, 1
	.set _ZN9rocsparseL27csrmvn_symm_adaptive_kernelIlifdddEEvbT_S1_PKS1_NS_24const_host_device_scalarIT4_EES3_PKT0_PKT1_PKT2_S6_PT3_21rocsparse_index_base_b.uses_flat_scratch, 0
	.set _ZN9rocsparseL27csrmvn_symm_adaptive_kernelIlifdddEEvbT_S1_PKS1_NS_24const_host_device_scalarIT4_EES3_PKT0_PKT1_PKT2_S6_PT3_21rocsparse_index_base_b.has_dyn_sized_stack, 0
	.set _ZN9rocsparseL27csrmvn_symm_adaptive_kernelIlifdddEEvbT_S1_PKS1_NS_24const_host_device_scalarIT4_EES3_PKT0_PKT1_PKT2_S6_PT3_21rocsparse_index_base_b.has_recursion, 0
	.set _ZN9rocsparseL27csrmvn_symm_adaptive_kernelIlifdddEEvbT_S1_PKS1_NS_24const_host_device_scalarIT4_EES3_PKT0_PKT1_PKT2_S6_PT3_21rocsparse_index_base_b.has_indirect_call, 0
	.section	.AMDGPU.csdata,"",@progbits
; Kernel info:
; codeLenInByte = 6800
; TotalNumSgprs: 58
; NumVgprs: 22
; NumAgprs: 0
; TotalNumVgprs: 22
; ScratchSize: 0
; MemoryBound: 0
; FloatMode: 240
; IeeeMode: 1
; LDSByteSize: 8192 bytes/workgroup (compile time only)
; SGPRBlocks: 7
; VGPRBlocks: 2
; NumSGPRsForWavesPerEU: 58
; NumVGPRsForWavesPerEU: 22
; AccumOffset: 24
; Occupancy: 8
; WaveLimiterHint : 1
; COMPUTE_PGM_RSRC2:SCRATCH_EN: 0
; COMPUTE_PGM_RSRC2:USER_SGPR: 2
; COMPUTE_PGM_RSRC2:TRAP_HANDLER: 0
; COMPUTE_PGM_RSRC2:TGID_X_EN: 1
; COMPUTE_PGM_RSRC2:TGID_Y_EN: 0
; COMPUTE_PGM_RSRC2:TGID_Z_EN: 0
; COMPUTE_PGM_RSRC2:TIDIG_COMP_CNT: 0
; COMPUTE_PGM_RSRC3_GFX90A:ACCUM_OFFSET: 5
; COMPUTE_PGM_RSRC3_GFX90A:TG_SPLIT: 0
	.section	.text._ZL33csrmvn_symm_large_adaptive_kernelIlifdddEvbT_PKS0_N9rocsparse24const_host_device_scalarIT4_EES2_PKT0_PKT1_PKT2_S6_PT3_21rocsparse_index_base_b,"axG",@progbits,_ZL33csrmvn_symm_large_adaptive_kernelIlifdddEvbT_PKS0_N9rocsparse24const_host_device_scalarIT4_EES2_PKT0_PKT1_PKT2_S6_PT3_21rocsparse_index_base_b,comdat
	.globl	_ZL33csrmvn_symm_large_adaptive_kernelIlifdddEvbT_PKS0_N9rocsparse24const_host_device_scalarIT4_EES2_PKT0_PKT1_PKT2_S6_PT3_21rocsparse_index_base_b ; -- Begin function _ZL33csrmvn_symm_large_adaptive_kernelIlifdddEvbT_PKS0_N9rocsparse24const_host_device_scalarIT4_EES2_PKT0_PKT1_PKT2_S6_PT3_21rocsparse_index_base_b
	.p2align	8
	.type	_ZL33csrmvn_symm_large_adaptive_kernelIlifdddEvbT_PKS0_N9rocsparse24const_host_device_scalarIT4_EES2_PKT0_PKT1_PKT2_S6_PT3_21rocsparse_index_base_b,@function
_ZL33csrmvn_symm_large_adaptive_kernelIlifdddEvbT_PKS0_N9rocsparse24const_host_device_scalarIT4_EES2_PKT0_PKT1_PKT2_S6_PT3_21rocsparse_index_base_b: ; @_ZL33csrmvn_symm_large_adaptive_kernelIlifdddEvbT_PKS0_N9rocsparse24const_host_device_scalarIT4_EES2_PKT0_PKT1_PKT2_S6_PT3_21rocsparse_index_base_b
; %bb.0:
	s_load_dwordx2 s[20:21], s[0:1], 0x50
	s_load_dwordx2 s[8:9], s[0:1], 0x18
	;; [unrolled: 1-line block ×3, first 2 shown]
	s_waitcnt lgkmcnt(0)
	s_bitcmp1_b32 s21, 0
	s_cselect_b64 s[10:11], -1, 0
	s_xor_b64 s[6:7], s[10:11], -1
	s_and_b64 vcc, exec, s[10:11]
	v_mov_b64_e32 v[2:3], s[8:9]
	s_cbranch_vccnz .LBB96_2
; %bb.1:
	v_mov_b64_e32 v[2:3], s[8:9]
	flat_load_dwordx2 v[2:3], v[2:3]
.LBB96_2:
	s_andn2_b64 vcc, exec, s[6:7]
	v_mov_b64_e32 v[4:5], s[4:5]
	s_cbranch_vccnz .LBB96_4
; %bb.3:
	v_mov_b64_e32 v[4:5], s[4:5]
	flat_load_dwordx2 v[4:5], v[4:5]
.LBB96_4:
	s_waitcnt vmcnt(0) lgkmcnt(0)
	v_cmp_neq_f64_e32 vcc, 0, v[2:3]
	v_cmp_neq_f64_e64 s[4:5], 1.0, v[4:5]
	s_or_b64 s[4:5], vcc, s[4:5]
	s_and_saveexec_b64 s[6:7], s[4:5]
	s_cbranch_execz .LBB96_34
; %bb.5:
	s_load_dwordx2 s[4:5], s[0:1], 0x10
	s_ashr_i32 s3, s2, 31
	s_mov_b32 s6, 0
	s_lshl_b64 s[2:3], s[2:3], 3
	s_mov_b32 s7, s6
	s_waitcnt lgkmcnt(0)
	s_add_u32 s2, s4, s2
	v_lshlrev_b32_e32 v14, 3, v0
	v_mov_b64_e32 v[4:5], s[6:7]
	s_addc_u32 s3, s5, s3
	ds_write2st64_b64 v14, v[4:5], v[4:5] offset1:4
	ds_write2st64_b64 v14, v[4:5], v[4:5] offset0:8 offset1:12
	s_waitcnt lgkmcnt(0)
	s_barrier
	s_load_dwordx4 s[16:19], s[2:3], 0x0
	s_load_dwordx8 s[8:15], s[0:1], 0x20
	s_load_dwordx2 s[22:23], s[0:1], 0x48
	v_mov_b32_e32 v15, 0
	s_waitcnt lgkmcnt(0)
	v_mov_b64_e32 v[4:5], s[18:19]
	v_cmp_ge_i64_e32 vcc, s[16:17], v[4:5]
	v_subrev_co_u32_e64 v4, s[0:1], s20, v0
	s_nop 1
	v_subb_co_u32_e64 v5, s[0:1], 0, 0, s[0:1]
	s_cbranch_vccnz .LBB96_25
; %bb.6:
	v_cmp_gt_u32_e64 s[0:1], 64, v0
	v_cmp_gt_u32_e64 s[2:3], 16, v0
	;; [unrolled: 1-line block ×3, first 2 shown]
	v_cmp_eq_u32_e64 s[6:7], 0, v0
	s_mov_b64 s[24:25], 0x100
	s_mov_b64 s[26:27], 0x400
	v_mov_b64_e32 v[0:1], s[18:19]
	s_mov_b64 s[28:29], s[16:17]
	s_branch .LBB96_8
.LBB96_7:                               ;   in Loop: Header=BB96_8 Depth=1
	s_or_b64 exec, exec, s[34:35]
	s_add_u32 s28, s28, 1
	s_addc_u32 s29, s29, 0
	v_cmp_ge_i64_e32 vcc, s[28:29], v[0:1]
	s_cbranch_vccnz .LBB96_25
.LBB96_8:                               ; =>This Loop Header: Depth=1
                                        ;     Child Loop BB96_10 Depth 2
                                        ;     Child Loop BB96_22 Depth 2
	s_lshl_b64 s[30:31], s[28:29], 3
	s_add_u32 s34, s8, s30
	s_addc_u32 s35, s9, s31
	s_load_dwordx4 s[36:39], s[34:35], 0x0
	v_mov_b64_e32 v[6:7], 0
	s_waitcnt lgkmcnt(0)
	s_sub_u32 s34, s38, s20
	v_lshl_add_u64 v[8:9], s[36:37], 0, v[4:5]
	s_subb_u32 s35, s39, 0
	v_cmp_gt_i64_e32 vcc, s[34:35], v[8:9]
	s_and_saveexec_b64 s[36:37], vcc
	s_cbranch_execz .LBB96_12
; %bb.9:                                ;   in Loop: Header=BB96_8 Depth=1
	v_lshlrev_b64 v[6:7], 2, v[8:9]
	v_lshl_add_u64 v[10:11], s[10:11], 0, v[6:7]
	v_lshl_add_u64 v[12:13], s[12:13], 0, v[6:7]
	v_mov_b64_e32 v[6:7], 0
	s_mov_b64 s[38:39], 0
.LBB96_10:                              ;   Parent Loop BB96_8 Depth=1
                                        ; =>  This Inner Loop Header: Depth=2
	global_load_dword v16, v[10:11], off
	global_load_dword v18, v[12:13], off
	v_lshl_add_u64 v[8:9], v[8:9], 0, s[24:25]
	v_cmp_le_i64_e32 vcc, s[34:35], v[8:9]
	v_lshl_add_u64 v[10:11], v[10:11], 0, s[26:27]
	v_lshl_add_u64 v[12:13], v[12:13], 0, s[26:27]
	s_or_b64 s[38:39], vcc, s[38:39]
	s_waitcnt vmcnt(1)
	v_subrev_u32_e32 v16, s20, v16
	v_ashrrev_i32_e32 v17, 31, v16
	v_lshl_add_u64 v[16:17], v[16:17], 3, s[14:15]
	global_load_dwordx2 v[16:17], v[16:17], off
	s_waitcnt vmcnt(1)
	v_cvt_f64_f32_e32 v[18:19], v18
	s_waitcnt vmcnt(0)
	v_fmac_f64_e32 v[6:7], v[18:19], v[16:17]
	s_andn2_b64 exec, exec, s[38:39]
	s_cbranch_execnz .LBB96_10
; %bb.11:                               ;   in Loop: Header=BB96_8 Depth=1
	s_or_b64 exec, exec, s[38:39]
.LBB96_12:                              ;   in Loop: Header=BB96_8 Depth=1
	s_or_b64 exec, exec, s[36:37]
	ds_write_b64 v14, v[6:7]
	s_waitcnt lgkmcnt(0)
	s_barrier
	ds_read2st64_b64 v[6:9], v14 offset1:4
	ds_read2st64_b64 v[10:13], v14 offset0:8 offset1:12
	s_waitcnt lgkmcnt(0)
	v_add_f64 v[8:9], v[8:9], v[10:11]
	v_add_f64 v[8:9], v[8:9], v[12:13]
	;; [unrolled: 1-line block ×3, first 2 shown]
	ds_write_b64 v14, v[6:7]
	s_waitcnt lgkmcnt(0)
	s_barrier
	s_and_saveexec_b64 s[34:35], s[0:1]
	s_cbranch_execz .LBB96_14
; %bb.13:                               ;   in Loop: Header=BB96_8 Depth=1
	ds_read2st64_b64 v[6:9], v14 offset1:1
	ds_read2st64_b64 v[10:13], v14 offset0:2 offset1:3
	s_waitcnt lgkmcnt(0)
	v_add_f64 v[8:9], v[8:9], v[10:11]
	v_add_f64 v[8:9], v[8:9], v[12:13]
	;; [unrolled: 1-line block ×3, first 2 shown]
	ds_write_b64 v14, v[6:7]
.LBB96_14:                              ;   in Loop: Header=BB96_8 Depth=1
	s_or_b64 exec, exec, s[34:35]
	s_waitcnt lgkmcnt(0)
	s_barrier
	s_and_saveexec_b64 s[34:35], s[2:3]
	s_cbranch_execz .LBB96_16
; %bb.15:                               ;   in Loop: Header=BB96_8 Depth=1
	ds_read2_b64 v[6:9], v14 offset1:16
	ds_read2_b64 v[10:13], v14 offset0:32 offset1:48
	s_waitcnt lgkmcnt(0)
	v_add_f64 v[8:9], v[8:9], v[10:11]
	v_add_f64 v[8:9], v[8:9], v[12:13]
	;; [unrolled: 1-line block ×3, first 2 shown]
	ds_write_b64 v14, v[6:7]
.LBB96_16:                              ;   in Loop: Header=BB96_8 Depth=1
	s_or_b64 exec, exec, s[34:35]
	s_waitcnt lgkmcnt(0)
	s_barrier
	s_and_saveexec_b64 s[34:35], s[4:5]
	s_cbranch_execz .LBB96_18
; %bb.17:                               ;   in Loop: Header=BB96_8 Depth=1
	ds_read2_b64 v[6:9], v14 offset1:4
	ds_read2_b64 v[10:13], v14 offset0:8 offset1:12
	s_waitcnt lgkmcnt(0)
	v_add_f64 v[8:9], v[8:9], v[10:11]
	v_add_f64 v[8:9], v[8:9], v[12:13]
	;; [unrolled: 1-line block ×3, first 2 shown]
	ds_write_b64 v14, v[6:7]
.LBB96_18:                              ;   in Loop: Header=BB96_8 Depth=1
	s_or_b64 exec, exec, s[34:35]
	s_waitcnt lgkmcnt(0)
	s_barrier
	s_and_saveexec_b64 s[34:35], s[6:7]
	s_cbranch_execz .LBB96_20
; %bb.19:                               ;   in Loop: Header=BB96_8 Depth=1
	ds_read2_b64 v[6:9], v15 offset0:1 offset1:2
	ds_read_b64 v[10:11], v15 offset:24
	ds_read_b64 v[12:13], v14
	s_waitcnt lgkmcnt(2)
	v_add_f64 v[6:7], v[6:7], v[8:9]
	s_waitcnt lgkmcnt(1)
	v_add_f64 v[6:7], v[6:7], v[10:11]
	;; [unrolled: 2-line block ×3, first 2 shown]
	ds_write_b64 v14, v[6:7]
.LBB96_20:                              ;   in Loop: Header=BB96_8 Depth=1
	s_or_b64 exec, exec, s[34:35]
	s_waitcnt lgkmcnt(0)
	s_barrier
	s_and_saveexec_b64 s[34:35], s[6:7]
	s_cbranch_execz .LBB96_7
; %bb.21:                               ;   in Loop: Header=BB96_8 Depth=1
	ds_read_b64 v[6:7], v15
	s_mov_b64 s[36:37], exec
	s_waitcnt lgkmcnt(0)
	v_mul_f64 v[8:9], v[2:3], v[6:7]
	v_mov_b32_e32 v6, 0
	v_bfrev_b32_e32 v7, 1
.LBB96_22:                              ;   Parent Loop BB96_8 Depth=1
                                        ; =>  This Inner Loop Header: Depth=2
	s_ff1_i32_b64 s21, s[36:37]
	s_lshl_b64 s[40:41], 1, s21
	v_readlane_b32 s39, v9, s21
	v_readlane_b32 s38, v8, s21
	s_andn2_b64 s[36:37], s[36:37], s[40:41]
	s_cmp_lg_u64 s[36:37], 0
	v_add_f64 v[6:7], v[6:7], s[38:39]
	s_cbranch_scc1 .LBB96_22
; %bb.23:                               ;   in Loop: Header=BB96_8 Depth=1
	v_mbcnt_lo_u32_b32 v8, exec_lo, 0
	v_mbcnt_hi_u32_b32 v8, exec_hi, v8
	v_cmp_eq_u32_e32 vcc, 0, v8
	s_and_saveexec_b64 s[36:37], vcc
	s_xor_b64 s[36:37], exec, s[36:37]
	s_cbranch_execz .LBB96_7
; %bb.24:                               ;   in Loop: Header=BB96_8 Depth=1
	s_add_u32 s30, s22, s30
	s_addc_u32 s31, s23, s31
	global_atomic_add_f64 v15, v[6:7], s[30:31]
	s_branch .LBB96_7
.LBB96_25:
	s_lshl_b64 s[0:1], s[16:17], 3
	s_add_u32 s0, s8, s0
	s_addc_u32 s1, s9, s1
	s_lshl_b64 s[2:3], s[18:19], 3
	s_add_u32 s2, s8, s2
	s_addc_u32 s3, s9, s3
	s_load_dwordx2 s[4:5], s[2:3], 0x0
	s_load_dwordx2 s[6:7], s[0:1], 0x0
	s_waitcnt lgkmcnt(0)
	s_sub_u32 s4, s4, s20
	s_subb_u32 s5, s5, 0
	v_lshl_add_u64 v[0:1], s[6:7], 0, v[4:5]
	v_cmp_gt_i64_e32 vcc, s[4:5], v[0:1]
	s_and_b64 exec, exec, vcc
	s_cbranch_execz .LBB96_34
; %bb.26:
	s_add_u32 s6, s18, -1
	s_addc_u32 s7, s19, -1
	s_add_u32 s0, s18, -2
	s_addc_u32 s1, s19, -1
	v_mov_b64_e32 v[4:5], s[6:7]
	s_cmp_lg_u64 s[16:17], s[0:1]
	v_cmp_lt_i64_e32 vcc, s[16:17], v[4:5]
	s_cselect_b64 s[0:1], -1, 0
	s_and_b64 s[0:1], vcc, s[0:1]
	v_cndmask_b32_e64 v4, 0, 1, s[0:1]
	s_mov_b64 s[18:19], 0
	v_cmp_ne_u32_e64 s[0:1], 1, v4
	v_mov_b32_e32 v5, 0
	s_mov_b64 s[24:25], 0x100
	s_branch .LBB96_28
.LBB96_27:                              ;   in Loop: Header=BB96_28 Depth=1
	s_or_b64 exec, exec, s[2:3]
	v_lshl_add_u64 v[0:1], v[0:1], 0, s[24:25]
	v_cmp_le_i64_e32 vcc, s[4:5], v[0:1]
	s_or_b64 s[18:19], vcc, s[18:19]
	s_andn2_b64 exec, exec, s[18:19]
	s_cbranch_execz .LBB96_34
.LBB96_28:                              ; =>This Loop Header: Depth=1
                                        ;     Child Loop BB96_30 Depth 2
	s_and_b64 vcc, exec, s[0:1]
	v_mov_b64_e32 v[6:7], s[16:17]
	v_mov_b64_e32 v[8:9], s[6:7]
	s_cbranch_vccnz .LBB96_32
; %bb.29:                               ;   in Loop: Header=BB96_28 Depth=1
	s_mov_b64 s[26:27], 0
	v_mov_b64_e32 v[6:7], s[16:17]
	v_mov_b64_e32 v[8:9], s[6:7]
.LBB96_30:                              ;   Parent Loop BB96_28 Depth=1
                                        ; =>  This Inner Loop Header: Depth=2
	v_lshl_add_u64 v[10:11], v[8:9], 0, v[6:7]
	v_lshrrev_b32_e32 v4, 31, v11
	v_lshl_add_u64 v[10:11], v[10:11], 0, v[4:5]
	v_ashrrev_i64 v[10:11], 1, v[10:11]
	v_lshl_add_u64 v[12:13], v[10:11], 3, s[8:9]
	global_load_dwordx2 v[12:13], v[12:13], off
	s_waitcnt vmcnt(0)
	v_subrev_co_u32_e32 v12, vcc, s20, v12
	s_nop 1
	v_subbrev_co_u32_e32 v13, vcc, 0, v13, vcc
	v_cmp_lt_i64_e32 vcc, v[0:1], v[12:13]
	s_nop 1
	v_cndmask_b32_e32 v9, v9, v11, vcc
	v_cndmask_b32_e32 v8, v8, v10, vcc
	;; [unrolled: 1-line block ×4, first 2 shown]
	v_lshl_add_u64 v[10:11], v[8:9], 0, -1
	v_cmp_ge_i64_e32 vcc, v[6:7], v[8:9]
	v_cmp_eq_u64_e64 s[2:3], v[6:7], v[10:11]
	s_or_b64 s[2:3], vcc, s[2:3]
	s_and_b64 s[2:3], exec, s[2:3]
	s_or_b64 s[26:27], s[2:3], s[26:27]
	s_andn2_b64 exec, exec, s[26:27]
	s_cbranch_execnz .LBB96_30
; %bb.31:                               ;   in Loop: Header=BB96_28 Depth=1
	s_or_b64 exec, exec, s[26:27]
.LBB96_32:                              ;   in Loop: Header=BB96_28 Depth=1
	v_lshl_add_u64 v[10:11], v[8:9], 3, s[8:9]
	global_load_dwordx2 v[10:11], v[10:11], off
	v_lshl_add_u64 v[12:13], v[0:1], 2, s[10:11]
	global_load_dword v4, v[12:13], off
	s_waitcnt vmcnt(1)
	v_subrev_co_u32_e32 v12, vcc, s20, v10
	s_nop 1
	v_subbrev_co_u32_e32 v13, vcc, 0, v11, vcc
	s_waitcnt vmcnt(0)
	v_subrev_u32_e32 v10, s20, v4
	v_cmp_lt_i64_e32 vcc, v[0:1], v[12:13]
	v_ashrrev_i32_e32 v11, 31, v10
	s_nop 0
	v_cndmask_b32_e32 v7, v9, v7, vcc
	v_cndmask_b32_e32 v6, v8, v6, vcc
	v_cmp_ne_u64_e32 vcc, v[6:7], v[10:11]
	s_and_saveexec_b64 s[2:3], vcc
	s_cbranch_execz .LBB96_27
; %bb.33:                               ;   in Loop: Header=BB96_28 Depth=1
	v_lshl_add_u64 v[8:9], v[0:1], 2, s[12:13]
	global_load_dword v4, v[8:9], off
	v_lshl_add_u64 v[6:7], v[6:7], 3, s[14:15]
	global_load_dwordx2 v[6:7], v[6:7], off
	v_lshl_add_u64 v[8:9], v[10:11], 3, s[22:23]
	s_waitcnt vmcnt(1)
	v_cvt_f64_f32_e32 v[10:11], v4
	v_mul_f64 v[10:11], v[2:3], v[10:11]
	s_waitcnt vmcnt(0)
	v_mul_f64 v[6:7], v[6:7], v[10:11]
	global_atomic_add_f64 v[8:9], v[6:7], off
	s_branch .LBB96_27
.LBB96_34:
	s_endpgm
	.section	.rodata,"a",@progbits
	.p2align	6, 0x0
	.amdhsa_kernel _ZL33csrmvn_symm_large_adaptive_kernelIlifdddEvbT_PKS0_N9rocsparse24const_host_device_scalarIT4_EES2_PKT0_PKT1_PKT2_S6_PT3_21rocsparse_index_base_b
		.amdhsa_group_segment_fixed_size 8192
		.amdhsa_private_segment_fixed_size 0
		.amdhsa_kernarg_size 88
		.amdhsa_user_sgpr_count 2
		.amdhsa_user_sgpr_dispatch_ptr 0
		.amdhsa_user_sgpr_queue_ptr 0
		.amdhsa_user_sgpr_kernarg_segment_ptr 1
		.amdhsa_user_sgpr_dispatch_id 0
		.amdhsa_user_sgpr_kernarg_preload_length 0
		.amdhsa_user_sgpr_kernarg_preload_offset 0
		.amdhsa_user_sgpr_private_segment_size 0
		.amdhsa_uses_dynamic_stack 0
		.amdhsa_enable_private_segment 0
		.amdhsa_system_sgpr_workgroup_id_x 1
		.amdhsa_system_sgpr_workgroup_id_y 0
		.amdhsa_system_sgpr_workgroup_id_z 0
		.amdhsa_system_sgpr_workgroup_info 0
		.amdhsa_system_vgpr_workitem_id 0
		.amdhsa_next_free_vgpr 20
		.amdhsa_next_free_sgpr 42
		.amdhsa_accum_offset 20
		.amdhsa_reserve_vcc 1
		.amdhsa_float_round_mode_32 0
		.amdhsa_float_round_mode_16_64 0
		.amdhsa_float_denorm_mode_32 3
		.amdhsa_float_denorm_mode_16_64 3
		.amdhsa_dx10_clamp 1
		.amdhsa_ieee_mode 1
		.amdhsa_fp16_overflow 0
		.amdhsa_tg_split 0
		.amdhsa_exception_fp_ieee_invalid_op 0
		.amdhsa_exception_fp_denorm_src 0
		.amdhsa_exception_fp_ieee_div_zero 0
		.amdhsa_exception_fp_ieee_overflow 0
		.amdhsa_exception_fp_ieee_underflow 0
		.amdhsa_exception_fp_ieee_inexact 0
		.amdhsa_exception_int_div_zero 0
	.end_amdhsa_kernel
	.section	.text._ZL33csrmvn_symm_large_adaptive_kernelIlifdddEvbT_PKS0_N9rocsparse24const_host_device_scalarIT4_EES2_PKT0_PKT1_PKT2_S6_PT3_21rocsparse_index_base_b,"axG",@progbits,_ZL33csrmvn_symm_large_adaptive_kernelIlifdddEvbT_PKS0_N9rocsparse24const_host_device_scalarIT4_EES2_PKT0_PKT1_PKT2_S6_PT3_21rocsparse_index_base_b,comdat
.Lfunc_end96:
	.size	_ZL33csrmvn_symm_large_adaptive_kernelIlifdddEvbT_PKS0_N9rocsparse24const_host_device_scalarIT4_EES2_PKT0_PKT1_PKT2_S6_PT3_21rocsparse_index_base_b, .Lfunc_end96-_ZL33csrmvn_symm_large_adaptive_kernelIlifdddEvbT_PKS0_N9rocsparse24const_host_device_scalarIT4_EES2_PKT0_PKT1_PKT2_S6_PT3_21rocsparse_index_base_b
                                        ; -- End function
	.set _ZL33csrmvn_symm_large_adaptive_kernelIlifdddEvbT_PKS0_N9rocsparse24const_host_device_scalarIT4_EES2_PKT0_PKT1_PKT2_S6_PT3_21rocsparse_index_base_b.num_vgpr, 20
	.set _ZL33csrmvn_symm_large_adaptive_kernelIlifdddEvbT_PKS0_N9rocsparse24const_host_device_scalarIT4_EES2_PKT0_PKT1_PKT2_S6_PT3_21rocsparse_index_base_b.num_agpr, 0
	.set _ZL33csrmvn_symm_large_adaptive_kernelIlifdddEvbT_PKS0_N9rocsparse24const_host_device_scalarIT4_EES2_PKT0_PKT1_PKT2_S6_PT3_21rocsparse_index_base_b.numbered_sgpr, 42
	.set _ZL33csrmvn_symm_large_adaptive_kernelIlifdddEvbT_PKS0_N9rocsparse24const_host_device_scalarIT4_EES2_PKT0_PKT1_PKT2_S6_PT3_21rocsparse_index_base_b.num_named_barrier, 0
	.set _ZL33csrmvn_symm_large_adaptive_kernelIlifdddEvbT_PKS0_N9rocsparse24const_host_device_scalarIT4_EES2_PKT0_PKT1_PKT2_S6_PT3_21rocsparse_index_base_b.private_seg_size, 0
	.set _ZL33csrmvn_symm_large_adaptive_kernelIlifdddEvbT_PKS0_N9rocsparse24const_host_device_scalarIT4_EES2_PKT0_PKT1_PKT2_S6_PT3_21rocsparse_index_base_b.uses_vcc, 1
	.set _ZL33csrmvn_symm_large_adaptive_kernelIlifdddEvbT_PKS0_N9rocsparse24const_host_device_scalarIT4_EES2_PKT0_PKT1_PKT2_S6_PT3_21rocsparse_index_base_b.uses_flat_scratch, 0
	.set _ZL33csrmvn_symm_large_adaptive_kernelIlifdddEvbT_PKS0_N9rocsparse24const_host_device_scalarIT4_EES2_PKT0_PKT1_PKT2_S6_PT3_21rocsparse_index_base_b.has_dyn_sized_stack, 0
	.set _ZL33csrmvn_symm_large_adaptive_kernelIlifdddEvbT_PKS0_N9rocsparse24const_host_device_scalarIT4_EES2_PKT0_PKT1_PKT2_S6_PT3_21rocsparse_index_base_b.has_recursion, 0
	.set _ZL33csrmvn_symm_large_adaptive_kernelIlifdddEvbT_PKS0_N9rocsparse24const_host_device_scalarIT4_EES2_PKT0_PKT1_PKT2_S6_PT3_21rocsparse_index_base_b.has_indirect_call, 0
	.section	.AMDGPU.csdata,"",@progbits
; Kernel info:
; codeLenInByte = 1540
; TotalNumSgprs: 48
; NumVgprs: 20
; NumAgprs: 0
; TotalNumVgprs: 20
; ScratchSize: 0
; MemoryBound: 0
; FloatMode: 240
; IeeeMode: 1
; LDSByteSize: 8192 bytes/workgroup (compile time only)
; SGPRBlocks: 5
; VGPRBlocks: 2
; NumSGPRsForWavesPerEU: 48
; NumVGPRsForWavesPerEU: 20
; AccumOffset: 20
; Occupancy: 8
; WaveLimiterHint : 1
; COMPUTE_PGM_RSRC2:SCRATCH_EN: 0
; COMPUTE_PGM_RSRC2:USER_SGPR: 2
; COMPUTE_PGM_RSRC2:TRAP_HANDLER: 0
; COMPUTE_PGM_RSRC2:TGID_X_EN: 1
; COMPUTE_PGM_RSRC2:TGID_Y_EN: 0
; COMPUTE_PGM_RSRC2:TGID_Z_EN: 0
; COMPUTE_PGM_RSRC2:TIDIG_COMP_CNT: 0
; COMPUTE_PGM_RSRC3_GFX90A:ACCUM_OFFSET: 4
; COMPUTE_PGM_RSRC3_GFX90A:TG_SPLIT: 0
	.section	.text._ZN9rocsparseL22csrmvn_adaptive_kernelIllfdddEEvbT_PKS1_PjPKT0_NS_24const_host_device_scalarIT4_EES3_S7_PKT1_PKT2_SA_PT3_21rocsparse_index_base_b,"axG",@progbits,_ZN9rocsparseL22csrmvn_adaptive_kernelIllfdddEEvbT_PKS1_PjPKT0_NS_24const_host_device_scalarIT4_EES3_S7_PKT1_PKT2_SA_PT3_21rocsparse_index_base_b,comdat
	.globl	_ZN9rocsparseL22csrmvn_adaptive_kernelIllfdddEEvbT_PKS1_PjPKT0_NS_24const_host_device_scalarIT4_EES3_S7_PKT1_PKT2_SA_PT3_21rocsparse_index_base_b ; -- Begin function _ZN9rocsparseL22csrmvn_adaptive_kernelIllfdddEEvbT_PKS1_PjPKT0_NS_24const_host_device_scalarIT4_EES3_S7_PKT1_PKT2_SA_PT3_21rocsparse_index_base_b
	.p2align	8
	.type	_ZN9rocsparseL22csrmvn_adaptive_kernelIllfdddEEvbT_PKS1_PjPKT0_NS_24const_host_device_scalarIT4_EES3_S7_PKT1_PKT2_SA_PT3_21rocsparse_index_base_b,@function
_ZN9rocsparseL22csrmvn_adaptive_kernelIllfdddEEvbT_PKS1_PjPKT0_NS_24const_host_device_scalarIT4_EES3_S7_PKT1_PKT2_SA_PT3_21rocsparse_index_base_b: ; @_ZN9rocsparseL22csrmvn_adaptive_kernelIllfdddEEvbT_PKS1_PjPKT0_NS_24const_host_device_scalarIT4_EES3_S7_PKT1_PKT2_SA_PT3_21rocsparse_index_base_b
; %bb.0:
	s_load_dwordx2 s[44:45], s[0:1], 0x60
	s_load_dwordx2 s[8:9], s[0:1], 0x28
	s_load_dwordx2 s[4:5], s[0:1], 0x50
	s_waitcnt lgkmcnt(0)
	s_bitcmp1_b32 s45, 0
	s_cselect_b64 s[10:11], -1, 0
	s_xor_b64 s[6:7], s[10:11], -1
	s_and_b64 vcc, exec, s[10:11]
	v_mov_b64_e32 v[2:3], s[8:9]
	s_cbranch_vccnz .LBB97_2
; %bb.1:
	v_mov_b64_e32 v[2:3], s[8:9]
	flat_load_dwordx2 v[2:3], v[2:3]
.LBB97_2:
	s_andn2_b64 vcc, exec, s[6:7]
	v_mov_b64_e32 v[6:7], s[4:5]
	s_cbranch_vccnz .LBB97_4
; %bb.3:
	v_mov_b64_e32 v[4:5], s[4:5]
	flat_load_dwordx2 v[6:7], v[4:5]
.LBB97_4:
	s_waitcnt vmcnt(0) lgkmcnt(0)
	v_cmp_neq_f64_e32 vcc, 0, v[2:3]
	v_cmp_neq_f64_e64 s[4:5], 1.0, v[6:7]
	s_or_b64 s[4:5], vcc, s[4:5]
	s_and_saveexec_b64 s[6:7], s[4:5]
	s_cbranch_execz .LBB97_114
; %bb.5:
	s_load_dwordx2 s[4:5], s[0:1], 0x10
	s_load_dwordx2 s[6:7], s[0:1], 0x20
	s_ashr_i32 s3, s2, 31
	s_lshl_b64 s[8:9], s[2:3], 3
	s_waitcnt lgkmcnt(0)
	s_add_u32 s4, s4, s8
	s_addc_u32 s5, s5, s9
	s_load_dwordx4 s[36:39], s[4:5], 0x0
	s_load_dwordx2 s[22:23], s[0:1], 0x58
	s_load_dwordx8 s[24:31], s[0:1], 0x30
	s_waitcnt lgkmcnt(0)
	s_sub_u32 s4, s38, s36
	s_subb_u32 s5, s39, s37
	s_add_u32 s6, s6, s8
	s_addc_u32 s7, s7, s9
	s_lshl_b64 s[46:47], s[36:37], 3
	s_add_u32 s42, s24, s46
	s_addc_u32 s43, s25, s47
	s_load_dwordx2 s[34:35], s[6:7], 0x0
	s_load_dwordx2 s[40:41], s[42:43], 0x0
	v_cmp_lt_i64_e64 s[8:9], s[4:5], 2
	s_mov_b64 s[6:7], -1
	s_and_b64 vcc, exec, s[8:9]
	s_cbranch_vccz .LBB97_70
; %bb.6:
	s_cmp_lg_u64 s[4:5], 1
	s_cselect_b64 s[4:5], -1, 0
	s_waitcnt lgkmcnt(0)
	s_cmp_lg_u64 s[34:35], 0
	s_cselect_b64 s[6:7], -1, 0
	s_or_b64 s[4:5], s[4:5], s[6:7]
	s_mov_b64 s[18:19], -1
	s_and_b64 vcc, exec, s[4:5]
	v_cmp_gt_u32_e64 s[4:5], 64, v0
	v_cmp_gt_u32_e64 s[6:7], 32, v0
	v_cmp_gt_u32_e64 s[8:9], 16, v0
	v_cmp_gt_u32_e64 s[10:11], 8, v0
	v_cmp_gt_u32_e64 s[12:13], 4, v0
	v_cmp_gt_u32_e64 s[14:15], 2, v0
	v_cmp_eq_u32_e64 s[16:17], 0, v0
	s_cbranch_vccnz .LBB97_34
; %bb.7:
	v_subrev_co_u32_e32 v4, vcc, s44, v0
	v_mov_b32_e32 v1, 0
	s_nop 0
	v_subb_co_u32_e64 v5, s[18:19], 0, 0, vcc
	s_movk_i32 s18, 0x80
	v_lshlrev_b32_e32 v18, 3, v0
	v_cmp_gt_u32_e64 s[18:19], s18, v0
	v_cmp_neq_f64_e64 s[20:21], 0, v[6:7]
	s_mov_b64 s[48:49], 0x100
	s_mov_b64 s[50:51], 0x400
	;; [unrolled: 1-line block ×3, first 2 shown]
	v_mov_b64_e32 v[8:9], s[38:39]
	s_mov_b64 s[54:55], s[36:37]
	s_branch .LBB97_10
.LBB97_8:                               ;   in Loop: Header=BB97_10 Depth=1
	s_or_b64 exec, exec, s[60:61]
	s_add_u32 s56, s22, s56
	s_addc_u32 s57, s23, s57
	s_waitcnt lgkmcnt(0)
	global_store_dwordx2 v1, v[10:11], s[56:57]
.LBB97_9:                               ;   in Loop: Header=BB97_10 Depth=1
	s_or_b64 exec, exec, s[58:59]
	s_add_u32 s54, s54, 1
	s_addc_u32 s55, s55, 0
	v_cmp_ge_i64_e32 vcc, s[54:55], v[8:9]
	s_cbranch_vccnz .LBB97_33
.LBB97_10:                              ; =>This Loop Header: Depth=1
                                        ;     Child Loop BB97_12 Depth 2
	s_lshl_b64 s[56:57], s[54:55], 3
	s_add_u32 s58, s24, s56
	s_addc_u32 s59, s25, s57
	s_load_dwordx4 s[60:63], s[58:59], 0x0
	v_mov_b64_e32 v[10:11], 0
	s_waitcnt lgkmcnt(0)
	s_sub_u32 s58, s62, s44
	v_lshl_add_u64 v[12:13], s[60:61], 0, v[4:5]
	s_subb_u32 s59, s63, 0
	v_cmp_gt_i64_e32 vcc, s[58:59], v[12:13]
	s_and_saveexec_b64 s[60:61], vcc
	s_cbranch_execz .LBB97_14
; %bb.11:                               ;   in Loop: Header=BB97_10 Depth=1
	v_lshl_add_u64 v[14:15], v[12:13], 2, s[28:29]
	v_lshl_add_u64 v[16:17], v[12:13], 3, s[26:27]
	v_mov_b64_e32 v[10:11], 0
	s_mov_b64 s[62:63], 0
.LBB97_12:                              ;   Parent Loop BB97_10 Depth=1
                                        ; =>  This Inner Loop Header: Depth=2
	global_load_dwordx2 v[20:21], v[16:17], off
	global_load_dword v19, v[14:15], off
	v_lshl_add_u64 v[12:13], v[12:13], 0, s[48:49]
	v_lshl_add_u64 v[14:15], v[14:15], 0, s[50:51]
	;; [unrolled: 1-line block ×3, first 2 shown]
	s_waitcnt vmcnt(1)
	v_subrev_co_u32_e32 v20, vcc, s44, v20
	s_nop 1
	v_subbrev_co_u32_e32 v21, vcc, 0, v21, vcc
	v_lshl_add_u64 v[20:21], v[20:21], 3, s[30:31]
	global_load_dwordx2 v[20:21], v[20:21], off
	s_waitcnt vmcnt(1)
	v_cvt_f64_f32_e32 v[22:23], v19
	v_cmp_le_i64_e32 vcc, s[58:59], v[12:13]
	v_mul_f64 v[22:23], v[2:3], v[22:23]
	s_or_b64 s[62:63], vcc, s[62:63]
	s_waitcnt vmcnt(0)
	v_fmac_f64_e32 v[10:11], v[22:23], v[20:21]
	s_andn2_b64 exec, exec, s[62:63]
	s_cbranch_execnz .LBB97_12
; %bb.13:                               ;   in Loop: Header=BB97_10 Depth=1
	s_or_b64 exec, exec, s[62:63]
.LBB97_14:                              ;   in Loop: Header=BB97_10 Depth=1
	s_or_b64 exec, exec, s[60:61]
	ds_write_b64 v18, v[10:11]
	s_waitcnt lgkmcnt(0)
	s_barrier
	s_and_saveexec_b64 s[58:59], s[18:19]
	s_cbranch_execz .LBB97_16
; %bb.15:                               ;   in Loop: Header=BB97_10 Depth=1
	ds_read2st64_b64 v[10:13], v18 offset1:2
	s_waitcnt lgkmcnt(0)
	v_add_f64 v[10:11], v[10:11], v[12:13]
	ds_write_b64 v18, v[10:11]
.LBB97_16:                              ;   in Loop: Header=BB97_10 Depth=1
	s_or_b64 exec, exec, s[58:59]
	s_waitcnt lgkmcnt(0)
	s_barrier
	s_and_saveexec_b64 s[58:59], s[4:5]
	s_cbranch_execz .LBB97_18
; %bb.17:                               ;   in Loop: Header=BB97_10 Depth=1
	ds_read2st64_b64 v[10:13], v18 offset1:1
	s_waitcnt lgkmcnt(0)
	v_add_f64 v[10:11], v[10:11], v[12:13]
	ds_write_b64 v18, v[10:11]
.LBB97_18:                              ;   in Loop: Header=BB97_10 Depth=1
	s_or_b64 exec, exec, s[58:59]
	s_waitcnt lgkmcnt(0)
	s_barrier
	s_and_saveexec_b64 s[58:59], s[6:7]
	s_cbranch_execz .LBB97_20
; %bb.19:                               ;   in Loop: Header=BB97_10 Depth=1
	ds_read2_b64 v[10:13], v18 offset1:32
	s_waitcnt lgkmcnt(0)
	v_add_f64 v[10:11], v[10:11], v[12:13]
	ds_write_b64 v18, v[10:11]
.LBB97_20:                              ;   in Loop: Header=BB97_10 Depth=1
	s_or_b64 exec, exec, s[58:59]
	s_waitcnt lgkmcnt(0)
	s_barrier
	s_and_saveexec_b64 s[58:59], s[8:9]
	s_cbranch_execz .LBB97_22
; %bb.21:                               ;   in Loop: Header=BB97_10 Depth=1
	ds_read2_b64 v[10:13], v18 offset1:16
	s_waitcnt lgkmcnt(0)
	v_add_f64 v[10:11], v[10:11], v[12:13]
	ds_write_b64 v18, v[10:11]
.LBB97_22:                              ;   in Loop: Header=BB97_10 Depth=1
	;; [unrolled: 11-line block ×5, first 2 shown]
	s_or_b64 exec, exec, s[58:59]
	s_waitcnt lgkmcnt(0)
	s_barrier
	s_and_saveexec_b64 s[58:59], s[16:17]
	s_cbranch_execz .LBB97_30
; %bb.29:                               ;   in Loop: Header=BB97_10 Depth=1
	ds_read_b128 v[10:13], v1
	s_waitcnt lgkmcnt(0)
	v_add_f64 v[10:11], v[10:11], v[12:13]
	ds_write_b64 v1, v[10:11]
.LBB97_30:                              ;   in Loop: Header=BB97_10 Depth=1
	s_or_b64 exec, exec, s[58:59]
	s_waitcnt lgkmcnt(0)
	s_barrier
	s_and_saveexec_b64 s[58:59], s[16:17]
	s_cbranch_execz .LBB97_9
; %bb.31:                               ;   in Loop: Header=BB97_10 Depth=1
	ds_read_b64 v[10:11], v1
	s_and_saveexec_b64 s[60:61], s[20:21]
	s_cbranch_execz .LBB97_8
; %bb.32:                               ;   in Loop: Header=BB97_10 Depth=1
	s_add_u32 s62, s22, s56
	s_addc_u32 s63, s23, s57
	global_load_dwordx2 v[12:13], v1, s[62:63]
	s_waitcnt vmcnt(0) lgkmcnt(0)
	v_fmac_f64_e32 v[10:11], v[6:7], v[12:13]
	s_branch .LBB97_8
.LBB97_33:
	s_mov_b64 s[18:19], 0
.LBB97_34:
	s_and_b64 vcc, exec, s[18:19]
	s_cbranch_vccz .LBB97_69
; %bb.35:
	s_load_dwordx2 s[6:7], s[0:1], 0x18
	s_sub_u32 s8, s2, s34
	s_subb_u32 s9, s3, s35
	s_lshl_b64 s[2:3], s[2:3], 2
	v_mov_b32_e32 v1, 0
	s_waitcnt lgkmcnt(0)
	s_add_u32 s4, s6, s2
	s_addc_u32 s5, s7, s3
	global_load_dword v14, v1, s[4:5]
	s_cmp_lg_u64 s[34:35], 0
	s_cselect_b64 s[10:11], -1, 0
	s_cmp_eq_u64 s[34:35], 0
	s_cselect_b64 s[2:3], -1, 0
	v_cmp_eq_u32_e32 vcc, 0, v0
	s_and_b64 s[2:3], vcc, s[2:3]
	v_mov_b64_e32 v[4:5], 0
	s_and_saveexec_b64 s[12:13], s[2:3]
	s_cbranch_execz .LBB97_39
; %bb.36:
	s_add_u32 s2, s22, s46
	s_addc_u32 s3, s23, s47
	global_load_dwordx2 v[4:5], v1, s[2:3]
	s_mov_b64 s[14:15], exec
	v_mbcnt_lo_u32_b32 v10, s14, 0
	v_mbcnt_hi_u32_b32 v10, s15, v10
	v_add_f64 v[8:9], v[6:7], -1.0
	v_cmp_eq_u32_e64 s[2:3], 0, v10
	s_waitcnt vmcnt(0) expcnt(0) lgkmcnt(0)
	s_and_saveexec_b64 s[16:17], s[2:3]
	s_cbranch_execz .LBB97_38
; %bb.37:
	s_lshl_b64 s[2:3], s[8:9], 2
	s_add_u32 s2, s6, s2
	s_addc_u32 s3, s7, s3
	s_bcnt1_i32_b64 s14, s[14:15]
	s_and_b32 s14, s14, 1
	v_mov_b32_e32 v10, 0
	v_mov_b32_e32 v11, s14
	global_atomic_xor v10, v11, s[2:3]
.LBB97_38:
	s_or_b64 exec, exec, s[16:17]
	v_mul_f64 v[4:5], v[8:9], v[4:5]
.LBB97_39:
	s_or_b64 exec, exec, s[12:13]
	s_mul_i32 s2, s35, 0xc00
	s_mul_hi_u32 s3, s34, 0xc00
	s_add_i32 s12, s3, s2
	s_load_dwordx2 s[2:3], s[42:43], 0x8
	s_sub_u32 s14, s40, s44
	s_mul_i32 s13, s34, 0xc00
	s_subb_u32 s15, s41, 0
	s_add_u32 s16, s14, s13
	s_addc_u32 s17, s15, s12
	s_waitcnt lgkmcnt(0)
	s_sub_u32 s14, s2, s44
	s_subb_u32 s15, s3, 0
	v_lshl_add_u64 v[8:9], s[16:17], 0, v[0:1]
	v_cmp_gt_i64_e64 s[2:3], s[14:15], v[8:9]
	s_and_saveexec_b64 s[12:13], s[2:3]
	s_cbranch_execz .LBB97_43
; %bb.40:
	s_add_u32 s16, s16, 0xc00
	s_addc_u32 s17, s17, 0
	v_mov_b64_e32 v[10:11], s[14:15]
	v_cmp_lt_i64_e64 s[2:3], s[16:17], v[10:11]
	s_and_b64 s[2:3], s[2:3], exec
	s_cselect_b32 s15, s17, s15
	s_cselect_b32 s14, s16, s14
	v_lshl_add_u64 v[10:11], v[8:9], 2, s[28:29]
	v_lshl_add_u64 v[12:13], v[8:9], 3, s[26:27]
	s_mov_b64 s[16:17], 0
	s_mov_b64 s[18:19], 0x100
	;; [unrolled: 1-line block ×4, first 2 shown]
.LBB97_41:                              ; =>This Inner Loop Header: Depth=1
	global_load_dwordx2 v[16:17], v[12:13], off
	global_load_dword v1, v[10:11], off
	v_lshl_add_u64 v[8:9], v[8:9], 0, s[18:19]
	v_lshl_add_u64 v[10:11], v[10:11], 0, s[20:21]
	;; [unrolled: 1-line block ×3, first 2 shown]
	s_waitcnt vmcnt(1)
	v_subrev_co_u32_e64 v16, s[2:3], s44, v16
	s_nop 1
	v_subbrev_co_u32_e64 v17, s[2:3], 0, v17, s[2:3]
	v_lshl_add_u64 v[16:17], v[16:17], 3, s[30:31]
	global_load_dwordx2 v[16:17], v[16:17], off
	s_waitcnt vmcnt(1)
	v_cvt_f64_f32_e32 v[18:19], v1
	v_cmp_le_i64_e64 s[2:3], s[14:15], v[8:9]
	v_mul_f64 v[18:19], v[2:3], v[18:19]
	s_or_b64 s[16:17], s[2:3], s[16:17]
	s_waitcnt vmcnt(0)
	v_fmac_f64_e32 v[4:5], v[18:19], v[16:17]
	s_andn2_b64 exec, exec, s[16:17]
	s_cbranch_execnz .LBB97_41
; %bb.42:
	s_or_b64 exec, exec, s[16:17]
.LBB97_43:
	s_or_b64 exec, exec, s[12:13]
	s_movk_i32 s2, 0x80
	v_lshlrev_b32_e32 v1, 3, v0
	v_cmp_gt_u32_e64 s[2:3], s2, v0
	ds_write_b64 v1, v[4:5]
	s_waitcnt lgkmcnt(0)
	s_barrier
	s_and_saveexec_b64 s[12:13], s[2:3]
	s_cbranch_execz .LBB97_45
; %bb.44:
	ds_read2st64_b64 v[8:11], v1 offset1:2
	s_waitcnt lgkmcnt(0)
	v_add_f64 v[4:5], v[8:9], v[10:11]
	ds_write_b64 v1, v[4:5]
.LBB97_45:
	s_or_b64 exec, exec, s[12:13]
	v_cmp_gt_u32_e64 s[2:3], 64, v0
	s_waitcnt lgkmcnt(0)
	s_barrier
	s_and_saveexec_b64 s[12:13], s[2:3]
	s_cbranch_execz .LBB97_47
; %bb.46:
	ds_read2st64_b64 v[8:11], v1 offset1:1
	s_waitcnt lgkmcnt(0)
	v_add_f64 v[4:5], v[8:9], v[10:11]
	ds_write_b64 v1, v[4:5]
.LBB97_47:
	s_or_b64 exec, exec, s[12:13]
	v_cmp_gt_u32_e64 s[2:3], 32, v0
	s_waitcnt lgkmcnt(0)
	s_barrier
	s_and_saveexec_b64 s[12:13], s[2:3]
	s_cbranch_execz .LBB97_49
; %bb.48:
	ds_read2_b64 v[8:11], v1 offset1:32
	s_waitcnt lgkmcnt(0)
	v_add_f64 v[4:5], v[8:9], v[10:11]
	ds_write_b64 v1, v[4:5]
.LBB97_49:
	s_or_b64 exec, exec, s[12:13]
	v_cmp_gt_u32_e64 s[2:3], 16, v0
	s_waitcnt lgkmcnt(0)
	s_barrier
	s_and_saveexec_b64 s[12:13], s[2:3]
	s_cbranch_execz .LBB97_51
; %bb.50:
	ds_read2_b64 v[8:11], v1 offset1:16
	s_waitcnt lgkmcnt(0)
	v_add_f64 v[4:5], v[8:9], v[10:11]
	ds_write_b64 v1, v[4:5]
.LBB97_51:
	;; [unrolled: 12-line block ×5, first 2 shown]
	s_or_b64 exec, exec, s[12:13]
	s_waitcnt lgkmcnt(0)
	s_barrier
	s_and_saveexec_b64 s[2:3], vcc
	s_cbranch_execz .LBB97_59
; %bb.58:
	v_mov_b32_e32 v1, 0
	ds_read_b128 v[8:11], v1
	s_waitcnt lgkmcnt(0)
	v_add_f64 v[4:5], v[8:9], v[10:11]
	ds_write_b64 v1, v[4:5]
.LBB97_59:
	s_or_b64 exec, exec, s[2:3]
	s_waitcnt lgkmcnt(0)
	s_barrier
	s_and_saveexec_b64 s[2:3], vcc
	s_cbranch_execz .LBB97_68
; %bb.60:
	s_andn2_b64 vcc, exec, s[10:11]
	s_cbranch_vccnz .LBB97_66
; %bb.61:
	s_lshl_b64 s[8:9], s[8:9], 2
	s_add_u32 s6, s6, s8
	s_addc_u32 s7, s7, s9
	v_mov_b32_e32 v1, 0
	s_branch .LBB97_63
.LBB97_62:                              ;   in Loop: Header=BB97_63 Depth=1
	s_or_b64 exec, exec, s[8:9]
	s_waitcnt vmcnt(0)
	v_readfirstlane_b32 s8, v4
	s_nop 1
	v_cmp_eq_u32_e32 vcc, s8, v14
	s_cbranch_vccz .LBB97_65
.LBB97_63:                              ; =>This Inner Loop Header: Depth=1
	v_mbcnt_lo_u32_b32 v4, exec_lo, 0
	v_mbcnt_hi_u32_b32 v4, exec_hi, v4
	v_cmp_eq_u32_e32 vcc, 0, v4
                                        ; implicit-def: $vgpr4
	s_and_saveexec_b64 s[8:9], vcc
	s_cbranch_execz .LBB97_62
; %bb.64:                               ;   in Loop: Header=BB97_63 Depth=1
	global_load_dword v4, v1, s[6:7] sc1
	s_branch .LBB97_62
.LBB97_65:
	v_mov_b32_e32 v1, 0
	global_load_ushort v4, v1, s[4:5]
	s_waitcnt vmcnt(0)
	v_xor_b32_e32 v4, 1, v4
	global_store_short v1, v4, s[4:5]
.LBB97_66:
	s_mov_b64 s[4:5], exec
	v_mbcnt_lo_u32_b32 v1, s4, 0
	v_mbcnt_hi_u32_b32 v1, s5, v1
	v_cmp_eq_u32_e32 vcc, 0, v1
	s_and_b64 s[6:7], exec, vcc
	s_mov_b64 exec, s[6:7]
	s_cbranch_execz .LBB97_68
; %bb.67:
	v_mov_b32_e32 v1, 0
	ds_read_b64 v[4:5], v1
	s_add_u32 s6, s22, s46
	s_addc_u32 s7, s23, s47
	s_bcnt1_i32_b64 s4, s[4:5]
	v_cvt_f64_u32_e32 v[8:9], s4
	s_waitcnt lgkmcnt(0)
	v_mul_f64 v[4:5], v[4:5], v[8:9]
	global_atomic_add_f64 v1, v[4:5], s[6:7]
.LBB97_68:
	s_or_b64 exec, exec, s[2:3]
.LBB97_69:
	s_mov_b64 s[6:7], 0
.LBB97_70:
	s_andn2_b64 vcc, exec, s[6:7]
	s_cbranch_vccnz .LBB97_114
; %bb.71:
	s_load_dwordx2 s[0:1], s[0:1], 0x8
	v_subrev_co_u32_e32 v4, vcc, s44, v0
	v_mov_b32_e32 v1, 0
	s_nop 0
	v_subb_co_u32_e64 v5, s[2:3], 0, 0, vcc
	s_waitcnt lgkmcnt(0)
	v_lshl_add_u64 v[4:5], s[40:41], 0, v[4:5]
	s_mov_b64 s[2:3], 0x300
	v_lshl_add_u64 v[8:9], v[4:5], 0, s[2:3]
	v_cmp_le_i64_e32 vcc, s[0:1], v[8:9]
	s_and_saveexec_b64 s[0:1], vcc
	s_xor_b64 s[0:1], exec, s[0:1]
	s_cbranch_execz .LBB97_76
; %bb.72:
	s_lshl_b64 s[2:3], s[38:39], 3
	s_add_u32 s2, s24, s2
	s_addc_u32 s3, s25, s3
	s_load_dwordx2 s[2:3], s[2:3], 0x0
	s_waitcnt lgkmcnt(0)
	s_sub_u32 s2, s2, s44
	s_subb_u32 s3, s3, 0
	v_cmp_gt_i64_e32 vcc, s[2:3], v[4:5]
	s_and_saveexec_b64 s[4:5], vcc
	s_cbranch_execz .LBB97_75
; %bb.73:
	v_lshlrev_b32_e32 v12, 3, v0
	v_lshl_add_u64 v[8:9], v[4:5], 2, s[28:29]
	v_lshl_add_u64 v[10:11], v[4:5], 3, s[26:27]
	s_mov_b64 s[6:7], 0
	s_mov_b64 s[8:9], 0x100
	;; [unrolled: 1-line block ×4, first 2 shown]
.LBB97_74:                              ; =>This Inner Loop Header: Depth=1
	global_load_dwordx2 v[14:15], v[10:11], off
	global_load_dword v13, v[8:9], off
	v_lshl_add_u64 v[4:5], v[4:5], 0, s[8:9]
	v_lshl_add_u64 v[8:9], v[8:9], 0, s[10:11]
	v_lshl_add_u64 v[10:11], v[10:11], 0, s[12:13]
	s_waitcnt vmcnt(1)
	v_subrev_co_u32_e32 v14, vcc, s44, v14
	s_nop 1
	v_subbrev_co_u32_e32 v15, vcc, 0, v15, vcc
	v_lshl_add_u64 v[14:15], v[14:15], 3, s[30:31]
	global_load_dwordx2 v[14:15], v[14:15], off
	s_waitcnt vmcnt(1)
	v_cvt_f64_f32_e32 v[16:17], v13
	v_mul_f64 v[16:17], v[2:3], v[16:17]
	v_cmp_le_i64_e32 vcc, s[2:3], v[4:5]
	s_or_b64 s[6:7], vcc, s[6:7]
	s_waitcnt vmcnt(0)
	v_mul_f64 v[14:15], v[16:17], v[14:15]
	ds_write_b64 v12, v[14:15]
	v_add_u32_e32 v12, 0x800, v12
	s_andn2_b64 exec, exec, s[6:7]
	s_cbranch_execnz .LBB97_74
.LBB97_75:
	s_or_b64 exec, exec, s[4:5]
                                        ; implicit-def: $vgpr4_vgpr5
                                        ; implicit-def: $vgpr2_vgpr3
.LBB97_76:
	s_or_saveexec_b64 s[0:1], s[0:1]
	s_waitcnt vmcnt(0)
	v_lshlrev_b32_e32 v14, 3, v0
	s_xor_b64 exec, exec, s[0:1]
	s_cbranch_execz .LBB97_78
; %bb.77:
	v_lshl_add_u64 v[8:9], v[4:5], 3, s[26:27]
	global_load_dwordx2 v[10:11], v[8:9], off
	global_load_dwordx2 v[12:13], v[8:9], off offset:2048
	s_movk_i32 s2, 0x1000
	v_add_co_u32_e32 v8, vcc, s2, v8
	v_lshl_add_u64 v[4:5], v[4:5], 2, s[28:29]
	s_nop 0
	v_addc_co_u32_e32 v9, vcc, 0, v9, vcc
	global_load_dwordx2 v[16:17], v[8:9], off
	global_load_dwordx2 v[18:19], v[8:9], off offset:2048
	global_load_dword v15, v[4:5], off
	global_load_dword v20, v[4:5], off offset:1024
	global_load_dword v21, v[4:5], off offset:2048
	;; [unrolled: 1-line block ×3, first 2 shown]
	s_waitcnt vmcnt(7)
	v_subrev_co_u32_e32 v4, vcc, s44, v10
	s_nop 1
	v_subbrev_co_u32_e32 v5, vcc, 0, v11, vcc
	s_waitcnt vmcnt(6)
	v_subrev_co_u32_e32 v8, vcc, s44, v12
	v_lshl_add_u64 v[4:5], v[4:5], 3, s[30:31]
	s_nop 0
	v_subbrev_co_u32_e32 v9, vcc, 0, v13, vcc
	s_waitcnt vmcnt(5)
	v_subrev_co_u32_e32 v10, vcc, s44, v16
	v_lshl_add_u64 v[8:9], v[8:9], 3, s[30:31]
	s_nop 0
	v_subbrev_co_u32_e32 v11, vcc, 0, v17, vcc
	s_waitcnt vmcnt(4)
	v_subrev_co_u32_e32 v12, vcc, s44, v18
	s_waitcnt vmcnt(0)
	v_cvt_f64_f32_e32 v[22:23], v22
	v_subbrev_co_u32_e32 v13, vcc, 0, v19, vcc
	global_load_dwordx2 v[16:17], v[4:5], off
	global_load_dwordx2 v[18:19], v[8:9], off
	v_lshl_add_u64 v[4:5], v[10:11], 3, s[30:31]
	v_lshl_add_u64 v[8:9], v[12:13], 3, s[30:31]
	global_load_dwordx2 v[10:11], v[4:5], off
	global_load_dwordx2 v[12:13], v[8:9], off
	v_cvt_f64_f32_e32 v[4:5], v15
	v_cvt_f64_f32_e32 v[8:9], v20
	;; [unrolled: 1-line block ×3, first 2 shown]
	v_mul_f64 v[4:5], v[2:3], v[4:5]
	v_mul_f64 v[8:9], v[2:3], v[8:9]
	;; [unrolled: 1-line block ×4, first 2 shown]
	s_waitcnt vmcnt(3)
	v_mul_f64 v[4:5], v[4:5], v[16:17]
	s_waitcnt vmcnt(2)
	v_mul_f64 v[8:9], v[8:9], v[18:19]
	ds_write2st64_b64 v14, v[4:5], v[8:9] offset1:4
	s_waitcnt vmcnt(1)
	v_mul_f64 v[4:5], v[20:21], v[10:11]
	s_waitcnt vmcnt(0)
	v_mul_f64 v[2:3], v[2:3], v[12:13]
	ds_write2st64_b64 v14, v[4:5], v[2:3] offset0:8 offset1:12
.LBB97_78:
	s_or_b64 exec, exec, s[0:1]
	v_cmp_lt_i64_e64 s[2:3], s[34:35], 2
	s_mov_b64 s[0:1], -1
	s_and_b64 vcc, exec, s[2:3]
	s_waitcnt lgkmcnt(0)
	s_barrier
	s_cbranch_vccz .LBB97_89
; %bb.79:
	v_lshl_add_u64 v[8:9], s[36:37], 0, v[0:1]
	v_cmp_gt_i64_e32 vcc, s[38:39], v[8:9]
	s_and_saveexec_b64 s[2:3], vcc
	s_cbranch_execz .LBB97_88
; %bb.80:
	s_lshl_b32 s0, s40, 3
	s_mov_b64 s[4:5], 0
	v_cmp_neq_f64_e32 vcc, 0, v[6:7]
	s_sub_i32 s12, 0, s0
	s_mov_b64 s[6:7], 0x100
	s_branch .LBB97_82
.LBB97_81:                              ;   in Loop: Header=BB97_82 Depth=1
	s_or_b64 exec, exec, s[0:1]
	v_lshl_add_u64 v[8:9], v[8:9], 0, s[6:7]
	v_cmp_le_i64_e64 s[0:1], s[38:39], v[8:9]
	s_or_b64 s[4:5], s[0:1], s[4:5]
	global_store_dwordx2 v[2:3], v[10:11], off
	s_andn2_b64 exec, exec, s[4:5]
	s_cbranch_execz .LBB97_88
.LBB97_82:                              ; =>This Loop Header: Depth=1
                                        ;     Child Loop BB97_84 Depth 2
	v_lshl_add_u64 v[2:3], v[8:9], 3, s[24:25]
	global_load_dwordx4 v[2:5], v[2:3], off
	v_mov_b64_e32 v[10:11], 0
	s_waitcnt vmcnt(0)
	v_cmp_lt_i64_e64 s[0:1], v[2:3], v[4:5]
	s_and_saveexec_b64 s[8:9], s[0:1]
	s_cbranch_execz .LBB97_86
; %bb.83:                               ;   in Loop: Header=BB97_82 Depth=1
	v_mov_b32_e32 v1, s41
	v_subrev_co_u32_e64 v4, s[0:1], s40, v4
	v_mov_b64_e32 v[10:11], 0
	s_nop 0
	v_subb_co_u32_e64 v5, s[0:1], v5, v1, s[0:1]
	v_subrev_co_u32_e64 v12, s[0:1], s40, v2
	s_mov_b64 s[10:11], 0
	s_nop 0
	v_subb_co_u32_e64 v13, s[0:1], v3, v1, s[0:1]
	v_lshl_add_u32 v1, v2, 3, s12
.LBB97_84:                              ;   Parent Loop BB97_82 Depth=1
                                        ; =>  This Inner Loop Header: Depth=2
	ds_read_b64 v[2:3], v1
	v_lshl_add_u64 v[12:13], v[12:13], 0, 1
	v_cmp_ge_i64_e64 s[0:1], v[12:13], v[4:5]
	v_add_u32_e32 v1, 8, v1
	s_or_b64 s[10:11], s[0:1], s[10:11]
	s_waitcnt lgkmcnt(0)
	v_add_f64 v[10:11], v[10:11], v[2:3]
	s_andn2_b64 exec, exec, s[10:11]
	s_cbranch_execnz .LBB97_84
; %bb.85:                               ;   in Loop: Header=BB97_82 Depth=1
	s_or_b64 exec, exec, s[10:11]
.LBB97_86:                              ;   in Loop: Header=BB97_82 Depth=1
	s_or_b64 exec, exec, s[8:9]
	v_lshl_add_u64 v[2:3], v[8:9], 3, s[22:23]
	s_and_saveexec_b64 s[0:1], vcc
	s_cbranch_execz .LBB97_81
; %bb.87:                               ;   in Loop: Header=BB97_82 Depth=1
	global_load_dwordx2 v[4:5], v[2:3], off
	s_waitcnt vmcnt(0)
	v_fmac_f64_e32 v[10:11], v[6:7], v[4:5]
	s_branch .LBB97_81
.LBB97_88:
	s_or_b64 exec, exec, s[2:3]
	s_mov_b64 s[0:1], 0
.LBB97_89:
	s_andn2_b64 vcc, exec, s[0:1]
	s_cbranch_vccnz .LBB97_114
; %bb.90:
	s_flbit_i32_b32 s0, s34
	s_min_u32 s0, s0, 32
	s_sub_i32 s0, 31, s0
	v_lshrrev_b32_e32 v8, s0, v0
	v_mov_b32_e32 v9, 0
	v_lshl_add_u64 v[2:3], s[36:37], 0, v[8:9]
	s_add_i32 s0, s34, -1
	v_and_b32_e32 v0, s0, v0
	v_mov_b32_e32 v1, v9
	v_cmp_le_i64_e64 s[0:1], s[38:39], v[2:3]
	v_cmp_gt_i64_e32 vcc, s[38:39], v[2:3]
	v_mov_b64_e32 v[4:5], 0
	s_and_saveexec_b64 s[2:3], vcc
	s_cbranch_execz .LBB97_96
; %bb.91:
	v_lshlrev_b32_e32 v4, 3, v8
	global_load_dwordx4 v[10:13], v4, s[42:43]
	v_mov_b32_e32 v5, s41
	v_subrev_co_u32_e32 v4, vcc, s40, v0
	v_mov_b32_e32 v9, s41
	s_nop 0
	v_subb_co_u32_e32 v5, vcc, 0, v5, vcc
	s_waitcnt vmcnt(0)
	v_subrev_co_u32_e32 v8, vcc, s40, v12
	s_nop 1
	v_subb_co_u32_e32 v9, vcc, v13, v9, vcc
	v_lshl_add_u64 v[10:11], v[10:11], 0, v[4:5]
	v_cmp_lt_i64_e32 vcc, v[10:11], v[8:9]
	v_mov_b64_e32 v[4:5], 0
	s_and_saveexec_b64 s[4:5], vcc
	s_cbranch_execz .LBB97_95
; %bb.92:
	v_lshlrev_b32_e32 v12, 3, v10
	s_lshl_b32 s8, s34, 3
	v_mov_b64_e32 v[4:5], 0
	s_mov_b64 s[6:7], 0
.LBB97_93:                              ; =>This Inner Loop Header: Depth=1
	ds_read_b64 v[16:17], v12
	v_lshl_add_u64 v[10:11], v[10:11], 0, s[34:35]
	v_cmp_ge_i64_e32 vcc, v[10:11], v[8:9]
	v_add_u32_e32 v12, s8, v12
	s_or_b64 s[6:7], vcc, s[6:7]
	s_waitcnt lgkmcnt(0)
	v_add_f64 v[4:5], v[4:5], v[16:17]
	s_andn2_b64 exec, exec, s[6:7]
	s_cbranch_execnz .LBB97_93
; %bb.94:
	s_or_b64 exec, exec, s[6:7]
.LBB97_95:
	s_or_b64 exec, exec, s[4:5]
.LBB97_96:
	s_or_b64 exec, exec, s[2:3]
	v_mov_b64_e32 v[8:9], 0x81
	v_cmp_lt_u64_e32 vcc, s[34:35], v[8:9]
	s_and_b64 vcc, exec, vcc
	s_barrier
	ds_write_b64 v14, v[4:5]
	s_waitcnt lgkmcnt(0)
	s_barrier
	s_cbranch_vccnz .LBB97_98
; %bb.97:
	ds_read_b64 v[8:9], v14 offset:1024
	s_waitcnt lgkmcnt(0)
	s_barrier
	v_add_f64 v[4:5], v[4:5], v[8:9]
	ds_write_b64 v14, v[4:5]
.LBB97_98:
	v_mov_b64_e32 v[8:9], 0x41
	v_cmp_lt_u64_e32 vcc, s[34:35], v[8:9]
	s_waitcnt lgkmcnt(0)
	s_barrier
	s_cbranch_vccnz .LBB97_100
; %bb.99:
	ds_read_b64 v[8:9], v14 offset:512
	s_waitcnt lgkmcnt(0)
	s_barrier
	v_add_f64 v[4:5], v[4:5], v[8:9]
	ds_write_b64 v14, v[4:5]
.LBB97_100:
	v_cmp_lt_u64_e64 s[2:3], s[34:35], 33
	s_and_b64 vcc, exec, s[2:3]
	s_waitcnt lgkmcnt(0)
	s_barrier
	s_cbranch_vccnz .LBB97_102
; %bb.101:
	ds_read_b64 v[8:9], v14 offset:256
	s_waitcnt lgkmcnt(0)
	s_barrier
	v_add_f64 v[4:5], v[4:5], v[8:9]
	ds_write_b64 v14, v[4:5]
.LBB97_102:
	v_cmp_lt_u64_e64 s[2:3], s[34:35], 17
	s_and_b64 vcc, exec, s[2:3]
	;; [unrolled: 12-line block ×4, first 2 shown]
	s_waitcnt lgkmcnt(0)
	s_barrier
	s_cbranch_vccnz .LBB97_108
; %bb.107:
	ds_read_b64 v[8:9], v14 offset:32
	s_waitcnt lgkmcnt(0)
	s_barrier
	v_add_f64 v[4:5], v[4:5], v[8:9]
	ds_write_b64 v14, v[4:5]
.LBB97_108:
	s_cmp_eq_u64 s[34:35], 2
	s_waitcnt lgkmcnt(0)
	s_barrier
	s_cbranch_scc1 .LBB97_110
; %bb.109:
	ds_read_b64 v[8:9], v14 offset:16
	s_waitcnt lgkmcnt(0)
	s_barrier
	v_add_f64 v[4:5], v[4:5], v[8:9]
	ds_write_b64 v14, v[4:5]
.LBB97_110:
	s_waitcnt lgkmcnt(0)
	s_barrier
	ds_read_b64 v[8:9], v14 offset:8
	v_cmp_eq_u64_e32 vcc, 0, v[0:1]
	s_xor_b64 s[0:1], s[0:1], -1
	s_and_b64 s[0:1], vcc, s[0:1]
	s_waitcnt lgkmcnt(0)
	v_add_f64 v[4:5], v[4:5], v[8:9]
	s_barrier
	ds_write_b64 v14, v[4:5]
	s_and_b64 exec, exec, s[0:1]
	s_cbranch_execz .LBB97_114
; %bb.111:
	v_cmp_neq_f64_e32 vcc, 0, v[6:7]
	v_lshl_add_u64 v[0:1], v[2:3], 3, s[22:23]
	s_and_saveexec_b64 s[0:1], vcc
	s_cbranch_execz .LBB97_113
; %bb.112:
	global_load_dwordx2 v[2:3], v[0:1], off
	s_waitcnt vmcnt(0)
	v_fmac_f64_e32 v[4:5], v[6:7], v[2:3]
.LBB97_113:
	s_or_b64 exec, exec, s[0:1]
	global_store_dwordx2 v[0:1], v[4:5], off
.LBB97_114:
	s_endpgm
	.section	.rodata,"a",@progbits
	.p2align	6, 0x0
	.amdhsa_kernel _ZN9rocsparseL22csrmvn_adaptive_kernelIllfdddEEvbT_PKS1_PjPKT0_NS_24const_host_device_scalarIT4_EES3_S7_PKT1_PKT2_SA_PT3_21rocsparse_index_base_b
		.amdhsa_group_segment_fixed_size 8192
		.amdhsa_private_segment_fixed_size 0
		.amdhsa_kernarg_size 104
		.amdhsa_user_sgpr_count 2
		.amdhsa_user_sgpr_dispatch_ptr 0
		.amdhsa_user_sgpr_queue_ptr 0
		.amdhsa_user_sgpr_kernarg_segment_ptr 1
		.amdhsa_user_sgpr_dispatch_id 0
		.amdhsa_user_sgpr_kernarg_preload_length 0
		.amdhsa_user_sgpr_kernarg_preload_offset 0
		.amdhsa_user_sgpr_private_segment_size 0
		.amdhsa_uses_dynamic_stack 0
		.amdhsa_enable_private_segment 0
		.amdhsa_system_sgpr_workgroup_id_x 1
		.amdhsa_system_sgpr_workgroup_id_y 0
		.amdhsa_system_sgpr_workgroup_id_z 0
		.amdhsa_system_sgpr_workgroup_info 0
		.amdhsa_system_vgpr_workitem_id 0
		.amdhsa_next_free_vgpr 24
		.amdhsa_next_free_sgpr 64
		.amdhsa_accum_offset 24
		.amdhsa_reserve_vcc 1
		.amdhsa_float_round_mode_32 0
		.amdhsa_float_round_mode_16_64 0
		.amdhsa_float_denorm_mode_32 3
		.amdhsa_float_denorm_mode_16_64 3
		.amdhsa_dx10_clamp 1
		.amdhsa_ieee_mode 1
		.amdhsa_fp16_overflow 0
		.amdhsa_tg_split 0
		.amdhsa_exception_fp_ieee_invalid_op 0
		.amdhsa_exception_fp_denorm_src 0
		.amdhsa_exception_fp_ieee_div_zero 0
		.amdhsa_exception_fp_ieee_overflow 0
		.amdhsa_exception_fp_ieee_underflow 0
		.amdhsa_exception_fp_ieee_inexact 0
		.amdhsa_exception_int_div_zero 0
	.end_amdhsa_kernel
	.section	.text._ZN9rocsparseL22csrmvn_adaptive_kernelIllfdddEEvbT_PKS1_PjPKT0_NS_24const_host_device_scalarIT4_EES3_S7_PKT1_PKT2_SA_PT3_21rocsparse_index_base_b,"axG",@progbits,_ZN9rocsparseL22csrmvn_adaptive_kernelIllfdddEEvbT_PKS1_PjPKT0_NS_24const_host_device_scalarIT4_EES3_S7_PKT1_PKT2_SA_PT3_21rocsparse_index_base_b,comdat
.Lfunc_end97:
	.size	_ZN9rocsparseL22csrmvn_adaptive_kernelIllfdddEEvbT_PKS1_PjPKT0_NS_24const_host_device_scalarIT4_EES3_S7_PKT1_PKT2_SA_PT3_21rocsparse_index_base_b, .Lfunc_end97-_ZN9rocsparseL22csrmvn_adaptive_kernelIllfdddEEvbT_PKS1_PjPKT0_NS_24const_host_device_scalarIT4_EES3_S7_PKT1_PKT2_SA_PT3_21rocsparse_index_base_b
                                        ; -- End function
	.set _ZN9rocsparseL22csrmvn_adaptive_kernelIllfdddEEvbT_PKS1_PjPKT0_NS_24const_host_device_scalarIT4_EES3_S7_PKT1_PKT2_SA_PT3_21rocsparse_index_base_b.num_vgpr, 24
	.set _ZN9rocsparseL22csrmvn_adaptive_kernelIllfdddEEvbT_PKS1_PjPKT0_NS_24const_host_device_scalarIT4_EES3_S7_PKT1_PKT2_SA_PT3_21rocsparse_index_base_b.num_agpr, 0
	.set _ZN9rocsparseL22csrmvn_adaptive_kernelIllfdddEEvbT_PKS1_PjPKT0_NS_24const_host_device_scalarIT4_EES3_S7_PKT1_PKT2_SA_PT3_21rocsparse_index_base_b.numbered_sgpr, 64
	.set _ZN9rocsparseL22csrmvn_adaptive_kernelIllfdddEEvbT_PKS1_PjPKT0_NS_24const_host_device_scalarIT4_EES3_S7_PKT1_PKT2_SA_PT3_21rocsparse_index_base_b.num_named_barrier, 0
	.set _ZN9rocsparseL22csrmvn_adaptive_kernelIllfdddEEvbT_PKS1_PjPKT0_NS_24const_host_device_scalarIT4_EES3_S7_PKT1_PKT2_SA_PT3_21rocsparse_index_base_b.private_seg_size, 0
	.set _ZN9rocsparseL22csrmvn_adaptive_kernelIllfdddEEvbT_PKS1_PjPKT0_NS_24const_host_device_scalarIT4_EES3_S7_PKT1_PKT2_SA_PT3_21rocsparse_index_base_b.uses_vcc, 1
	.set _ZN9rocsparseL22csrmvn_adaptive_kernelIllfdddEEvbT_PKS1_PjPKT0_NS_24const_host_device_scalarIT4_EES3_S7_PKT1_PKT2_SA_PT3_21rocsparse_index_base_b.uses_flat_scratch, 0
	.set _ZN9rocsparseL22csrmvn_adaptive_kernelIllfdddEEvbT_PKS1_PjPKT0_NS_24const_host_device_scalarIT4_EES3_S7_PKT1_PKT2_SA_PT3_21rocsparse_index_base_b.has_dyn_sized_stack, 0
	.set _ZN9rocsparseL22csrmvn_adaptive_kernelIllfdddEEvbT_PKS1_PjPKT0_NS_24const_host_device_scalarIT4_EES3_S7_PKT1_PKT2_SA_PT3_21rocsparse_index_base_b.has_recursion, 0
	.set _ZN9rocsparseL22csrmvn_adaptive_kernelIllfdddEEvbT_PKS1_PjPKT0_NS_24const_host_device_scalarIT4_EES3_S7_PKT1_PKT2_SA_PT3_21rocsparse_index_base_b.has_indirect_call, 0
	.section	.AMDGPU.csdata,"",@progbits
; Kernel info:
; codeLenInByte = 4028
; TotalNumSgprs: 70
; NumVgprs: 24
; NumAgprs: 0
; TotalNumVgprs: 24
; ScratchSize: 0
; MemoryBound: 0
; FloatMode: 240
; IeeeMode: 1
; LDSByteSize: 8192 bytes/workgroup (compile time only)
; SGPRBlocks: 8
; VGPRBlocks: 2
; NumSGPRsForWavesPerEU: 70
; NumVGPRsForWavesPerEU: 24
; AccumOffset: 24
; Occupancy: 8
; WaveLimiterHint : 1
; COMPUTE_PGM_RSRC2:SCRATCH_EN: 0
; COMPUTE_PGM_RSRC2:USER_SGPR: 2
; COMPUTE_PGM_RSRC2:TRAP_HANDLER: 0
; COMPUTE_PGM_RSRC2:TGID_X_EN: 1
; COMPUTE_PGM_RSRC2:TGID_Y_EN: 0
; COMPUTE_PGM_RSRC2:TGID_Z_EN: 0
; COMPUTE_PGM_RSRC2:TIDIG_COMP_CNT: 0
; COMPUTE_PGM_RSRC3_GFX90A:ACCUM_OFFSET: 5
; COMPUTE_PGM_RSRC3_GFX90A:TG_SPLIT: 0
	.section	.text._ZN9rocsparseL27csrmvn_symm_adaptive_kernelIllfdddEEvbT_S1_PKS1_NS_24const_host_device_scalarIT4_EES3_PKT0_PKT1_PKT2_S6_PT3_21rocsparse_index_base_b,"axG",@progbits,_ZN9rocsparseL27csrmvn_symm_adaptive_kernelIllfdddEEvbT_S1_PKS1_NS_24const_host_device_scalarIT4_EES3_PKT0_PKT1_PKT2_S6_PT3_21rocsparse_index_base_b,comdat
	.globl	_ZN9rocsparseL27csrmvn_symm_adaptive_kernelIllfdddEEvbT_S1_PKS1_NS_24const_host_device_scalarIT4_EES3_PKT0_PKT1_PKT2_S6_PT3_21rocsparse_index_base_b ; -- Begin function _ZN9rocsparseL27csrmvn_symm_adaptive_kernelIllfdddEEvbT_S1_PKS1_NS_24const_host_device_scalarIT4_EES3_PKT0_PKT1_PKT2_S6_PT3_21rocsparse_index_base_b
	.p2align	8
	.type	_ZN9rocsparseL27csrmvn_symm_adaptive_kernelIllfdddEEvbT_S1_PKS1_NS_24const_host_device_scalarIT4_EES3_PKT0_PKT1_PKT2_S6_PT3_21rocsparse_index_base_b,@function
_ZN9rocsparseL27csrmvn_symm_adaptive_kernelIllfdddEEvbT_S1_PKS1_NS_24const_host_device_scalarIT4_EES3_PKT0_PKT1_PKT2_S6_PT3_21rocsparse_index_base_b: ; @_ZN9rocsparseL27csrmvn_symm_adaptive_kernelIllfdddEEvbT_S1_PKS1_NS_24const_host_device_scalarIT4_EES3_PKT0_PKT1_PKT2_S6_PT3_21rocsparse_index_base_b
; %bb.0:
	s_load_dwordx2 s[28:29], s[0:1], 0x58
	s_load_dwordx2 s[8:9], s[0:1], 0x20
	;; [unrolled: 1-line block ×3, first 2 shown]
	s_waitcnt lgkmcnt(0)
	s_bitcmp1_b32 s29, 0
	s_cselect_b64 s[10:11], -1, 0
	s_xor_b64 s[6:7], s[10:11], -1
	s_and_b64 vcc, exec, s[10:11]
	v_mov_b64_e32 v[6:7], s[8:9]
	s_cbranch_vccnz .LBB98_2
; %bb.1:
	v_mov_b64_e32 v[2:3], s[8:9]
	flat_load_dwordx2 v[6:7], v[2:3]
.LBB98_2:
	s_andn2_b64 vcc, exec, s[6:7]
	v_mov_b64_e32 v[2:3], s[4:5]
	s_cbranch_vccnz .LBB98_4
; %bb.3:
	v_mov_b64_e32 v[2:3], s[4:5]
	flat_load_dwordx2 v[2:3], v[2:3]
.LBB98_4:
	s_waitcnt vmcnt(0) lgkmcnt(0)
	v_cmp_neq_f64_e32 vcc, 0, v[6:7]
	v_cmp_neq_f64_e64 s[4:5], 1.0, v[2:3]
	s_or_b64 s[4:5], vcc, s[4:5]
	s_and_saveexec_b64 s[6:7], s[4:5]
	s_cbranch_execz .LBB98_139
; %bb.5:
	s_load_dwordx2 s[4:5], s[0:1], 0x18
	s_ashr_i32 s3, s2, 31
	s_mov_b32 s6, 0
	s_lshl_b64 s[2:3], s[2:3], 3
	s_mov_b32 s7, s6
	s_waitcnt lgkmcnt(0)
	s_add_u32 s2, s4, s2
	v_lshlrev_b32_e32 v16, 3, v0
	v_mov_b64_e32 v[2:3], s[6:7]
	s_addc_u32 s3, s5, s3
	ds_write2st64_b64 v16, v[2:3], v[2:3] offset1:4
	ds_write2st64_b64 v16, v[2:3], v[2:3] offset0:8 offset1:12
	s_waitcnt lgkmcnt(0)
	s_barrier
	s_load_dwordx4 s[20:23], s[2:3], 0x0
	s_load_dwordx8 s[12:19], s[0:1], 0x28
	s_load_dwordx2 s[24:25], s[0:1], 0x50
	s_mov_b64 s[2:3], -1
	s_waitcnt lgkmcnt(0)
	s_sub_u32 s26, s22, s20
	s_subb_u32 s27, s23, s21
	v_cmp_gt_i64_e64 s[4:5], s[26:27], 2
	s_and_b64 vcc, exec, s[4:5]
	s_cbranch_vccnz .LBB98_38
; %bb.6:
	v_mov_b64_e32 v[2:3], s[20:21]
	v_cmp_le_i64_e32 vcc, s[22:23], v[2:3]
	v_subrev_co_u32_e64 v2, s[2:3], s28, v0
	v_mov_b32_e32 v1, 0
	s_nop 0
	v_subb_co_u32_e64 v3, s[2:3], 0, 0, s[2:3]
	s_cbranch_vccnz .LBB98_28
; %bb.7:
	s_movk_i32 s2, 0x100
	v_cmp_gt_u32_e64 s[2:3], s2, v0
	v_cmp_gt_u32_e64 s[4:5], 64, v0
	;; [unrolled: 1-line block ×4, first 2 shown]
	v_cmp_eq_u32_e64 s[10:11], 0, v0
	s_mov_b64 s[30:31], 0x100
	s_mov_b64 s[34:35], 0x800
	;; [unrolled: 1-line block ×3, first 2 shown]
	v_mov_b64_e32 v[4:5], s[22:23]
	s_mov_b64 s[38:39], s[20:21]
	s_branch .LBB98_9
.LBB98_8:                               ;   in Loop: Header=BB98_9 Depth=1
	s_or_b64 exec, exec, s[42:43]
	s_add_u32 s38, s38, 1
	s_addc_u32 s39, s39, 0
	v_cmp_ge_i64_e32 vcc, s[38:39], v[4:5]
	s_cbranch_vccnz .LBB98_28
.LBB98_9:                               ; =>This Loop Header: Depth=1
                                        ;     Child Loop BB98_11 Depth 2
                                        ;     Child Loop BB98_25 Depth 2
	s_lshl_b64 s[40:41], s[38:39], 3
	s_add_u32 s42, s12, s40
	s_addc_u32 s43, s13, s41
	s_load_dwordx4 s[44:47], s[42:43], 0x0
	v_mov_b64_e32 v[8:9], 0
	s_waitcnt lgkmcnt(0)
	s_sub_u32 s42, s46, s28
	v_lshl_add_u64 v[10:11], s[44:45], 0, v[2:3]
	s_subb_u32 s43, s47, 0
	v_cmp_gt_i64_e32 vcc, s[42:43], v[10:11]
	s_and_saveexec_b64 s[44:45], vcc
	s_cbranch_execz .LBB98_13
; %bb.10:                               ;   in Loop: Header=BB98_9 Depth=1
	v_lshl_add_u64 v[12:13], v[10:11], 3, s[14:15]
	v_lshl_add_u64 v[14:15], v[10:11], 2, s[16:17]
	v_mov_b64_e32 v[8:9], 0
	s_mov_b64 s[46:47], 0
.LBB98_11:                              ;   Parent Loop BB98_9 Depth=1
                                        ; =>  This Inner Loop Header: Depth=2
	global_load_dwordx2 v[18:19], v[12:13], off
	global_load_dword v17, v[14:15], off
	v_lshl_add_u64 v[10:11], v[10:11], 0, s[30:31]
	v_lshl_add_u64 v[12:13], v[12:13], 0, s[34:35]
	;; [unrolled: 1-line block ×3, first 2 shown]
	s_waitcnt vmcnt(1)
	v_subrev_co_u32_e32 v18, vcc, s28, v18
	s_nop 1
	v_subbrev_co_u32_e32 v19, vcc, 0, v19, vcc
	v_lshl_add_u64 v[18:19], v[18:19], 3, s[18:19]
	global_load_dwordx2 v[18:19], v[18:19], off
	v_cmp_le_i64_e32 vcc, s[42:43], v[10:11]
	s_waitcnt vmcnt(1)
	v_cvt_f64_f32_e32 v[20:21], v17
	s_or_b64 s[46:47], vcc, s[46:47]
	s_waitcnt vmcnt(0)
	v_fmac_f64_e32 v[8:9], v[20:21], v[18:19]
	s_andn2_b64 exec, exec, s[46:47]
	s_cbranch_execnz .LBB98_11
; %bb.12:                               ;   in Loop: Header=BB98_9 Depth=1
	s_or_b64 exec, exec, s[46:47]
.LBB98_13:                              ;   in Loop: Header=BB98_9 Depth=1
	s_or_b64 exec, exec, s[44:45]
	ds_write_b64 v16, v[8:9]
	s_waitcnt lgkmcnt(0)
	s_barrier
	s_and_saveexec_b64 s[42:43], s[2:3]
	s_cbranch_execz .LBB98_15
; %bb.14:                               ;   in Loop: Header=BB98_9 Depth=1
	ds_read2st64_b64 v[8:11], v16 offset1:4
	ds_read2st64_b64 v[12:15], v16 offset0:8 offset1:12
	s_waitcnt lgkmcnt(0)
	v_add_f64 v[10:11], v[10:11], v[12:13]
	v_add_f64 v[10:11], v[10:11], v[14:15]
	;; [unrolled: 1-line block ×3, first 2 shown]
	ds_write_b64 v16, v[8:9]
.LBB98_15:                              ;   in Loop: Header=BB98_9 Depth=1
	s_or_b64 exec, exec, s[42:43]
	s_waitcnt lgkmcnt(0)
	s_barrier
	s_and_saveexec_b64 s[42:43], s[4:5]
	s_cbranch_execz .LBB98_17
; %bb.16:                               ;   in Loop: Header=BB98_9 Depth=1
	ds_read2st64_b64 v[8:11], v16 offset1:1
	ds_read2st64_b64 v[12:15], v16 offset0:2 offset1:3
	s_waitcnt lgkmcnt(0)
	v_add_f64 v[10:11], v[10:11], v[12:13]
	v_add_f64 v[10:11], v[10:11], v[14:15]
	;; [unrolled: 1-line block ×3, first 2 shown]
	ds_write_b64 v16, v[8:9]
.LBB98_17:                              ;   in Loop: Header=BB98_9 Depth=1
	s_or_b64 exec, exec, s[42:43]
	s_waitcnt lgkmcnt(0)
	s_barrier
	s_and_saveexec_b64 s[42:43], s[6:7]
	s_cbranch_execz .LBB98_19
; %bb.18:                               ;   in Loop: Header=BB98_9 Depth=1
	ds_read2_b64 v[8:11], v16 offset1:16
	ds_read2_b64 v[12:15], v16 offset0:32 offset1:48
	s_waitcnt lgkmcnt(0)
	v_add_f64 v[10:11], v[10:11], v[12:13]
	v_add_f64 v[10:11], v[10:11], v[14:15]
	;; [unrolled: 1-line block ×3, first 2 shown]
	ds_write_b64 v16, v[8:9]
.LBB98_19:                              ;   in Loop: Header=BB98_9 Depth=1
	s_or_b64 exec, exec, s[42:43]
	s_waitcnt lgkmcnt(0)
	s_barrier
	s_and_saveexec_b64 s[42:43], s[8:9]
	s_cbranch_execz .LBB98_21
; %bb.20:                               ;   in Loop: Header=BB98_9 Depth=1
	ds_read2_b64 v[8:11], v16 offset1:4
	ds_read2_b64 v[12:15], v16 offset0:8 offset1:12
	s_waitcnt lgkmcnt(0)
	v_add_f64 v[10:11], v[10:11], v[12:13]
	v_add_f64 v[10:11], v[10:11], v[14:15]
	v_add_f64 v[8:9], v[8:9], v[10:11]
	ds_write_b64 v16, v[8:9]
.LBB98_21:                              ;   in Loop: Header=BB98_9 Depth=1
	s_or_b64 exec, exec, s[42:43]
	s_waitcnt lgkmcnt(0)
	s_barrier
	s_and_saveexec_b64 s[42:43], s[10:11]
	s_cbranch_execz .LBB98_23
; %bb.22:                               ;   in Loop: Header=BB98_9 Depth=1
	ds_read2_b64 v[8:11], v1 offset0:1 offset1:2
	ds_read_b64 v[12:13], v1 offset:24
	ds_read_b64 v[14:15], v16
	s_waitcnt lgkmcnt(2)
	v_add_f64 v[8:9], v[8:9], v[10:11]
	s_waitcnt lgkmcnt(1)
	v_add_f64 v[8:9], v[8:9], v[12:13]
	;; [unrolled: 2-line block ×3, first 2 shown]
	ds_write_b64 v16, v[8:9]
.LBB98_23:                              ;   in Loop: Header=BB98_9 Depth=1
	s_or_b64 exec, exec, s[42:43]
	s_waitcnt lgkmcnt(0)
	s_barrier
	s_and_saveexec_b64 s[42:43], s[10:11]
	s_cbranch_execz .LBB98_8
; %bb.24:                               ;   in Loop: Header=BB98_9 Depth=1
	ds_read_b64 v[8:9], v1
	s_mov_b64 s[44:45], exec
	s_waitcnt lgkmcnt(0)
	v_mul_f64 v[10:11], v[6:7], v[8:9]
	v_mov_b32_e32 v8, 0
	v_bfrev_b32_e32 v9, 1
.LBB98_25:                              ;   Parent Loop BB98_9 Depth=1
                                        ; =>  This Inner Loop Header: Depth=2
	s_ff1_i32_b64 s29, s[44:45]
	s_lshl_b64 s[48:49], 1, s29
	v_readlane_b32 s47, v11, s29
	v_readlane_b32 s46, v10, s29
	s_andn2_b64 s[44:45], s[44:45], s[48:49]
	s_cmp_lg_u64 s[44:45], 0
	v_add_f64 v[8:9], v[8:9], s[46:47]
	s_cbranch_scc1 .LBB98_25
; %bb.26:                               ;   in Loop: Header=BB98_9 Depth=1
	v_mbcnt_lo_u32_b32 v10, exec_lo, 0
	v_mbcnt_hi_u32_b32 v10, exec_hi, v10
	v_cmp_eq_u32_e32 vcc, 0, v10
	s_and_saveexec_b64 s[44:45], vcc
	s_xor_b64 s[44:45], exec, s[44:45]
	s_cbranch_execz .LBB98_8
; %bb.27:                               ;   in Loop: Header=BB98_9 Depth=1
	s_add_u32 s40, s24, s40
	s_addc_u32 s41, s25, s41
	global_atomic_add_f64 v1, v[8:9], s[40:41]
	s_branch .LBB98_8
.LBB98_28:
	s_lshl_b64 s[2:3], s[20:21], 3
	s_add_u32 s2, s12, s2
	s_addc_u32 s3, s13, s3
	s_lshl_b64 s[4:5], s[22:23], 3
	s_add_u32 s4, s12, s4
	s_addc_u32 s5, s13, s5
	s_load_dwordx2 s[6:7], s[4:5], 0x0
	s_load_dwordx2 s[8:9], s[2:3], 0x0
	s_waitcnt lgkmcnt(0)
	s_sub_u32 s6, s6, s28
	s_subb_u32 s7, s7, 0
	v_lshl_add_u64 v[2:3], s[8:9], 0, v[2:3]
	v_cmp_gt_i64_e32 vcc, s[6:7], v[2:3]
	s_and_saveexec_b64 s[8:9], vcc
	s_cbranch_execz .LBB98_37
; %bb.29:
	s_add_u32 s10, s22, -1
	s_addc_u32 s11, s23, -1
	s_add_u32 s2, s22, -2
	s_addc_u32 s3, s23, -1
	v_mov_b64_e32 v[4:5], s[10:11]
	s_cmp_lg_u64 s[20:21], s[2:3]
	v_cmp_lt_i64_e32 vcc, s[20:21], v[4:5]
	s_cselect_b64 s[2:3], -1, 0
	s_and_b64 s[2:3], vcc, s[2:3]
	v_cndmask_b32_e64 v1, 0, 1, s[2:3]
	s_mov_b64 s[30:31], 0
	v_cmp_ne_u32_e64 s[2:3], 1, v1
	v_mov_b32_e32 v5, 0
	s_mov_b64 s[34:35], 0x100
	s_branch .LBB98_31
.LBB98_30:                              ;   in Loop: Header=BB98_31 Depth=1
	s_or_b64 exec, exec, s[4:5]
	v_lshl_add_u64 v[2:3], v[2:3], 0, s[34:35]
	v_cmp_le_i64_e32 vcc, s[6:7], v[2:3]
	s_or_b64 s[30:31], vcc, s[30:31]
	s_andn2_b64 exec, exec, s[30:31]
	s_cbranch_execz .LBB98_37
.LBB98_31:                              ; =>This Loop Header: Depth=1
                                        ;     Child Loop BB98_33 Depth 2
	s_and_b64 vcc, exec, s[2:3]
	v_mov_b64_e32 v[8:9], s[20:21]
	v_mov_b64_e32 v[10:11], s[10:11]
	s_cbranch_vccnz .LBB98_35
; %bb.32:                               ;   in Loop: Header=BB98_31 Depth=1
	s_mov_b64 s[36:37], 0
	v_mov_b64_e32 v[8:9], s[20:21]
	v_mov_b64_e32 v[10:11], s[10:11]
.LBB98_33:                              ;   Parent Loop BB98_31 Depth=1
                                        ; =>  This Inner Loop Header: Depth=2
	v_lshl_add_u64 v[12:13], v[10:11], 0, v[8:9]
	v_lshrrev_b32_e32 v4, 31, v13
	v_lshl_add_u64 v[12:13], v[12:13], 0, v[4:5]
	v_ashrrev_i64 v[12:13], 1, v[12:13]
	v_lshl_add_u64 v[14:15], v[12:13], 3, s[12:13]
	global_load_dwordx2 v[14:15], v[14:15], off
	s_waitcnt vmcnt(0)
	v_subrev_co_u32_e32 v14, vcc, s28, v14
	s_nop 1
	v_subbrev_co_u32_e32 v15, vcc, 0, v15, vcc
	v_cmp_lt_i64_e32 vcc, v[2:3], v[14:15]
	s_nop 1
	v_cndmask_b32_e32 v11, v11, v13, vcc
	v_cndmask_b32_e32 v10, v10, v12, vcc
	;; [unrolled: 1-line block ×4, first 2 shown]
	v_lshl_add_u64 v[12:13], v[10:11], 0, -1
	v_cmp_ge_i64_e32 vcc, v[8:9], v[10:11]
	v_cmp_eq_u64_e64 s[4:5], v[8:9], v[12:13]
	s_or_b64 s[4:5], vcc, s[4:5]
	s_and_b64 s[4:5], exec, s[4:5]
	s_or_b64 s[36:37], s[4:5], s[36:37]
	s_andn2_b64 exec, exec, s[36:37]
	s_cbranch_execnz .LBB98_33
; %bb.34:                               ;   in Loop: Header=BB98_31 Depth=1
	s_or_b64 exec, exec, s[36:37]
.LBB98_35:                              ;   in Loop: Header=BB98_31 Depth=1
	v_lshl_add_u64 v[12:13], v[10:11], 3, s[12:13]
	global_load_dwordx2 v[12:13], v[12:13], off
	v_lshl_add_u64 v[14:15], v[2:3], 3, s[14:15]
	global_load_dwordx2 v[14:15], v[14:15], off
	s_waitcnt vmcnt(1)
	v_subrev_co_u32_e32 v12, vcc, s28, v12
	s_nop 1
	v_subbrev_co_u32_e32 v13, vcc, 0, v13, vcc
	v_cmp_lt_i64_e32 vcc, v[2:3], v[12:13]
	s_nop 1
	v_cndmask_b32_e32 v11, v11, v9, vcc
	v_cndmask_b32_e32 v10, v10, v8, vcc
	s_waitcnt vmcnt(0)
	v_subrev_co_u32_e32 v8, vcc, s28, v14
	s_nop 1
	v_subbrev_co_u32_e32 v9, vcc, 0, v15, vcc
	v_cmp_ne_u64_e32 vcc, v[8:9], v[10:11]
	s_and_saveexec_b64 s[4:5], vcc
	s_cbranch_execz .LBB98_30
; %bb.36:                               ;   in Loop: Header=BB98_31 Depth=1
	v_lshl_add_u64 v[12:13], v[2:3], 2, s[16:17]
	global_load_dword v1, v[12:13], off
	v_lshl_add_u64 v[10:11], v[10:11], 3, s[18:19]
	global_load_dwordx2 v[10:11], v[10:11], off
	v_lshl_add_u64 v[8:9], v[8:9], 3, s[24:25]
	s_waitcnt vmcnt(1)
	v_cvt_f64_f32_e32 v[12:13], v1
	v_mul_f64 v[12:13], v[6:7], v[12:13]
	s_waitcnt vmcnt(0)
	v_mul_f64 v[10:11], v[10:11], v[12:13]
	global_atomic_add_f64 v[8:9], v[10:11], off
	s_branch .LBB98_30
.LBB98_37:
	s_or_b64 exec, exec, s[8:9]
	s_mov_b64 s[2:3], 0
.LBB98_38:
	s_and_b64 vcc, exec, s[2:3]
	s_cbranch_vccz .LBB98_139
; %bb.39:
	s_load_dword s2, s[0:1], 0x6c
	s_mov_b32 s31, 0
	v_mov_b64_e32 v[2:3], s[26:27]
	s_mov_b64 s[34:35], 0
	s_waitcnt lgkmcnt(0)
	s_and_b32 s30, s2, 0xffff
	v_cmp_lt_u64_e32 vcc, s[30:31], v[2:3]
	s_cbranch_vccnz .LBB98_41
; %bb.40:
	v_cvt_f32_u32_e32 v1, s26
	s_sub_i32 s2, 0, s26
	v_rcp_iflag_f32_e32 v1, v1
	s_nop 0
	v_mul_f32_e32 v1, 0x4f7ffffe, v1
	v_cvt_u32_f32_e32 v1, v1
	s_nop 0
	v_readfirstlane_b32 s3, v1
	s_mul_i32 s2, s2, s3
	s_mul_hi_u32 s2, s3, s2
	s_add_i32 s3, s3, s2
	s_mul_hi_u32 s2, s30, s3
	s_mul_i32 s4, s2, s26
	s_sub_i32 s4, s30, s4
	s_add_i32 s3, s2, 1
	s_sub_i32 s5, s4, s26
	s_cmp_ge_u32 s4, s26
	s_cselect_b32 s2, s3, s2
	s_cselect_b32 s4, s5, s4
	s_add_i32 s3, s2, 1
	s_cmp_ge_u32 s4, s26
	s_cselect_b32 s34, s3, s2
.LBB98_41:
	s_load_dwordx4 s[4:7], s[0:1], 0x8
	s_lshl_b64 s[0:1], s[20:21], 3
	s_add_u32 s10, s12, s0
	s_addc_u32 s11, s13, s1
	s_load_dwordx2 s[8:9], s[10:11], 0x0
	v_subrev_co_u32_e32 v2, vcc, s28, v0
	v_mov_b32_e32 v1, 0
	s_nop 0
	v_subb_co_u32_e64 v3, s[0:1], 0, 0, vcc
	s_waitcnt lgkmcnt(0)
	v_lshl_add_u64 v[4:5], s[8:9], 0, v[2:3]
	s_mov_b64 s[0:1], 0x300
	v_lshl_add_u64 v[2:3], v[4:5], 0, s[0:1]
	v_cmp_le_i64_e32 vcc, s[4:5], v[2:3]
	s_and_saveexec_b64 s[0:1], vcc
	s_xor_b64 s[2:3], exec, s[0:1]
	s_cbranch_execnz .LBB98_44
; %bb.42:
	s_andn2_saveexec_b64 s[0:1], s[2:3]
	s_cbranch_execnz .LBB98_48
.LBB98_43:
	s_or_b64 exec, exec, s[0:1]
	v_cmp_gt_i64_e64 s[0:1], s[6:7], v[0:1]
	s_and_saveexec_b64 s[2:3], s[0:1]
	s_cbranch_execnz .LBB98_49
	s_branch .LBB98_51
.LBB98_44:
	s_lshl_b64 s[0:1], s[22:23], 3
	s_add_u32 s0, s12, s0
	s_addc_u32 s1, s13, s1
	s_load_dwordx2 s[0:1], s[0:1], 0x0
	s_waitcnt lgkmcnt(0)
	s_sub_u32 s4, s0, s8
	s_subb_u32 s5, s1, s9
	v_cmp_gt_i64_e64 s[0:1], s[4:5], v[0:1]
	s_and_saveexec_b64 s[36:37], s[0:1]
	s_cbranch_execz .LBB98_47
; %bb.45:
	v_lshl_add_u64 v[8:9], v[4:5], 2, s[16:17]
	s_mov_b64 s[38:39], 0
	s_mov_b64 s[40:41], 0x400
	;; [unrolled: 1-line block ×3, first 2 shown]
	v_mov_b32_e32 v12, v16
	v_mov_b64_e32 v[10:11], v[0:1]
.LBB98_46:                              ; =>This Inner Loop Header: Depth=1
	global_load_dword v13, v[8:9], off
	v_lshl_add_u64 v[10:11], v[10:11], 0, s[42:43]
	v_cmp_le_i64_e64 s[0:1], s[4:5], v[10:11]
	v_lshl_add_u64 v[8:9], v[8:9], 0, s[40:41]
	s_or_b64 s[38:39], s[0:1], s[38:39]
	s_waitcnt vmcnt(0)
	v_cvt_f64_f32_e32 v[14:15], v13
	v_mul_f64 v[14:15], v[6:7], v[14:15]
	ds_write_b64 v12, v[14:15]
	v_add_u32_e32 v12, 0x800, v12
	s_andn2_b64 exec, exec, s[38:39]
	s_cbranch_execnz .LBB98_46
.LBB98_47:
	s_or_b64 exec, exec, s[36:37]
                                        ; implicit-def: $vgpr6_vgpr7
	s_andn2_saveexec_b64 s[0:1], s[2:3]
	s_cbranch_execz .LBB98_43
.LBB98_48:
	v_lshl_add_u64 v[8:9], v[4:5], 2, s[16:17]
	global_load_dword v10, v[8:9], off
	global_load_dword v11, v[8:9], off offset:1024
	global_load_dword v12, v[8:9], off offset:2048
	;; [unrolled: 1-line block ×3, first 2 shown]
	s_waitcnt vmcnt(3)
	v_cvt_f64_f32_e32 v[8:9], v10
	s_waitcnt vmcnt(2)
	v_cvt_f64_f32_e32 v[10:11], v11
	;; [unrolled: 2-line block ×4, first 2 shown]
	v_mul_f64 v[8:9], v[6:7], v[8:9]
	v_mul_f64 v[10:11], v[6:7], v[10:11]
	;; [unrolled: 1-line block ×4, first 2 shown]
	ds_write2st64_b64 v16, v[8:9], v[10:11] offset1:4
	ds_write2st64_b64 v16, v[12:13], v[6:7] offset0:8 offset1:12
	s_or_b64 exec, exec, s[0:1]
	v_cmp_gt_i64_e64 s[0:1], s[6:7], v[0:1]
	s_and_saveexec_b64 s[2:3], s[0:1]
	s_cbranch_execz .LBB98_51
.LBB98_49:
	v_mov_b32_e32 v6, 0x2000
	v_mov_b32_e32 v10, 0
	v_lshl_add_u32 v8, v0, 3, v6
	s_mov_b64 s[4:5], 0
	v_mov_b32_e32 v11, v10
	s_mov_b64 s[16:17], 0x100
	v_mov_b64_e32 v[6:7], v[0:1]
.LBB98_50:                              ; =>This Inner Loop Header: Depth=1
	v_lshl_add_u64 v[6:7], v[6:7], 0, s[16:17]
	v_cmp_le_i64_e64 s[0:1], s[6:7], v[6:7]
	ds_write_b64 v8, v[10:11]
	s_or_b64 s[4:5], s[0:1], s[4:5]
	v_add_u32_e32 v8, 0x800, v8
	s_andn2_b64 exec, exec, s[4:5]
	s_cbranch_execnz .LBB98_50
.LBB98_51:
	s_or_b64 exec, exec, s[2:3]
	s_sub_u32 s2, s22, s6
	v_mov_b64_e32 v[6:7], s[6:7]
	s_subb_u32 s3, s23, s7
	v_cmp_ge_i64_e64 s[0:1], s[22:23], v[6:7]
	s_and_b64 s[0:1], s[0:1], exec
	s_cselect_b32 s5, s3, 0
	s_cselect_b32 s4, s2, 0
	s_waitcnt lgkmcnt(0)
	s_barrier
	s_and_saveexec_b64 s[0:1], vcc
	s_xor_b64 s[16:17], exec, s[0:1]
	s_cbranch_execz .LBB98_68
; %bb.52:
	s_lshl_b64 s[0:1], s[22:23], 3
	s_add_u32 s0, s12, s0
	s_addc_u32 s1, s13, s1
	s_load_dwordx2 s[0:1], s[0:1], 0x0
	s_waitcnt lgkmcnt(0)
	s_sub_u32 s36, s0, s8
	s_subb_u32 s37, s1, s9
	v_cmp_gt_i64_e32 vcc, s[36:37], v[0:1]
	s_and_saveexec_b64 s[38:39], vcc
	s_cbranch_execz .LBB98_67
; %bb.53:
	s_add_u32 s40, s22, -1
	s_addc_u32 s41, s23, -1
	s_add_u32 s2, s22, -2
	s_addc_u32 s3, s23, -1
	s_cmp_lg_u64 s[20:21], s[2:3]
	s_cselect_b64 s[2:3], -1, 0
	s_sub_u32 s42, s0, s28
	v_cndmask_b32_e64 v2, 0, 1, s[2:3]
	s_subb_u32 s43, s1, 0
	s_mov_b64 s[44:45], 0
	v_cmp_ne_u32_e64 s[0:1], 1, v2
	v_mov_b32_e32 v3, 0
	v_mov_b32_e32 v17, 0x2000
	s_mov_b64 s[46:47], 0
	s_branch .LBB98_56
.LBB98_54:                              ;   in Loop: Header=BB98_56 Depth=1
	s_or_b64 exec, exec, s[2:3]
.LBB98_55:                              ;   in Loop: Header=BB98_56 Depth=1
	s_or_b64 exec, exec, s[48:49]
	v_lshl_add_u64 v[8:9], v[8:9], 3, s[18:19]
	global_load_dwordx2 v[8:9], v[8:9], off
	s_add_u32 s46, s46, 0x100
	s_addc_u32 s47, s47, 0
	v_lshlrev_b32_e32 v2, 3, v6
	v_lshl_add_u64 v[6:7], s[46:47], 0, v[0:1]
	v_cmp_le_i64_e32 vcc, s[36:37], v[6:7]
	s_or_b64 s[44:45], vcc, s[44:45]
	s_waitcnt vmcnt(0) lgkmcnt(0)
	v_mul_f64 v[6:7], v[8:9], v[10:11]
	ds_write_b64 v2, v[6:7]
	s_andn2_b64 exec, exec, s[44:45]
	s_cbranch_execz .LBB98_67
.LBB98_56:                              ; =>This Loop Header: Depth=1
                                        ;     Child Loop BB98_58 Depth 2
	v_lshl_add_u64 v[10:11], s[46:47], 0, v[4:5]
	s_and_b64 vcc, exec, s[0:1]
	v_mov_b64_e32 v[12:13], s[20:21]
	v_mov_b64_e32 v[14:15], s[40:41]
	s_cbranch_vccnz .LBB98_60
; %bb.57:                               ;   in Loop: Header=BB98_56 Depth=1
	s_mov_b64 s[48:49], 0
	v_mov_b64_e32 v[12:13], s[20:21]
	v_mov_b64_e32 v[14:15], s[40:41]
.LBB98_58:                              ;   Parent Loop BB98_56 Depth=1
                                        ; =>  This Inner Loop Header: Depth=2
	v_lshl_add_u64 v[6:7], v[14:15], 0, v[12:13]
	v_lshrrev_b32_e32 v2, 31, v7
	v_lshl_add_u64 v[6:7], v[6:7], 0, v[2:3]
	v_ashrrev_i64 v[6:7], 1, v[6:7]
	v_lshl_add_u64 v[8:9], v[6:7], 3, s[12:13]
	global_load_dwordx2 v[8:9], v[8:9], off
	s_waitcnt vmcnt(0)
	v_subrev_co_u32_e32 v8, vcc, s28, v8
	s_nop 1
	v_subbrev_co_u32_e32 v9, vcc, 0, v9, vcc
	v_cmp_lt_i64_e32 vcc, v[10:11], v[8:9]
	s_nop 1
	v_cndmask_b32_e32 v15, v15, v7, vcc
	v_cndmask_b32_e32 v14, v14, v6, vcc
	;; [unrolled: 1-line block ×4, first 2 shown]
	v_lshl_add_u64 v[6:7], v[14:15], 0, -1
	v_cmp_ge_i64_e32 vcc, v[12:13], v[14:15]
	v_cmp_eq_u64_e64 s[2:3], v[12:13], v[6:7]
	s_or_b64 s[2:3], vcc, s[2:3]
	s_and_b64 s[2:3], exec, s[2:3]
	s_or_b64 s[48:49], s[2:3], s[48:49]
	s_andn2_b64 exec, exec, s[48:49]
	s_cbranch_execnz .LBB98_58
; %bb.59:                               ;   in Loop: Header=BB98_56 Depth=1
	s_or_b64 exec, exec, s[48:49]
.LBB98_60:                              ;   in Loop: Header=BB98_56 Depth=1
	v_lshl_add_u64 v[6:7], v[14:15], 3, s[12:13]
	global_load_dwordx2 v[8:9], v[6:7], off
	v_lshl_add_u64 v[6:7], v[10:11], 3, s[14:15]
	global_load_dwordx2 v[18:19], v[6:7], off
	v_lshl_add_u64 v[6:7], s[46:47], 0, v[0:1]
	v_cmp_le_i64_e32 vcc, s[42:43], v[10:11]
	v_lshlrev_b32_e32 v2, 3, v6
	s_waitcnt vmcnt(1)
	v_subrev_co_u32_e64 v20, s[2:3], s28, v8
	s_nop 1
	v_subbrev_co_u32_e64 v21, s[2:3], 0, v9, s[2:3]
	s_waitcnt vmcnt(0)
	v_subrev_co_u32_e64 v8, s[2:3], s28, v18
	s_nop 1
	v_subbrev_co_u32_e64 v9, s[2:3], 0, v19, s[2:3]
	v_cmp_lt_i64_e64 s[2:3], v[10:11], v[20:21]
                                        ; implicit-def: $vgpr10_vgpr11
	s_nop 1
	v_cndmask_b32_e64 v13, v15, v13, s[2:3]
	v_cndmask_b32_e64 v12, v14, v12, s[2:3]
	v_cmp_eq_u64_e64 s[2:3], v[8:9], v[12:13]
	s_or_b64 s[2:3], s[2:3], vcc
	s_and_saveexec_b64 s[48:49], s[2:3]
	s_xor_b64 s[2:3], exec, s[48:49]
; %bb.61:                               ;   in Loop: Header=BB98_56 Depth=1
	ds_read_b64 v[10:11], v2
                                        ; implicit-def: $vgpr2
                                        ; implicit-def: $vgpr12_vgpr13
; %bb.62:                               ;   in Loop: Header=BB98_56 Depth=1
	s_andn2_saveexec_b64 s[48:49], s[2:3]
	s_cbranch_execz .LBB98_55
; %bb.63:                               ;   in Loop: Header=BB98_56 Depth=1
	v_cmp_gt_i64_e32 vcc, s[4:5], v[8:9]
	v_cmp_le_i64_e64 s[2:3], s[22:23], v[8:9]
	s_or_b64 s[2:3], vcc, s[2:3]
	v_lshl_add_u64 v[12:13], v[12:13], 3, s[18:19]
                                        ; implicit-def: $vgpr10_vgpr11
	s_and_saveexec_b64 s[50:51], s[2:3]
	s_xor_b64 s[2:3], exec, s[50:51]
	s_cbranch_execz .LBB98_65
; %bb.64:                               ;   in Loop: Header=BB98_56 Depth=1
	global_load_dwordx2 v[12:13], v[12:13], off
	s_waitcnt lgkmcnt(0)
	ds_read_b64 v[10:11], v2
	v_lshl_add_u64 v[14:15], v[8:9], 3, s[24:25]
                                        ; implicit-def: $vgpr2
	s_waitcnt vmcnt(0) lgkmcnt(0)
	v_mul_f64 v[12:13], v[10:11], v[12:13]
	global_atomic_add_f64 v[14:15], v[12:13], off
                                        ; implicit-def: $vgpr12_vgpr13
.LBB98_65:                              ;   in Loop: Header=BB98_56 Depth=1
	s_andn2_saveexec_b64 s[2:3], s[2:3]
	s_cbranch_execz .LBB98_54
; %bb.66:                               ;   in Loop: Header=BB98_56 Depth=1
	global_load_dwordx2 v[12:13], v[12:13], off
	s_waitcnt lgkmcnt(0)
	ds_read_b64 v[10:11], v2
	v_subrev_u32_e32 v2, s4, v8
	v_lshl_add_u32 v2, v2, 3, v17
	s_waitcnt vmcnt(0) lgkmcnt(0)
	v_mul_f64 v[12:13], v[10:11], v[12:13]
	ds_add_f64 v2, v[12:13]
	s_branch .LBB98_54
.LBB98_67:
	s_or_b64 exec, exec, s[38:39]
                                        ; implicit-def: $vgpr2_vgpr3
                                        ; implicit-def: $vgpr4_vgpr5
.LBB98_68:
	s_andn2_saveexec_b64 s[16:17], s[16:17]
	s_cbranch_execz .LBB98_110
; %bb.69:
	s_add_u32 s36, s22, -1
	s_addc_u32 s37, s23, -1
	s_add_u32 s0, s22, -2
	s_addc_u32 s1, s23, -1
	s_cmp_lg_u64 s[20:21], s[0:1]
	s_cselect_b64 s[2:3], -1, 0
	s_cmp_eq_u64 s[20:21], s[0:1]
	v_mov_b64_e32 v[8:9], s[20:21]
	v_mov_b64_e32 v[10:11], s[36:37]
	s_cbranch_scc1 .LBB98_73
; %bb.70:
	s_mov_b64 s[38:39], 0
	v_mov_b64_e32 v[8:9], s[20:21]
	v_mov_b64_e32 v[10:11], s[36:37]
	v_mov_b32_e32 v7, 0
.LBB98_71:                              ; =>This Inner Loop Header: Depth=1
	v_lshl_add_u64 v[12:13], v[10:11], 0, v[8:9]
	v_lshrrev_b32_e32 v6, 31, v13
	v_lshl_add_u64 v[12:13], v[12:13], 0, v[6:7]
	v_ashrrev_i64 v[12:13], 1, v[12:13]
	v_lshl_add_u64 v[14:15], v[12:13], 3, s[12:13]
	global_load_dwordx2 v[14:15], v[14:15], off
	s_waitcnt vmcnt(0)
	v_subrev_co_u32_e32 v14, vcc, s28, v14
	s_nop 1
	v_subbrev_co_u32_e32 v15, vcc, 0, v15, vcc
	v_cmp_lt_i64_e32 vcc, v[4:5], v[14:15]
	s_nop 1
	v_cndmask_b32_e32 v11, v11, v13, vcc
	v_cndmask_b32_e32 v10, v10, v12, vcc
	;; [unrolled: 1-line block ×4, first 2 shown]
	v_lshl_add_u64 v[12:13], v[10:11], 0, -1
	v_cmp_ge_i64_e32 vcc, v[8:9], v[10:11]
	v_cmp_eq_u64_e64 s[0:1], v[8:9], v[12:13]
	s_or_b64 s[0:1], vcc, s[0:1]
	s_and_b64 s[0:1], exec, s[0:1]
	s_or_b64 s[38:39], s[0:1], s[38:39]
	s_andn2_b64 exec, exec, s[38:39]
	s_cbranch_execnz .LBB98_71
; %bb.72:
	s_or_b64 exec, exec, s[38:39]
.LBB98_73:
	v_lshl_add_u64 v[6:7], v[10:11], 3, s[12:13]
	global_load_dwordx2 v[12:13], v[6:7], off
	v_lshl_add_u64 v[6:7], v[4:5], 3, s[14:15]
	global_load_dwordx2 v[14:15], v[6:7], off
	s_lshl_b64 s[0:1], s[22:23], 3
	s_add_u32 s14, s12, s0
	s_addc_u32 s15, s13, s1
	s_waitcnt vmcnt(1)
	v_subrev_co_u32_e32 v12, vcc, s28, v12
	s_nop 1
	v_subbrev_co_u32_e32 v13, vcc, 0, v13, vcc
	v_cmp_lt_i64_e32 vcc, v[4:5], v[12:13]
	s_nop 1
	v_cndmask_b32_e32 v11, v11, v9, vcc
	v_cndmask_b32_e32 v10, v10, v8, vcc
	s_waitcnt vmcnt(0)
	v_subrev_co_u32_e32 v8, vcc, s28, v14
	s_nop 1
	v_subbrev_co_u32_e32 v9, vcc, 0, v15, vcc
	v_cmp_ne_u64_e32 vcc, v[8:9], v[10:11]
	s_and_saveexec_b64 s[38:39], vcc
	s_cbranch_execz .LBB98_79
; %bb.74:
	s_load_dwordx2 s[0:1], s[14:15], 0x0
	s_waitcnt lgkmcnt(0)
	s_sub_u32 s0, s0, s28
	s_subb_u32 s1, s1, 0
	v_cmp_gt_i64_e32 vcc, s[0:1], v[4:5]
	s_and_b64 exec, exec, vcc
	s_cbranch_execz .LBB98_79
; %bb.75:
	v_cmp_gt_i64_e32 vcc, s[4:5], v[8:9]
	v_cmp_le_i64_e64 s[0:1], s[22:23], v[8:9]
	s_or_b64 s[0:1], vcc, s[0:1]
	v_lshl_add_u64 v[10:11], v[10:11], 3, s[18:19]
	s_and_saveexec_b64 s[40:41], s[0:1]
	s_xor_b64 s[0:1], exec, s[40:41]
	s_cbranch_execz .LBB98_77
; %bb.76:
	global_load_dwordx2 v[10:11], v[10:11], off
	ds_read_b64 v[12:13], v16
	v_lshl_add_u64 v[14:15], v[8:9], 3, s[24:25]
	s_waitcnt vmcnt(0) lgkmcnt(0)
	v_mul_f64 v[10:11], v[12:13], v[10:11]
	global_atomic_add_f64 v[14:15], v[10:11], off
                                        ; implicit-def: $vgpr10_vgpr11
.LBB98_77:
	s_andn2_saveexec_b64 s[0:1], s[0:1]
	s_cbranch_execz .LBB98_79
; %bb.78:
	global_load_dwordx2 v[10:11], v[10:11], off
	ds_read_b64 v[12:13], v16
	v_subrev_u32_e32 v14, s4, v8
	v_mov_b32_e32 v15, 0x2000
	v_lshl_add_u32 v14, v14, 3, v15
	s_waitcnt vmcnt(0) lgkmcnt(0)
	v_mul_f64 v[10:11], v[12:13], v[10:11]
	ds_add_f64 v14, v[10:11]
.LBB98_79:
	s_or_b64 exec, exec, s[38:39]
	v_lshl_add_u64 v[8:9], v[8:9], 3, s[18:19]
	global_load_dwordx2 v[12:13], v[8:9], off
	ds_read_b64 v[14:15], v16
	s_mov_b64 s[0:1], 0x100
	v_cndmask_b32_e64 v17, 0, 1, s[2:3]
	v_mov_b64_e32 v[10:11], s[20:21]
	v_lshl_add_u64 v[8:9], v[4:5], 0, s[0:1]
	v_cmp_ne_u32_e64 s[0:1], 1, v17
	s_andn2_b64 vcc, exec, s[2:3]
	s_waitcnt vmcnt(0) lgkmcnt(0)
	v_mul_f64 v[12:13], v[12:13], v[14:15]
	ds_write_b64 v16, v[12:13]
	v_mov_b64_e32 v[12:13], s[36:37]
	s_cbranch_vccnz .LBB98_83
; %bb.80:
	s_mov_b64 s[38:39], 0
	v_mov_b64_e32 v[10:11], s[20:21]
	v_mov_b64_e32 v[12:13], s[36:37]
	v_mov_b32_e32 v15, 0
.LBB98_81:                              ; =>This Inner Loop Header: Depth=1
	v_lshl_add_u64 v[18:19], v[12:13], 0, v[10:11]
	v_lshrrev_b32_e32 v14, 31, v19
	v_lshl_add_u64 v[18:19], v[18:19], 0, v[14:15]
	v_ashrrev_i64 v[18:19], 1, v[18:19]
	v_lshl_add_u64 v[20:21], v[18:19], 3, s[12:13]
	global_load_dwordx2 v[20:21], v[20:21], off
	s_waitcnt vmcnt(0)
	v_subrev_co_u32_e32 v20, vcc, s28, v20
	s_nop 1
	v_subbrev_co_u32_e32 v21, vcc, 0, v21, vcc
	v_cmp_lt_i64_e32 vcc, v[8:9], v[20:21]
	s_nop 1
	v_cndmask_b32_e32 v13, v13, v19, vcc
	v_cndmask_b32_e32 v12, v12, v18, vcc
	;; [unrolled: 1-line block ×4, first 2 shown]
	v_lshl_add_u64 v[18:19], v[12:13], 0, -1
	v_cmp_ge_i64_e32 vcc, v[10:11], v[12:13]
	v_cmp_eq_u64_e64 s[2:3], v[10:11], v[18:19]
	s_or_b64 s[2:3], vcc, s[2:3]
	s_and_b64 s[2:3], exec, s[2:3]
	s_or_b64 s[38:39], s[2:3], s[38:39]
	s_andn2_b64 exec, exec, s[38:39]
	s_cbranch_execnz .LBB98_81
; %bb.82:
	s_or_b64 exec, exec, s[38:39]
.LBB98_83:
	v_lshl_add_u64 v[14:15], v[12:13], 3, s[12:13]
	global_load_dwordx2 v[18:19], v[14:15], off
	global_load_dwordx2 v[20:21], v[6:7], off offset:2048
	s_waitcnt vmcnt(1)
	v_subrev_co_u32_e32 v14, vcc, s28, v18
	s_nop 1
	v_subbrev_co_u32_e32 v15, vcc, 0, v19, vcc
	v_cmp_lt_i64_e32 vcc, v[8:9], v[14:15]
	s_nop 1
	v_cndmask_b32_e32 v13, v13, v11, vcc
	v_cndmask_b32_e32 v12, v12, v10, vcc
	s_waitcnt vmcnt(0)
	v_subrev_co_u32_e32 v10, vcc, s28, v20
	s_nop 1
	v_subbrev_co_u32_e32 v11, vcc, 0, v21, vcc
	v_cmp_ne_u64_e32 vcc, v[10:11], v[12:13]
	s_and_saveexec_b64 s[38:39], vcc
	s_cbranch_execz .LBB98_89
; %bb.84:
	s_load_dwordx2 s[2:3], s[14:15], 0x0
	s_waitcnt lgkmcnt(0)
	s_sub_u32 s2, s2, s28
	s_subb_u32 s3, s3, 0
	v_cmp_gt_i64_e32 vcc, s[2:3], v[8:9]
	s_and_b64 exec, exec, vcc
	s_cbranch_execz .LBB98_89
; %bb.85:
	v_cmp_gt_i64_e32 vcc, s[4:5], v[10:11]
	v_cmp_le_i64_e64 s[2:3], s[22:23], v[10:11]
	s_or_b64 s[2:3], vcc, s[2:3]
	v_lshl_add_u64 v[8:9], v[12:13], 3, s[18:19]
	s_and_saveexec_b64 s[40:41], s[2:3]
	s_xor_b64 s[2:3], exec, s[40:41]
	s_cbranch_execz .LBB98_87
; %bb.86:
	global_load_dwordx2 v[8:9], v[8:9], off
	ds_read_b64 v[12:13], v16 offset:2048
	v_lshl_add_u64 v[14:15], v[10:11], 3, s[24:25]
	s_waitcnt vmcnt(0) lgkmcnt(0)
	v_mul_f64 v[8:9], v[12:13], v[8:9]
	global_atomic_add_f64 v[14:15], v[8:9], off
                                        ; implicit-def: $vgpr8_vgpr9
.LBB98_87:
	s_andn2_saveexec_b64 s[2:3], s[2:3]
	s_cbranch_execz .LBB98_89
; %bb.88:
	global_load_dwordx2 v[8:9], v[8:9], off
	ds_read_b64 v[12:13], v16 offset:2048
	v_subrev_u32_e32 v14, s4, v10
	v_mov_b32_e32 v15, 0x2000
	v_lshl_add_u32 v14, v14, 3, v15
	s_waitcnt vmcnt(0) lgkmcnt(0)
	v_mul_f64 v[8:9], v[12:13], v[8:9]
	ds_add_f64 v14, v[8:9]
.LBB98_89:
	s_or_b64 exec, exec, s[38:39]
	v_lshl_add_u64 v[8:9], v[10:11], 3, s[18:19]
	global_load_dwordx2 v[10:11], v[8:9], off
	ds_read_b64 v[12:13], v16 offset:2048
	s_mov_b64 s[2:3], 0x200
	s_and_b64 vcc, exec, s[0:1]
	v_mov_b64_e32 v[8:9], s[20:21]
	v_lshl_add_u64 v[4:5], v[4:5], 0, s[2:3]
	s_waitcnt vmcnt(0) lgkmcnt(0)
	v_mul_f64 v[10:11], v[10:11], v[12:13]
	ds_write_b64 v16, v[10:11] offset:2048
	v_mov_b64_e32 v[10:11], s[36:37]
	s_cbranch_vccnz .LBB98_93
; %bb.90:
	s_mov_b64 s[38:39], 0
	v_mov_b64_e32 v[8:9], s[20:21]
	v_mov_b64_e32 v[10:11], s[36:37]
	v_mov_b32_e32 v13, 0
.LBB98_91:                              ; =>This Inner Loop Header: Depth=1
	v_lshl_add_u64 v[14:15], v[10:11], 0, v[8:9]
	v_lshrrev_b32_e32 v12, 31, v15
	v_lshl_add_u64 v[14:15], v[14:15], 0, v[12:13]
	v_ashrrev_i64 v[14:15], 1, v[14:15]
	v_lshl_add_u64 v[18:19], v[14:15], 3, s[12:13]
	global_load_dwordx2 v[18:19], v[18:19], off
	s_waitcnt vmcnt(0)
	v_subrev_co_u32_e32 v18, vcc, s28, v18
	s_nop 1
	v_subbrev_co_u32_e32 v19, vcc, 0, v19, vcc
	v_cmp_lt_i64_e32 vcc, v[4:5], v[18:19]
	s_nop 1
	v_cndmask_b32_e32 v11, v11, v15, vcc
	v_cndmask_b32_e32 v10, v10, v14, vcc
	;; [unrolled: 1-line block ×4, first 2 shown]
	v_lshl_add_u64 v[14:15], v[10:11], 0, -1
	v_cmp_ge_i64_e32 vcc, v[8:9], v[10:11]
	v_cmp_eq_u64_e64 s[2:3], v[8:9], v[14:15]
	s_or_b64 s[2:3], vcc, s[2:3]
	s_and_b64 s[2:3], exec, s[2:3]
	s_or_b64 s[38:39], s[2:3], s[38:39]
	s_andn2_b64 exec, exec, s[38:39]
	s_cbranch_execnz .LBB98_91
; %bb.92:
	s_or_b64 exec, exec, s[38:39]
.LBB98_93:
	v_lshl_add_u64 v[12:13], v[10:11], 3, s[12:13]
	global_load_dwordx2 v[12:13], v[12:13], off
	v_add_co_u32_e32 v14, vcc, 0x1000, v6
	s_nop 1
	v_addc_co_u32_e32 v15, vcc, 0, v7, vcc
	global_load_dwordx2 v[14:15], v[14:15], off
	s_waitcnt vmcnt(1)
	v_subrev_co_u32_e32 v12, vcc, s28, v12
	s_nop 1
	v_subbrev_co_u32_e32 v13, vcc, 0, v13, vcc
	v_cmp_lt_i64_e32 vcc, v[4:5], v[12:13]
	s_nop 1
	v_cndmask_b32_e32 v11, v11, v9, vcc
	v_cndmask_b32_e32 v10, v10, v8, vcc
	s_waitcnt vmcnt(0)
	v_subrev_co_u32_e32 v8, vcc, s28, v14
	s_nop 1
	v_subbrev_co_u32_e32 v9, vcc, 0, v15, vcc
	v_cmp_ne_u64_e32 vcc, v[8:9], v[10:11]
	s_and_saveexec_b64 s[38:39], vcc
	s_cbranch_execz .LBB98_99
; %bb.94:
	s_load_dwordx2 s[2:3], s[14:15], 0x0
	s_waitcnt lgkmcnt(0)
	s_sub_u32 s2, s2, s28
	s_subb_u32 s3, s3, 0
	v_cmp_gt_i64_e32 vcc, s[2:3], v[4:5]
	s_and_b64 exec, exec, vcc
	s_cbranch_execz .LBB98_99
; %bb.95:
	v_cmp_gt_i64_e32 vcc, s[4:5], v[8:9]
	v_cmp_le_i64_e64 s[2:3], s[22:23], v[8:9]
	s_or_b64 s[2:3], vcc, s[2:3]
	v_lshl_add_u64 v[4:5], v[10:11], 3, s[18:19]
	s_and_saveexec_b64 s[40:41], s[2:3]
	s_xor_b64 s[2:3], exec, s[40:41]
	s_cbranch_execz .LBB98_97
; %bb.96:
	global_load_dwordx2 v[4:5], v[4:5], off
	ds_read_b64 v[10:11], v16 offset:4096
	v_lshl_add_u64 v[12:13], v[8:9], 3, s[24:25]
	s_waitcnt vmcnt(0) lgkmcnt(0)
	v_mul_f64 v[4:5], v[10:11], v[4:5]
	global_atomic_add_f64 v[12:13], v[4:5], off
                                        ; implicit-def: $vgpr4_vgpr5
.LBB98_97:
	s_andn2_saveexec_b64 s[2:3], s[2:3]
	s_cbranch_execz .LBB98_99
; %bb.98:
	global_load_dwordx2 v[4:5], v[4:5], off
	ds_read_b64 v[10:11], v16 offset:4096
	v_subrev_u32_e32 v12, s4, v8
	v_mov_b32_e32 v13, 0x2000
	v_lshl_add_u32 v12, v12, 3, v13
	s_waitcnt vmcnt(0) lgkmcnt(0)
	v_mul_f64 v[4:5], v[10:11], v[4:5]
	ds_add_f64 v12, v[4:5]
.LBB98_99:
	s_or_b64 exec, exec, s[38:39]
	v_lshl_add_u64 v[4:5], v[8:9], 3, s[18:19]
	global_load_dwordx2 v[8:9], v[4:5], off
	ds_read_b64 v[10:11], v16 offset:4096
	s_and_b64 vcc, exec, s[0:1]
	v_mov_b64_e32 v[4:5], s[20:21]
	s_waitcnt vmcnt(0) lgkmcnt(0)
	v_mul_f64 v[8:9], v[8:9], v[10:11]
	ds_write_b64 v16, v[8:9] offset:4096
	v_mov_b64_e32 v[8:9], s[36:37]
	s_cbranch_vccnz .LBB98_103
; %bb.100:
	s_mov_b64 s[2:3], 0
	v_mov_b64_e32 v[4:5], s[20:21]
	v_mov_b64_e32 v[8:9], s[36:37]
	v_mov_b32_e32 v11, 0
.LBB98_101:                             ; =>This Inner Loop Header: Depth=1
	v_lshl_add_u64 v[12:13], v[8:9], 0, v[4:5]
	v_lshrrev_b32_e32 v10, 31, v13
	v_lshl_add_u64 v[12:13], v[12:13], 0, v[10:11]
	v_ashrrev_i64 v[12:13], 1, v[12:13]
	v_lshl_add_u64 v[14:15], v[12:13], 3, s[12:13]
	global_load_dwordx2 v[14:15], v[14:15], off
	s_waitcnt vmcnt(0)
	v_subrev_co_u32_e32 v14, vcc, s28, v14
	s_nop 1
	v_subbrev_co_u32_e32 v15, vcc, 0, v15, vcc
	v_cmp_lt_i64_e32 vcc, v[2:3], v[14:15]
	s_nop 1
	v_cndmask_b32_e32 v9, v9, v13, vcc
	v_cndmask_b32_e32 v8, v8, v12, vcc
	;; [unrolled: 1-line block ×4, first 2 shown]
	v_lshl_add_u64 v[12:13], v[8:9], 0, -1
	v_cmp_ge_i64_e32 vcc, v[4:5], v[8:9]
	v_cmp_eq_u64_e64 s[0:1], v[4:5], v[12:13]
	s_or_b64 s[0:1], vcc, s[0:1]
	s_and_b64 s[0:1], exec, s[0:1]
	s_or_b64 s[2:3], s[0:1], s[2:3]
	s_andn2_b64 exec, exec, s[2:3]
	s_cbranch_execnz .LBB98_101
; %bb.102:
	s_or_b64 exec, exec, s[2:3]
.LBB98_103:
	v_lshl_add_u64 v[10:11], v[8:9], 3, s[12:13]
	global_load_dwordx2 v[10:11], v[10:11], off
	v_add_co_u32_e32 v6, vcc, 0x1000, v6
	s_nop 1
	v_addc_co_u32_e32 v7, vcc, 0, v7, vcc
	global_load_dwordx2 v[12:13], v[6:7], off offset:2048
	s_waitcnt vmcnt(1)
	v_subrev_co_u32_e32 v6, vcc, s28, v10
	s_nop 1
	v_subbrev_co_u32_e32 v7, vcc, 0, v11, vcc
	v_cmp_lt_i64_e32 vcc, v[2:3], v[6:7]
	s_nop 1
	v_cndmask_b32_e32 v7, v9, v5, vcc
	v_cndmask_b32_e32 v6, v8, v4, vcc
	s_waitcnt vmcnt(0)
	v_subrev_co_u32_e32 v4, vcc, s28, v12
	s_nop 1
	v_subbrev_co_u32_e32 v5, vcc, 0, v13, vcc
	v_cmp_ne_u64_e32 vcc, v[4:5], v[6:7]
	s_and_saveexec_b64 s[2:3], vcc
	s_cbranch_execz .LBB98_109
; %bb.104:
	s_load_dwordx2 s[0:1], s[14:15], 0x0
	s_waitcnt lgkmcnt(0)
	s_sub_u32 s0, s0, s28
	s_subb_u32 s1, s1, 0
	v_cmp_gt_i64_e32 vcc, s[0:1], v[2:3]
	s_and_b64 exec, exec, vcc
	s_cbranch_execz .LBB98_109
; %bb.105:
	v_cmp_gt_i64_e32 vcc, s[4:5], v[4:5]
	v_cmp_le_i64_e64 s[0:1], s[22:23], v[4:5]
	s_or_b64 s[0:1], vcc, s[0:1]
	v_lshl_add_u64 v[2:3], v[6:7], 3, s[18:19]
	s_and_saveexec_b64 s[14:15], s[0:1]
	s_xor_b64 s[0:1], exec, s[14:15]
	s_cbranch_execz .LBB98_107
; %bb.106:
	global_load_dwordx2 v[2:3], v[2:3], off
	ds_read_b64 v[6:7], v16 offset:6144
	v_lshl_add_u64 v[8:9], v[4:5], 3, s[24:25]
	s_waitcnt vmcnt(0) lgkmcnt(0)
	v_mul_f64 v[2:3], v[6:7], v[2:3]
	global_atomic_add_f64 v[8:9], v[2:3], off
                                        ; implicit-def: $vgpr2_vgpr3
.LBB98_107:
	s_andn2_saveexec_b64 s[0:1], s[0:1]
	s_cbranch_execz .LBB98_109
; %bb.108:
	global_load_dwordx2 v[2:3], v[2:3], off
	ds_read_b64 v[6:7], v16 offset:6144
	v_subrev_u32_e32 v8, s4, v4
	v_mov_b32_e32 v9, 0x2000
	v_lshl_add_u32 v8, v8, 3, v9
	s_waitcnt vmcnt(0) lgkmcnt(0)
	v_mul_f64 v[2:3], v[6:7], v[2:3]
	ds_add_f64 v8, v[2:3]
.LBB98_109:
	s_or_b64 exec, exec, s[2:3]
	v_lshl_add_u64 v[2:3], v[4:5], 3, s[18:19]
	global_load_dwordx2 v[2:3], v[2:3], off
	ds_read_b64 v[4:5], v16 offset:6144
	s_waitcnt vmcnt(0) lgkmcnt(0)
	v_mul_f64 v[2:3], v[2:3], v[4:5]
	ds_write_b64 v16, v[2:3] offset:6144
.LBB98_110:
	s_or_b64 exec, exec, s[16:17]
	v_mov_b64_e32 v[2:3], s[6:7]
	v_cmp_lt_i64_e32 vcc, s[22:23], v[2:3]
	s_and_b64 s[0:1], vcc, exec
	s_cselect_b32 s16, s22, s6
	s_cselect_b32 s0, s23, s7
	s_sub_u32 s2, s16, s26
	s_subb_u32 s3, s0, s27
	v_cmp_gt_i64_e32 vcc, s[2:3], v[0:1]
	s_waitcnt lgkmcnt(0)
	s_barrier
	s_and_saveexec_b64 s[0:1], vcc
	s_cbranch_execz .LBB98_113
; %bb.111:
	v_mov_b64_e32 v[2:3], s[6:7]
	v_cmp_gt_i64_e32 vcc, s[22:23], v[2:3]
	s_and_b64 s[4:5], vcc, exec
	s_cselect_b32 s5, s23, s7
	s_cselect_b32 s4, s22, s6
	v_lshlrev_b32_e32 v2, 3, v0
	v_mov_b32_e32 v3, 0
	v_lshl_add_u64 v[2:3], s[4:5], 3, v[2:3]
	s_lshl_b64 s[4:5], s[6:7], 3
	v_mov_b32_e32 v4, s5
	v_subrev_co_u32_e32 v2, vcc, s4, v2
	s_mov_b64 s[4:5], 0
	s_nop 0
	v_subb_co_u32_e32 v3, vcc, v3, v4, vcc
	v_mov_b32_e32 v4, 0x2000
	v_lshl_add_u64 v[2:3], s[24:25], 0, v[2:3]
	v_lshl_add_u32 v6, v0, 3, v4
	s_mov_b64 s[6:7], 0x100
	s_mov_b64 s[14:15], 0x800
	v_mov_b64_e32 v[4:5], v[0:1]
.LBB98_112:                             ; =>This Inner Loop Header: Depth=1
	ds_read_b64 v[8:9], v6
	v_lshl_add_u64 v[4:5], v[4:5], 0, s[6:7]
	v_cmp_le_i64_e32 vcc, s[2:3], v[4:5]
	v_add_u32_e32 v6, 0x800, v6
	s_or_b64 s[4:5], vcc, s[4:5]
	s_waitcnt lgkmcnt(0)
	global_atomic_add_f64 v[2:3], v[8:9], off
	v_lshl_add_u64 v[2:3], v[2:3], 0, s[14:15]
	s_andn2_b64 exec, exec, s[4:5]
	s_cbranch_execnz .LBB98_112
.LBB98_113:
	s_or_b64 exec, exec, s[0:1]
	s_add_i32 s0, s34, -1
	s_ashr_i32 s1, s0, 1
	s_or_b32 s0, s1, s0
	s_ashr_i32 s1, s0, 2
	s_or_b32 s0, s1, s0
	;; [unrolled: 2-line block ×5, first 2 shown]
	s_add_i32 s0, s0, 1
	s_ashr_i32 s3, s0, 1
	v_lshl_add_u64 v[6:7], s[20:21], 0, v[0:1]
	s_cmp_gt_i32 s3, 1
	s_mov_b64 s[0:1], -1
	s_barrier
	s_cbranch_scc1 .LBB98_122
; %bb.114:
	v_cmp_gt_i64_e32 vcc, s[22:23], v[6:7]
	s_and_saveexec_b64 s[0:1], vcc
	s_cbranch_execz .LBB98_121
; %bb.115:
	s_sub_i32 s4, s16, s22
	s_lshl_b32 s4, s4, 3
	s_add_i32 s16, s4, 0x2000
	s_lshl_b32 s4, s8, 3
	s_sub_i32 s17, 0, s4
	s_mov_b64 s[4:5], 0
	v_mov_b64_e32 v[8:9], v[6:7]
	s_branch .LBB98_117
.LBB98_116:                             ;   in Loop: Header=BB98_117 Depth=1
	s_or_b64 exec, exec, s[6:7]
	v_lshl_add_u32 v2, v8, 3, s16
	ds_read_b64 v[2:3], v2
	v_lshl_add_u64 v[4:5], v[8:9], 3, s[24:25]
	v_lshl_add_u64 v[8:9], v[8:9], 0, s[30:31]
	v_cmp_le_i64_e32 vcc, s[22:23], v[8:9]
	s_or_b64 s[4:5], vcc, s[4:5]
	s_waitcnt lgkmcnt(0)
	v_add_f64 v[2:3], v[10:11], v[2:3]
	global_atomic_add_f64 v[4:5], v[2:3], off
	s_andn2_b64 exec, exec, s[4:5]
	s_cbranch_execz .LBB98_121
.LBB98_117:                             ; =>This Loop Header: Depth=1
                                        ;     Child Loop BB98_119 Depth 2
	v_lshl_add_u64 v[2:3], v[8:9], 3, s[12:13]
	global_load_dwordx4 v[2:5], v[2:3], off
	v_mov_b64_e32 v[10:11], 0
	s_waitcnt vmcnt(0)
	v_cmp_lt_i64_e32 vcc, v[2:3], v[4:5]
	s_and_saveexec_b64 s[6:7], vcc
	s_cbranch_execz .LBB98_116
; %bb.118:                              ;   in Loop: Header=BB98_117 Depth=1
	v_mov_b32_e32 v10, s9
	v_subrev_co_u32_e32 v4, vcc, s8, v4
	s_mov_b64 s[14:15], 0
	s_nop 0
	v_subb_co_u32_e32 v5, vcc, v5, v10, vcc
	v_subrev_co_u32_e32 v12, vcc, s8, v2
	v_lshl_add_u32 v2, v2, 3, s17
	s_nop 0
	v_subb_co_u32_e32 v13, vcc, v3, v10, vcc
	v_mov_b64_e32 v[10:11], 0
.LBB98_119:                             ;   Parent Loop BB98_117 Depth=1
                                        ; =>  This Inner Loop Header: Depth=2
	ds_read_b64 v[14:15], v2
	v_lshl_add_u64 v[12:13], v[12:13], 0, 1
	v_cmp_ge_i64_e32 vcc, v[12:13], v[4:5]
	v_add_u32_e32 v2, 8, v2
	s_or_b64 s[14:15], vcc, s[14:15]
	s_waitcnt lgkmcnt(0)
	v_add_f64 v[10:11], v[10:11], v[14:15]
	s_andn2_b64 exec, exec, s[14:15]
	s_cbranch_execnz .LBB98_119
; %bb.120:                              ;   in Loop: Header=BB98_117 Depth=1
	s_or_b64 exec, exec, s[14:15]
	s_branch .LBB98_116
.LBB98_121:
	s_or_b64 exec, exec, s[0:1]
	s_mov_b64 s[0:1], 0
.LBB98_122:
	s_andn2_b64 vcc, exec, s[0:1]
	s_cbranch_vccnz .LBB98_139
; %bb.123:
	v_cvt_f32_u32_e32 v2, s3
	s_sub_i32 s12, 0, s3
	v_mov_b32_e32 v5, 0
	v_mov_b32_e32 v12, s9
	v_rcp_iflag_f32_e32 v2, v2
	s_nop 0
	v_mul_f32_e32 v2, 0x4f7ffffe, v2
	v_cvt_u32_f32_e32 v2, v2
	v_mul_lo_u32 v3, s12, v2
	v_mul_hi_u32 v3, v2, v3
	v_add_u32_e32 v2, v2, v3
	v_mul_hi_u32 v2, v0, v2
	v_mul_lo_u32 v3, v2, s3
	v_sub_u32_e32 v3, v0, v3
	v_add_u32_e32 v4, 1, v2
	v_cmp_le_u32_e32 vcc, s3, v3
	s_nop 1
	v_cndmask_b32_e32 v2, v2, v4, vcc
	v_subrev_u32_e32 v4, s3, v3
	v_cndmask_b32_e32 v3, v3, v4, vcc
	v_add_u32_e32 v4, 1, v2
	v_cmp_le_u32_e32 vcc, s3, v3
	s_nop 1
	v_cndmask_b32_e32 v4, v2, v4, vcc
	v_lshl_add_u64 v[2:3], v[4:5], 3, s[10:11]
	global_load_dwordx4 v[8:11], v[2:3], off
	v_mov_b32_e32 v3, s9
	s_waitcnt vmcnt(0)
	v_subrev_co_u32_e32 v2, vcc, s8, v8
	s_nop 1
	v_subb_co_u32_e32 v3, vcc, v9, v3, vcc
	v_subrev_co_u32_e32 v14, vcc, s8, v10
	v_mov_b32_e32 v10, v5
	s_nop 0
	v_subb_co_u32_e32 v15, vcc, v11, v12, vcc
	v_sub_co_u32_e32 v8, vcc, v14, v2
	s_nop 1
	v_subb_co_u32_e32 v9, vcc, v15, v3, vcc
	v_mov_b32_e32 v11, v9
	v_cmp_ne_u64_e32 vcc, 0, v[10:11]
                                        ; implicit-def: $vgpr10_vgpr11
	s_and_saveexec_b64 s[0:1], vcc
	s_xor_b64 s[4:5], exec, s[0:1]
	s_cbranch_execz .LBB98_125
; %bb.124:
	s_add_u32 s0, s3, 0
	s_addc_u32 s1, 0, 0
	s_xor_b64 s[6:7], s[0:1], 0
	v_cvt_f32_u32_e32 v10, s6
	v_cvt_f32_u32_e32 v11, s7
	s_sub_u32 s8, 0, s6
	s_subb_u32 s9, 0, s7
	v_ashrrev_i32_e32 v12, 31, v9
	v_fmamk_f32 v10, v11, 0x4f800000, v10
	v_rcp_f32_e32 v10, v10
	v_mov_b32_e32 v13, v12
	v_lshl_add_u64 v[8:9], v[8:9], 0, v[12:13]
	v_xor_b32_e32 v17, v8, v12
	v_mul_f32_e32 v10, 0x5f7ffffc, v10
	v_mul_f32_e32 v11, 0x2f800000, v10
	v_trunc_f32_e32 v11, v11
	v_fmamk_f32 v10, v11, 0xcf800000, v10
	v_cvt_u32_f32_e32 v11, v11
	v_cvt_u32_f32_e32 v10, v10
	v_xor_b32_e32 v13, v9, v12
	v_readfirstlane_b32 s10, v11
	v_readfirstlane_b32 s0, v10
	s_mul_i32 s1, s8, s10
	s_mul_hi_u32 s13, s8, s0
	s_mul_i32 s11, s9, s0
	s_add_i32 s1, s13, s1
	s_mul_i32 s14, s8, s0
	s_add_i32 s1, s1, s11
	s_mul_i32 s13, s0, s1
	s_mul_hi_u32 s15, s0, s14
	s_mul_hi_u32 s11, s0, s1
	s_add_u32 s13, s15, s13
	s_addc_u32 s11, 0, s11
	s_mul_hi_u32 s16, s10, s14
	s_mul_i32 s14, s10, s14
	s_add_u32 s13, s13, s14
	s_mul_hi_u32 s15, s10, s1
	s_addc_u32 s11, s11, s16
	s_addc_u32 s13, s15, 0
	s_mul_i32 s1, s10, s1
	s_add_u32 s1, s11, s1
	s_addc_u32 s11, 0, s13
	s_add_u32 s13, s0, s1
	s_cselect_b64 s[0:1], -1, 0
	s_cmp_lg_u64 s[0:1], 0
	s_addc_u32 s10, s10, s11
	s_mul_i32 s0, s8, s10
	s_mul_hi_u32 s1, s8, s13
	s_add_i32 s0, s1, s0
	s_mul_i32 s9, s9, s13
	s_add_i32 s0, s0, s9
	s_mul_i32 s8, s8, s13
	s_mul_hi_u32 s9, s10, s8
	s_mul_i32 s11, s10, s8
	s_mul_i32 s15, s13, s0
	s_mul_hi_u32 s8, s13, s8
	s_mul_hi_u32 s14, s13, s0
	s_add_u32 s8, s8, s15
	s_addc_u32 s14, 0, s14
	s_add_u32 s8, s8, s11
	s_mul_hi_u32 s1, s10, s0
	s_addc_u32 s8, s14, s9
	s_addc_u32 s1, s1, 0
	s_mul_i32 s0, s10, s0
	s_add_u32 s0, s8, s0
	s_addc_u32 s8, 0, s1
	s_add_u32 s9, s13, s0
	s_cselect_b64 s[0:1], -1, 0
	s_cmp_lg_u64 s[0:1], 0
	s_addc_u32 s8, s10, s8
	v_mad_u64_u32 v[8:9], s[0:1], v17, s8, 0
	v_mul_hi_u32 v10, v17, s9
	v_mov_b32_e32 v11, v5
	v_lshl_add_u64 v[8:9], v[10:11], 0, v[8:9]
	v_mad_u64_u32 v[18:19], s[0:1], v13, s9, 0
	v_add_co_u32_e32 v8, vcc, v8, v18
	v_mad_u64_u32 v[10:11], s[0:1], v13, s8, 0
	s_nop 0
	v_addc_co_u32_e32 v8, vcc, v9, v19, vcc
	v_mov_b32_e32 v9, v5
	s_nop 0
	v_addc_co_u32_e32 v11, vcc, 0, v11, vcc
	v_lshl_add_u64 v[8:9], v[8:9], 0, v[10:11]
	v_mul_lo_u32 v18, s7, v8
	v_mul_lo_u32 v19, s6, v9
	v_mad_u64_u32 v[10:11], s[0:1], s6, v8, 0
	v_add3_u32 v20, v11, v19, v18
	v_sub_u32_e32 v11, v13, v20
	v_mov_b32_e32 v18, s7
	v_sub_co_u32_e32 v17, vcc, v17, v10
	s_nop 1
	v_subb_co_u32_e64 v10, s[0:1], v11, v18, vcc
	v_subrev_co_u32_e64 v11, s[0:1], s6, v17
	v_subb_co_u32_e32 v13, vcc, v13, v20, vcc
	s_nop 0
	v_subbrev_co_u32_e64 v10, s[0:1], 0, v10, s[0:1]
	v_cmp_le_u32_e64 s[0:1], s7, v10
	v_cmp_le_u32_e32 vcc, s7, v13
	s_nop 0
	v_cndmask_b32_e64 v18, 0, -1, s[0:1]
	v_cmp_le_u32_e64 s[0:1], s6, v11
	s_nop 1
	v_cndmask_b32_e64 v11, 0, -1, s[0:1]
	v_cmp_eq_u32_e64 s[0:1], s7, v10
	s_nop 1
	v_cndmask_b32_e64 v21, v18, v11, s[0:1]
	v_lshl_add_u64 v[10:11], v[8:9], 0, 2
	v_lshl_add_u64 v[18:19], v[8:9], 0, 1
	v_cmp_ne_u32_e64 s[0:1], 0, v21
	s_nop 1
	v_cndmask_b32_e64 v11, v19, v11, s[0:1]
	v_cndmask_b32_e64 v19, 0, -1, vcc
	v_cmp_le_u32_e32 vcc, s6, v17
	v_cndmask_b32_e64 v10, v18, v10, s[0:1]
	s_nop 0
	v_cndmask_b32_e64 v17, 0, -1, vcc
	v_cmp_eq_u32_e32 vcc, s7, v13
	s_nop 1
	v_cndmask_b32_e32 v13, v19, v17, vcc
	v_cmp_ne_u32_e32 vcc, 0, v13
	s_nop 1
	v_cndmask_b32_e32 v8, v8, v10, vcc
	v_cndmask_b32_e32 v9, v9, v11, vcc
	v_xor_b32_e32 v8, v8, v12
	v_xor_b32_e32 v9, v9, v12
	v_sub_co_u32_e32 v10, vcc, v8, v12
                                        ; implicit-def: $vgpr8
	s_nop 1
	v_subb_co_u32_e32 v11, vcc, v9, v12, vcc
.LBB98_125:
	s_andn2_saveexec_b64 s[0:1], s[4:5]
	s_cbranch_execz .LBB98_127
; %bb.126:
	v_cvt_f32_u32_e32 v9, s3
	v_rcp_iflag_f32_e32 v9, v9
	s_nop 0
	v_mul_f32_e32 v9, 0x4f7ffffe, v9
	v_cvt_u32_f32_e32 v9, v9
	v_mul_lo_u32 v10, s12, v9
	v_mul_hi_u32 v10, v9, v10
	v_add_u32_e32 v9, v9, v10
	v_mul_hi_u32 v9, v8, v9
	v_mul_lo_u32 v10, v9, s3
	v_sub_u32_e32 v8, v8, v10
	v_add_u32_e32 v11, 1, v9
	v_subrev_u32_e32 v10, s3, v8
	v_cmp_le_u32_e32 vcc, s3, v8
	s_nop 1
	v_cndmask_b32_e32 v8, v8, v10, vcc
	v_cndmask_b32_e32 v9, v9, v11, vcc
	v_add_u32_e32 v10, 1, v9
	v_cmp_le_u32_e32 vcc, s3, v8
	v_mov_b32_e32 v11, 0
	s_nop 0
	v_cndmask_b32_e32 v10, v9, v10, vcc
.LBB98_127:
	s_or_b64 exec, exec, s[0:1]
	v_cmp_gt_i64_e32 vcc, s[26:27], v[4:5]
	v_mov_b64_e32 v[4:5], 0
	s_and_saveexec_b64 s[0:1], vcc
	s_cbranch_execz .LBB98_135
; %bb.128:
	s_add_i32 s4, s3, -1
	v_and_b32_e32 v8, s4, v0
	s_mov_b64 s[4:5], 0
	v_cmp_lt_i64_e32 vcc, 0, v[10:11]
	v_mov_b64_e32 v[4:5], 0
	v_lshlrev_b32_e32 v17, 3, v8
	s_and_saveexec_b64 s[6:7], vcc
	s_cbranch_execz .LBB98_132
; %bb.129:
	v_lshl_add_u32 v9, v2, 3, v17
	s_lshl_b32 s8, s3, 3
	v_mov_b64_e32 v[4:5], 0
	v_mov_b64_e32 v[12:13], v[10:11]
.LBB98_130:                             ; =>This Inner Loop Header: Depth=1
	ds_read_b64 v[18:19], v9
	v_lshl_add_u64 v[12:13], v[12:13], 0, -1
	v_cmp_eq_u64_e32 vcc, 0, v[12:13]
	v_add_u32_e32 v9, s8, v9
	s_or_b64 s[4:5], vcc, s[4:5]
	s_waitcnt lgkmcnt(0)
	v_add_f64 v[4:5], v[4:5], v[18:19]
	s_andn2_b64 exec, exec, s[4:5]
	s_cbranch_execnz .LBB98_130
; %bb.131:
	s_or_b64 exec, exec, s[4:5]
.LBB98_132:
	s_or_b64 exec, exec, s[6:7]
	v_mad_u64_u32 v[2:3], s[4:5], v10, s3, v[2:3]
	v_mov_b32_e32 v10, v3
	v_mad_u64_u32 v[10:11], s[4:5], v11, s3, v[10:11]
	v_sub_co_u32_e32 v12, vcc, v14, v2
	v_mov_b32_e32 v9, 0
	s_nop 0
	v_subb_co_u32_e32 v13, vcc, v15, v10, vcc
	v_cmp_gt_i64_e32 vcc, v[12:13], v[8:9]
	s_and_saveexec_b64 s[4:5], vcc
	s_cbranch_execz .LBB98_134
; %bb.133:
	v_lshl_add_u32 v2, v2, 3, v17
	ds_read_b64 v[2:3], v2
	s_waitcnt lgkmcnt(0)
	v_add_f64 v[4:5], v[4:5], v[2:3]
.LBB98_134:
	s_or_b64 exec, exec, s[4:5]
.LBB98_135:
	s_or_b64 exec, exec, s[0:1]
	v_cmp_gt_i64_e32 vcc, s[26:27], v[0:1]
	s_barrier
	ds_write_b64 v16, v[4:5]
	s_waitcnt lgkmcnt(0)
	s_barrier
	s_and_b64 exec, exec, vcc
	s_cbranch_execz .LBB98_139
; %bb.136:
	v_mul_lo_u32 v1, s3, v0
	v_lshlrev_b32_e32 v1, 3, v1
	v_mov_b64_e32 v[2:3], 0
.LBB98_137:                             ; =>This Inner Loop Header: Depth=1
	ds_read_b64 v[4:5], v1
	s_add_i32 s3, s3, -1
	v_add_u32_e32 v1, 8, v1
	s_cmp_eq_u32 s3, 0
	s_waitcnt lgkmcnt(0)
	v_add_f64 v[2:3], v[2:3], v[4:5]
	s_cbranch_scc0 .LBB98_137
; %bb.138:
	s_lshl_b32 s0, s2, 3
	s_addk_i32 s0, 0x2000
	v_lshl_add_u32 v0, v0, 3, s0
	ds_read_b64 v[0:1], v0
	s_waitcnt lgkmcnt(0)
	v_add_f64 v[0:1], v[2:3], v[0:1]
	v_lshl_add_u64 v[2:3], v[6:7], 3, s[24:25]
	global_atomic_add_f64 v[2:3], v[0:1], off
.LBB98_139:
	s_endpgm
	.section	.rodata,"a",@progbits
	.p2align	6, 0x0
	.amdhsa_kernel _ZN9rocsparseL27csrmvn_symm_adaptive_kernelIllfdddEEvbT_S1_PKS1_NS_24const_host_device_scalarIT4_EES3_PKT0_PKT1_PKT2_S6_PT3_21rocsparse_index_base_b
		.amdhsa_group_segment_fixed_size 8192
		.amdhsa_private_segment_fixed_size 0
		.amdhsa_kernarg_size 352
		.amdhsa_user_sgpr_count 2
		.amdhsa_user_sgpr_dispatch_ptr 0
		.amdhsa_user_sgpr_queue_ptr 0
		.amdhsa_user_sgpr_kernarg_segment_ptr 1
		.amdhsa_user_sgpr_dispatch_id 0
		.amdhsa_user_sgpr_kernarg_preload_length 0
		.amdhsa_user_sgpr_kernarg_preload_offset 0
		.amdhsa_user_sgpr_private_segment_size 0
		.amdhsa_uses_dynamic_stack 0
		.amdhsa_enable_private_segment 0
		.amdhsa_system_sgpr_workgroup_id_x 1
		.amdhsa_system_sgpr_workgroup_id_y 0
		.amdhsa_system_sgpr_workgroup_id_z 0
		.amdhsa_system_sgpr_workgroup_info 0
		.amdhsa_system_vgpr_workitem_id 0
		.amdhsa_next_free_vgpr 22
		.amdhsa_next_free_sgpr 52
		.amdhsa_accum_offset 24
		.amdhsa_reserve_vcc 1
		.amdhsa_float_round_mode_32 0
		.amdhsa_float_round_mode_16_64 0
		.amdhsa_float_denorm_mode_32 3
		.amdhsa_float_denorm_mode_16_64 3
		.amdhsa_dx10_clamp 1
		.amdhsa_ieee_mode 1
		.amdhsa_fp16_overflow 0
		.amdhsa_tg_split 0
		.amdhsa_exception_fp_ieee_invalid_op 0
		.amdhsa_exception_fp_denorm_src 0
		.amdhsa_exception_fp_ieee_div_zero 0
		.amdhsa_exception_fp_ieee_overflow 0
		.amdhsa_exception_fp_ieee_underflow 0
		.amdhsa_exception_fp_ieee_inexact 0
		.amdhsa_exception_int_div_zero 0
	.end_amdhsa_kernel
	.section	.text._ZN9rocsparseL27csrmvn_symm_adaptive_kernelIllfdddEEvbT_S1_PKS1_NS_24const_host_device_scalarIT4_EES3_PKT0_PKT1_PKT2_S6_PT3_21rocsparse_index_base_b,"axG",@progbits,_ZN9rocsparseL27csrmvn_symm_adaptive_kernelIllfdddEEvbT_S1_PKS1_NS_24const_host_device_scalarIT4_EES3_PKT0_PKT1_PKT2_S6_PT3_21rocsparse_index_base_b,comdat
.Lfunc_end98:
	.size	_ZN9rocsparseL27csrmvn_symm_adaptive_kernelIllfdddEEvbT_S1_PKS1_NS_24const_host_device_scalarIT4_EES3_PKT0_PKT1_PKT2_S6_PT3_21rocsparse_index_base_b, .Lfunc_end98-_ZN9rocsparseL27csrmvn_symm_adaptive_kernelIllfdddEEvbT_S1_PKS1_NS_24const_host_device_scalarIT4_EES3_PKT0_PKT1_PKT2_S6_PT3_21rocsparse_index_base_b
                                        ; -- End function
	.set _ZN9rocsparseL27csrmvn_symm_adaptive_kernelIllfdddEEvbT_S1_PKS1_NS_24const_host_device_scalarIT4_EES3_PKT0_PKT1_PKT2_S6_PT3_21rocsparse_index_base_b.num_vgpr, 22
	.set _ZN9rocsparseL27csrmvn_symm_adaptive_kernelIllfdddEEvbT_S1_PKS1_NS_24const_host_device_scalarIT4_EES3_PKT0_PKT1_PKT2_S6_PT3_21rocsparse_index_base_b.num_agpr, 0
	.set _ZN9rocsparseL27csrmvn_symm_adaptive_kernelIllfdddEEvbT_S1_PKS1_NS_24const_host_device_scalarIT4_EES3_PKT0_PKT1_PKT2_S6_PT3_21rocsparse_index_base_b.numbered_sgpr, 52
	.set _ZN9rocsparseL27csrmvn_symm_adaptive_kernelIllfdddEEvbT_S1_PKS1_NS_24const_host_device_scalarIT4_EES3_PKT0_PKT1_PKT2_S6_PT3_21rocsparse_index_base_b.num_named_barrier, 0
	.set _ZN9rocsparseL27csrmvn_symm_adaptive_kernelIllfdddEEvbT_S1_PKS1_NS_24const_host_device_scalarIT4_EES3_PKT0_PKT1_PKT2_S6_PT3_21rocsparse_index_base_b.private_seg_size, 0
	.set _ZN9rocsparseL27csrmvn_symm_adaptive_kernelIllfdddEEvbT_S1_PKS1_NS_24const_host_device_scalarIT4_EES3_PKT0_PKT1_PKT2_S6_PT3_21rocsparse_index_base_b.uses_vcc, 1
	.set _ZN9rocsparseL27csrmvn_symm_adaptive_kernelIllfdddEEvbT_S1_PKS1_NS_24const_host_device_scalarIT4_EES3_PKT0_PKT1_PKT2_S6_PT3_21rocsparse_index_base_b.uses_flat_scratch, 0
	.set _ZN9rocsparseL27csrmvn_symm_adaptive_kernelIllfdddEEvbT_S1_PKS1_NS_24const_host_device_scalarIT4_EES3_PKT0_PKT1_PKT2_S6_PT3_21rocsparse_index_base_b.has_dyn_sized_stack, 0
	.set _ZN9rocsparseL27csrmvn_symm_adaptive_kernelIllfdddEEvbT_S1_PKS1_NS_24const_host_device_scalarIT4_EES3_PKT0_PKT1_PKT2_S6_PT3_21rocsparse_index_base_b.has_recursion, 0
	.set _ZN9rocsparseL27csrmvn_symm_adaptive_kernelIllfdddEEvbT_S1_PKS1_NS_24const_host_device_scalarIT4_EES3_PKT0_PKT1_PKT2_S6_PT3_21rocsparse_index_base_b.has_indirect_call, 0
	.section	.AMDGPU.csdata,"",@progbits
; Kernel info:
; codeLenInByte = 6872
; TotalNumSgprs: 58
; NumVgprs: 22
; NumAgprs: 0
; TotalNumVgprs: 22
; ScratchSize: 0
; MemoryBound: 0
; FloatMode: 240
; IeeeMode: 1
; LDSByteSize: 8192 bytes/workgroup (compile time only)
; SGPRBlocks: 7
; VGPRBlocks: 2
; NumSGPRsForWavesPerEU: 58
; NumVGPRsForWavesPerEU: 22
; AccumOffset: 24
; Occupancy: 8
; WaveLimiterHint : 1
; COMPUTE_PGM_RSRC2:SCRATCH_EN: 0
; COMPUTE_PGM_RSRC2:USER_SGPR: 2
; COMPUTE_PGM_RSRC2:TRAP_HANDLER: 0
; COMPUTE_PGM_RSRC2:TGID_X_EN: 1
; COMPUTE_PGM_RSRC2:TGID_Y_EN: 0
; COMPUTE_PGM_RSRC2:TGID_Z_EN: 0
; COMPUTE_PGM_RSRC2:TIDIG_COMP_CNT: 0
; COMPUTE_PGM_RSRC3_GFX90A:ACCUM_OFFSET: 5
; COMPUTE_PGM_RSRC3_GFX90A:TG_SPLIT: 0
	.section	.text._ZL33csrmvn_symm_large_adaptive_kernelIllfdddEvbT_PKS0_N9rocsparse24const_host_device_scalarIT4_EES2_PKT0_PKT1_PKT2_S6_PT3_21rocsparse_index_base_b,"axG",@progbits,_ZL33csrmvn_symm_large_adaptive_kernelIllfdddEvbT_PKS0_N9rocsparse24const_host_device_scalarIT4_EES2_PKT0_PKT1_PKT2_S6_PT3_21rocsparse_index_base_b,comdat
	.globl	_ZL33csrmvn_symm_large_adaptive_kernelIllfdddEvbT_PKS0_N9rocsparse24const_host_device_scalarIT4_EES2_PKT0_PKT1_PKT2_S6_PT3_21rocsparse_index_base_b ; -- Begin function _ZL33csrmvn_symm_large_adaptive_kernelIllfdddEvbT_PKS0_N9rocsparse24const_host_device_scalarIT4_EES2_PKT0_PKT1_PKT2_S6_PT3_21rocsparse_index_base_b
	.p2align	8
	.type	_ZL33csrmvn_symm_large_adaptive_kernelIllfdddEvbT_PKS0_N9rocsparse24const_host_device_scalarIT4_EES2_PKT0_PKT1_PKT2_S6_PT3_21rocsparse_index_base_b,@function
_ZL33csrmvn_symm_large_adaptive_kernelIllfdddEvbT_PKS0_N9rocsparse24const_host_device_scalarIT4_EES2_PKT0_PKT1_PKT2_S6_PT3_21rocsparse_index_base_b: ; @_ZL33csrmvn_symm_large_adaptive_kernelIllfdddEvbT_PKS0_N9rocsparse24const_host_device_scalarIT4_EES2_PKT0_PKT1_PKT2_S6_PT3_21rocsparse_index_base_b
; %bb.0:
	s_load_dwordx2 s[10:11], s[0:1], 0x50
	s_load_dwordx2 s[8:9], s[0:1], 0x18
	;; [unrolled: 1-line block ×3, first 2 shown]
	s_waitcnt lgkmcnt(0)
	s_bitcmp1_b32 s11, 0
	s_cselect_b64 s[12:13], -1, 0
	s_xor_b64 s[6:7], s[12:13], -1
	s_and_b64 vcc, exec, s[12:13]
	v_mov_b64_e32 v[2:3], s[8:9]
	s_cbranch_vccnz .LBB99_2
; %bb.1:
	v_mov_b64_e32 v[2:3], s[8:9]
	flat_load_dwordx2 v[2:3], v[2:3]
.LBB99_2:
	s_andn2_b64 vcc, exec, s[6:7]
	v_mov_b64_e32 v[4:5], s[4:5]
	s_cbranch_vccnz .LBB99_4
; %bb.3:
	v_mov_b64_e32 v[4:5], s[4:5]
	flat_load_dwordx2 v[4:5], v[4:5]
.LBB99_4:
	s_waitcnt vmcnt(0) lgkmcnt(0)
	v_cmp_neq_f64_e32 vcc, 0, v[2:3]
	v_cmp_neq_f64_e64 s[4:5], 1.0, v[4:5]
	s_or_b64 s[4:5], vcc, s[4:5]
	s_and_saveexec_b64 s[6:7], s[4:5]
	s_cbranch_execz .LBB99_36
; %bb.5:
	s_load_dwordx2 s[4:5], s[0:1], 0x10
	s_ashr_i32 s3, s2, 31
	s_mov_b32 s6, 0
	s_lshl_b64 s[2:3], s[2:3], 3
	s_mov_b32 s7, s6
	s_waitcnt lgkmcnt(0)
	s_add_u32 s2, s4, s2
	v_lshlrev_b32_e32 v14, 3, v0
	v_mov_b64_e32 v[4:5], s[6:7]
	s_addc_u32 s3, s5, s3
	ds_write2st64_b64 v14, v[4:5], v[4:5] offset1:4
	ds_write2st64_b64 v14, v[4:5], v[4:5] offset0:8 offset1:12
	s_waitcnt lgkmcnt(0)
	s_barrier
	s_load_dwordx4 s[20:23], s[2:3], 0x0
	s_load_dwordx8 s[12:19], s[0:1], 0x20
	s_load_dwordx2 s[24:25], s[0:1], 0x48
	v_mov_b32_e32 v15, 0
	s_waitcnt lgkmcnt(0)
	v_mov_b64_e32 v[4:5], s[22:23]
	v_cmp_ge_i64_e32 vcc, s[20:21], v[4:5]
	v_subrev_co_u32_e64 v4, s[0:1], s10, v0
	s_nop 1
	v_subb_co_u32_e64 v5, s[0:1], 0, 0, s[0:1]
	s_cbranch_vccnz .LBB99_27
; %bb.6:
	s_movk_i32 s0, 0x100
	v_cmp_gt_u32_e64 s[0:1], s0, v0
	v_cmp_gt_u32_e64 s[2:3], 64, v0
	;; [unrolled: 1-line block ×4, first 2 shown]
	v_cmp_eq_u32_e64 s[8:9], 0, v0
	s_mov_b64 s[26:27], 0x100
	s_mov_b64 s[28:29], 0x800
	;; [unrolled: 1-line block ×3, first 2 shown]
	v_mov_b64_e32 v[0:1], s[22:23]
	s_mov_b64 s[34:35], s[20:21]
	s_branch .LBB99_8
.LBB99_7:                               ;   in Loop: Header=BB99_8 Depth=1
	s_or_b64 exec, exec, s[38:39]
	s_add_u32 s34, s34, 1
	s_addc_u32 s35, s35, 0
	v_cmp_ge_i64_e32 vcc, s[34:35], v[0:1]
	s_cbranch_vccnz .LBB99_27
.LBB99_8:                               ; =>This Loop Header: Depth=1
                                        ;     Child Loop BB99_10 Depth 2
                                        ;     Child Loop BB99_24 Depth 2
	s_lshl_b64 s[36:37], s[34:35], 3
	s_add_u32 s38, s12, s36
	s_addc_u32 s39, s13, s37
	s_load_dwordx4 s[40:43], s[38:39], 0x0
	v_mov_b64_e32 v[6:7], 0
	s_waitcnt lgkmcnt(0)
	s_sub_u32 s38, s42, s10
	v_lshl_add_u64 v[8:9], s[40:41], 0, v[4:5]
	s_subb_u32 s39, s43, 0
	v_cmp_gt_i64_e32 vcc, s[38:39], v[8:9]
	s_and_saveexec_b64 s[40:41], vcc
	s_cbranch_execz .LBB99_12
; %bb.9:                                ;   in Loop: Header=BB99_8 Depth=1
	v_lshl_add_u64 v[10:11], v[8:9], 3, s[14:15]
	v_lshl_add_u64 v[12:13], v[8:9], 2, s[16:17]
	v_mov_b64_e32 v[6:7], 0
	s_mov_b64 s[42:43], 0
.LBB99_10:                              ;   Parent Loop BB99_8 Depth=1
                                        ; =>  This Inner Loop Header: Depth=2
	global_load_dwordx2 v[16:17], v[10:11], off
	global_load_dword v18, v[12:13], off
	v_lshl_add_u64 v[8:9], v[8:9], 0, s[26:27]
	v_lshl_add_u64 v[10:11], v[10:11], 0, s[28:29]
	;; [unrolled: 1-line block ×3, first 2 shown]
	s_waitcnt vmcnt(1)
	v_subrev_co_u32_e32 v16, vcc, s10, v16
	s_nop 1
	v_subbrev_co_u32_e32 v17, vcc, 0, v17, vcc
	v_lshl_add_u64 v[16:17], v[16:17], 3, s[18:19]
	global_load_dwordx2 v[16:17], v[16:17], off
	v_cmp_le_i64_e32 vcc, s[38:39], v[8:9]
	s_waitcnt vmcnt(1)
	v_cvt_f64_f32_e32 v[18:19], v18
	s_or_b64 s[42:43], vcc, s[42:43]
	s_waitcnt vmcnt(0)
	v_fmac_f64_e32 v[6:7], v[18:19], v[16:17]
	s_andn2_b64 exec, exec, s[42:43]
	s_cbranch_execnz .LBB99_10
; %bb.11:                               ;   in Loop: Header=BB99_8 Depth=1
	s_or_b64 exec, exec, s[42:43]
.LBB99_12:                              ;   in Loop: Header=BB99_8 Depth=1
	s_or_b64 exec, exec, s[40:41]
	ds_write_b64 v14, v[6:7]
	s_waitcnt lgkmcnt(0)
	s_barrier
	s_and_saveexec_b64 s[38:39], s[0:1]
	s_cbranch_execz .LBB99_14
; %bb.13:                               ;   in Loop: Header=BB99_8 Depth=1
	ds_read2st64_b64 v[6:9], v14 offset1:4
	ds_read2st64_b64 v[10:13], v14 offset0:8 offset1:12
	s_waitcnt lgkmcnt(0)
	v_add_f64 v[8:9], v[8:9], v[10:11]
	v_add_f64 v[8:9], v[8:9], v[12:13]
	;; [unrolled: 1-line block ×3, first 2 shown]
	ds_write_b64 v14, v[6:7]
.LBB99_14:                              ;   in Loop: Header=BB99_8 Depth=1
	s_or_b64 exec, exec, s[38:39]
	s_waitcnt lgkmcnt(0)
	s_barrier
	s_and_saveexec_b64 s[38:39], s[2:3]
	s_cbranch_execz .LBB99_16
; %bb.15:                               ;   in Loop: Header=BB99_8 Depth=1
	ds_read2st64_b64 v[6:9], v14 offset1:1
	ds_read2st64_b64 v[10:13], v14 offset0:2 offset1:3
	s_waitcnt lgkmcnt(0)
	v_add_f64 v[8:9], v[8:9], v[10:11]
	v_add_f64 v[8:9], v[8:9], v[12:13]
	;; [unrolled: 1-line block ×3, first 2 shown]
	ds_write_b64 v14, v[6:7]
.LBB99_16:                              ;   in Loop: Header=BB99_8 Depth=1
	s_or_b64 exec, exec, s[38:39]
	s_waitcnt lgkmcnt(0)
	s_barrier
	s_and_saveexec_b64 s[38:39], s[4:5]
	s_cbranch_execz .LBB99_18
; %bb.17:                               ;   in Loop: Header=BB99_8 Depth=1
	ds_read2_b64 v[6:9], v14 offset1:16
	ds_read2_b64 v[10:13], v14 offset0:32 offset1:48
	s_waitcnt lgkmcnt(0)
	v_add_f64 v[8:9], v[8:9], v[10:11]
	v_add_f64 v[8:9], v[8:9], v[12:13]
	;; [unrolled: 1-line block ×3, first 2 shown]
	ds_write_b64 v14, v[6:7]
.LBB99_18:                              ;   in Loop: Header=BB99_8 Depth=1
	s_or_b64 exec, exec, s[38:39]
	s_waitcnt lgkmcnt(0)
	s_barrier
	s_and_saveexec_b64 s[38:39], s[6:7]
	s_cbranch_execz .LBB99_20
; %bb.19:                               ;   in Loop: Header=BB99_8 Depth=1
	ds_read2_b64 v[6:9], v14 offset1:4
	ds_read2_b64 v[10:13], v14 offset0:8 offset1:12
	s_waitcnt lgkmcnt(0)
	v_add_f64 v[8:9], v[8:9], v[10:11]
	v_add_f64 v[8:9], v[8:9], v[12:13]
	;; [unrolled: 1-line block ×3, first 2 shown]
	ds_write_b64 v14, v[6:7]
.LBB99_20:                              ;   in Loop: Header=BB99_8 Depth=1
	s_or_b64 exec, exec, s[38:39]
	s_waitcnt lgkmcnt(0)
	s_barrier
	s_and_saveexec_b64 s[38:39], s[8:9]
	s_cbranch_execz .LBB99_22
; %bb.21:                               ;   in Loop: Header=BB99_8 Depth=1
	ds_read2_b64 v[6:9], v15 offset0:1 offset1:2
	ds_read_b64 v[10:11], v15 offset:24
	ds_read_b64 v[12:13], v14
	s_waitcnt lgkmcnt(2)
	v_add_f64 v[6:7], v[6:7], v[8:9]
	s_waitcnt lgkmcnt(1)
	v_add_f64 v[6:7], v[6:7], v[10:11]
	;; [unrolled: 2-line block ×3, first 2 shown]
	ds_write_b64 v14, v[6:7]
.LBB99_22:                              ;   in Loop: Header=BB99_8 Depth=1
	s_or_b64 exec, exec, s[38:39]
	s_waitcnt lgkmcnt(0)
	s_barrier
	s_and_saveexec_b64 s[38:39], s[8:9]
	s_cbranch_execz .LBB99_7
; %bb.23:                               ;   in Loop: Header=BB99_8 Depth=1
	ds_read_b64 v[6:7], v15
	s_mov_b64 s[40:41], exec
	s_waitcnt lgkmcnt(0)
	v_mul_f64 v[8:9], v[2:3], v[6:7]
	v_mov_b32_e32 v6, 0
	v_bfrev_b32_e32 v7, 1
.LBB99_24:                              ;   Parent Loop BB99_8 Depth=1
                                        ; =>  This Inner Loop Header: Depth=2
	s_ff1_i32_b64 s11, s[40:41]
	s_lshl_b64 s[44:45], 1, s11
	v_readlane_b32 s43, v9, s11
	v_readlane_b32 s42, v8, s11
	s_andn2_b64 s[40:41], s[40:41], s[44:45]
	s_cmp_lg_u64 s[40:41], 0
	v_add_f64 v[6:7], v[6:7], s[42:43]
	s_cbranch_scc1 .LBB99_24
; %bb.25:                               ;   in Loop: Header=BB99_8 Depth=1
	v_mbcnt_lo_u32_b32 v8, exec_lo, 0
	v_mbcnt_hi_u32_b32 v8, exec_hi, v8
	v_cmp_eq_u32_e32 vcc, 0, v8
	s_and_saveexec_b64 s[40:41], vcc
	s_xor_b64 s[40:41], exec, s[40:41]
	s_cbranch_execz .LBB99_7
; %bb.26:                               ;   in Loop: Header=BB99_8 Depth=1
	s_add_u32 s36, s24, s36
	s_addc_u32 s37, s25, s37
	global_atomic_add_f64 v15, v[6:7], s[36:37]
	s_branch .LBB99_7
.LBB99_27:
	s_lshl_b64 s[0:1], s[20:21], 3
	s_add_u32 s0, s12, s0
	s_addc_u32 s1, s13, s1
	s_lshl_b64 s[2:3], s[22:23], 3
	s_add_u32 s2, s12, s2
	s_addc_u32 s3, s13, s3
	s_load_dwordx2 s[4:5], s[2:3], 0x0
	s_load_dwordx2 s[6:7], s[0:1], 0x0
	s_waitcnt lgkmcnt(0)
	s_sub_u32 s4, s4, s10
	s_subb_u32 s5, s5, 0
	v_lshl_add_u64 v[0:1], s[6:7], 0, v[4:5]
	v_cmp_gt_i64_e32 vcc, s[4:5], v[0:1]
	s_and_b64 exec, exec, vcc
	s_cbranch_execz .LBB99_36
; %bb.28:
	s_add_u32 s6, s22, -1
	s_addc_u32 s7, s23, -1
	s_add_u32 s0, s22, -2
	s_addc_u32 s1, s23, -1
	v_mov_b64_e32 v[4:5], s[6:7]
	s_cmp_lg_u64 s[20:21], s[0:1]
	v_cmp_lt_i64_e32 vcc, s[20:21], v[4:5]
	s_cselect_b64 s[0:1], -1, 0
	s_and_b64 s[0:1], vcc, s[0:1]
	v_cndmask_b32_e64 v4, 0, 1, s[0:1]
	s_mov_b64 s[8:9], 0
	v_cmp_ne_u32_e64 s[0:1], 1, v4
	v_mov_b32_e32 v5, 0
	s_mov_b64 s[22:23], 0x100
	s_branch .LBB99_30
.LBB99_29:                              ;   in Loop: Header=BB99_30 Depth=1
	s_or_b64 exec, exec, s[2:3]
	v_lshl_add_u64 v[0:1], v[0:1], 0, s[22:23]
	v_cmp_le_i64_e32 vcc, s[4:5], v[0:1]
	s_or_b64 s[8:9], vcc, s[8:9]
	s_andn2_b64 exec, exec, s[8:9]
	s_cbranch_execz .LBB99_36
.LBB99_30:                              ; =>This Loop Header: Depth=1
                                        ;     Child Loop BB99_32 Depth 2
	s_and_b64 vcc, exec, s[0:1]
	v_mov_b64_e32 v[6:7], s[20:21]
	v_mov_b64_e32 v[8:9], s[6:7]
	s_cbranch_vccnz .LBB99_34
; %bb.31:                               ;   in Loop: Header=BB99_30 Depth=1
	s_mov_b64 s[26:27], 0
	v_mov_b64_e32 v[6:7], s[20:21]
	v_mov_b64_e32 v[8:9], s[6:7]
.LBB99_32:                              ;   Parent Loop BB99_30 Depth=1
                                        ; =>  This Inner Loop Header: Depth=2
	v_lshl_add_u64 v[10:11], v[8:9], 0, v[6:7]
	v_lshrrev_b32_e32 v4, 31, v11
	v_lshl_add_u64 v[10:11], v[10:11], 0, v[4:5]
	v_ashrrev_i64 v[10:11], 1, v[10:11]
	v_lshl_add_u64 v[12:13], v[10:11], 3, s[12:13]
	global_load_dwordx2 v[12:13], v[12:13], off
	s_waitcnt vmcnt(0)
	v_subrev_co_u32_e32 v12, vcc, s10, v12
	s_nop 1
	v_subbrev_co_u32_e32 v13, vcc, 0, v13, vcc
	v_cmp_lt_i64_e32 vcc, v[0:1], v[12:13]
	s_nop 1
	v_cndmask_b32_e32 v9, v9, v11, vcc
	v_cndmask_b32_e32 v8, v8, v10, vcc
	;; [unrolled: 1-line block ×4, first 2 shown]
	v_lshl_add_u64 v[10:11], v[8:9], 0, -1
	v_cmp_ge_i64_e32 vcc, v[6:7], v[8:9]
	v_cmp_eq_u64_e64 s[2:3], v[6:7], v[10:11]
	s_or_b64 s[2:3], vcc, s[2:3]
	s_and_b64 s[2:3], exec, s[2:3]
	s_or_b64 s[26:27], s[2:3], s[26:27]
	s_andn2_b64 exec, exec, s[26:27]
	s_cbranch_execnz .LBB99_32
; %bb.33:                               ;   in Loop: Header=BB99_30 Depth=1
	s_or_b64 exec, exec, s[26:27]
.LBB99_34:                              ;   in Loop: Header=BB99_30 Depth=1
	v_lshl_add_u64 v[10:11], v[8:9], 3, s[12:13]
	global_load_dwordx2 v[10:11], v[10:11], off
	v_lshl_add_u64 v[12:13], v[0:1], 3, s[14:15]
	global_load_dwordx2 v[12:13], v[12:13], off
	s_waitcnt vmcnt(1)
	v_subrev_co_u32_e32 v10, vcc, s10, v10
	s_nop 1
	v_subbrev_co_u32_e32 v11, vcc, 0, v11, vcc
	v_cmp_lt_i64_e32 vcc, v[0:1], v[10:11]
	s_nop 1
	v_cndmask_b32_e32 v9, v9, v7, vcc
	v_cndmask_b32_e32 v8, v8, v6, vcc
	s_waitcnt vmcnt(0)
	v_subrev_co_u32_e32 v6, vcc, s10, v12
	s_nop 1
	v_subbrev_co_u32_e32 v7, vcc, 0, v13, vcc
	v_cmp_ne_u64_e32 vcc, v[6:7], v[8:9]
	s_and_saveexec_b64 s[2:3], vcc
	s_cbranch_execz .LBB99_29
; %bb.35:                               ;   in Loop: Header=BB99_30 Depth=1
	v_lshl_add_u64 v[10:11], v[0:1], 2, s[16:17]
	global_load_dword v4, v[10:11], off
	v_lshl_add_u64 v[8:9], v[8:9], 3, s[18:19]
	global_load_dwordx2 v[8:9], v[8:9], off
	v_lshl_add_u64 v[6:7], v[6:7], 3, s[24:25]
	s_waitcnt vmcnt(1)
	v_cvt_f64_f32_e32 v[10:11], v4
	v_mul_f64 v[10:11], v[2:3], v[10:11]
	s_waitcnt vmcnt(0)
	v_mul_f64 v[8:9], v[8:9], v[10:11]
	global_atomic_add_f64 v[6:7], v[8:9], off
	s_branch .LBB99_29
.LBB99_36:
	s_endpgm
	.section	.rodata,"a",@progbits
	.p2align	6, 0x0
	.amdhsa_kernel _ZL33csrmvn_symm_large_adaptive_kernelIllfdddEvbT_PKS0_N9rocsparse24const_host_device_scalarIT4_EES2_PKT0_PKT1_PKT2_S6_PT3_21rocsparse_index_base_b
		.amdhsa_group_segment_fixed_size 8192
		.amdhsa_private_segment_fixed_size 0
		.amdhsa_kernarg_size 88
		.amdhsa_user_sgpr_count 2
		.amdhsa_user_sgpr_dispatch_ptr 0
		.amdhsa_user_sgpr_queue_ptr 0
		.amdhsa_user_sgpr_kernarg_segment_ptr 1
		.amdhsa_user_sgpr_dispatch_id 0
		.amdhsa_user_sgpr_kernarg_preload_length 0
		.amdhsa_user_sgpr_kernarg_preload_offset 0
		.amdhsa_user_sgpr_private_segment_size 0
		.amdhsa_uses_dynamic_stack 0
		.amdhsa_enable_private_segment 0
		.amdhsa_system_sgpr_workgroup_id_x 1
		.amdhsa_system_sgpr_workgroup_id_y 0
		.amdhsa_system_sgpr_workgroup_id_z 0
		.amdhsa_system_sgpr_workgroup_info 0
		.amdhsa_system_vgpr_workitem_id 0
		.amdhsa_next_free_vgpr 20
		.amdhsa_next_free_sgpr 46
		.amdhsa_accum_offset 20
		.amdhsa_reserve_vcc 1
		.amdhsa_float_round_mode_32 0
		.amdhsa_float_round_mode_16_64 0
		.amdhsa_float_denorm_mode_32 3
		.amdhsa_float_denorm_mode_16_64 3
		.amdhsa_dx10_clamp 1
		.amdhsa_ieee_mode 1
		.amdhsa_fp16_overflow 0
		.amdhsa_tg_split 0
		.amdhsa_exception_fp_ieee_invalid_op 0
		.amdhsa_exception_fp_denorm_src 0
		.amdhsa_exception_fp_ieee_div_zero 0
		.amdhsa_exception_fp_ieee_overflow 0
		.amdhsa_exception_fp_ieee_underflow 0
		.amdhsa_exception_fp_ieee_inexact 0
		.amdhsa_exception_int_div_zero 0
	.end_amdhsa_kernel
	.section	.text._ZL33csrmvn_symm_large_adaptive_kernelIllfdddEvbT_PKS0_N9rocsparse24const_host_device_scalarIT4_EES2_PKT0_PKT1_PKT2_S6_PT3_21rocsparse_index_base_b,"axG",@progbits,_ZL33csrmvn_symm_large_adaptive_kernelIllfdddEvbT_PKS0_N9rocsparse24const_host_device_scalarIT4_EES2_PKT0_PKT1_PKT2_S6_PT3_21rocsparse_index_base_b,comdat
.Lfunc_end99:
	.size	_ZL33csrmvn_symm_large_adaptive_kernelIllfdddEvbT_PKS0_N9rocsparse24const_host_device_scalarIT4_EES2_PKT0_PKT1_PKT2_S6_PT3_21rocsparse_index_base_b, .Lfunc_end99-_ZL33csrmvn_symm_large_adaptive_kernelIllfdddEvbT_PKS0_N9rocsparse24const_host_device_scalarIT4_EES2_PKT0_PKT1_PKT2_S6_PT3_21rocsparse_index_base_b
                                        ; -- End function
	.set _ZL33csrmvn_symm_large_adaptive_kernelIllfdddEvbT_PKS0_N9rocsparse24const_host_device_scalarIT4_EES2_PKT0_PKT1_PKT2_S6_PT3_21rocsparse_index_base_b.num_vgpr, 20
	.set _ZL33csrmvn_symm_large_adaptive_kernelIllfdddEvbT_PKS0_N9rocsparse24const_host_device_scalarIT4_EES2_PKT0_PKT1_PKT2_S6_PT3_21rocsparse_index_base_b.num_agpr, 0
	.set _ZL33csrmvn_symm_large_adaptive_kernelIllfdddEvbT_PKS0_N9rocsparse24const_host_device_scalarIT4_EES2_PKT0_PKT1_PKT2_S6_PT3_21rocsparse_index_base_b.numbered_sgpr, 46
	.set _ZL33csrmvn_symm_large_adaptive_kernelIllfdddEvbT_PKS0_N9rocsparse24const_host_device_scalarIT4_EES2_PKT0_PKT1_PKT2_S6_PT3_21rocsparse_index_base_b.num_named_barrier, 0
	.set _ZL33csrmvn_symm_large_adaptive_kernelIllfdddEvbT_PKS0_N9rocsparse24const_host_device_scalarIT4_EES2_PKT0_PKT1_PKT2_S6_PT3_21rocsparse_index_base_b.private_seg_size, 0
	.set _ZL33csrmvn_symm_large_adaptive_kernelIllfdddEvbT_PKS0_N9rocsparse24const_host_device_scalarIT4_EES2_PKT0_PKT1_PKT2_S6_PT3_21rocsparse_index_base_b.uses_vcc, 1
	.set _ZL33csrmvn_symm_large_adaptive_kernelIllfdddEvbT_PKS0_N9rocsparse24const_host_device_scalarIT4_EES2_PKT0_PKT1_PKT2_S6_PT3_21rocsparse_index_base_b.uses_flat_scratch, 0
	.set _ZL33csrmvn_symm_large_adaptive_kernelIllfdddEvbT_PKS0_N9rocsparse24const_host_device_scalarIT4_EES2_PKT0_PKT1_PKT2_S6_PT3_21rocsparse_index_base_b.has_dyn_sized_stack, 0
	.set _ZL33csrmvn_symm_large_adaptive_kernelIllfdddEvbT_PKS0_N9rocsparse24const_host_device_scalarIT4_EES2_PKT0_PKT1_PKT2_S6_PT3_21rocsparse_index_base_b.has_recursion, 0
	.set _ZL33csrmvn_symm_large_adaptive_kernelIllfdddEvbT_PKS0_N9rocsparse24const_host_device_scalarIT4_EES2_PKT0_PKT1_PKT2_S6_PT3_21rocsparse_index_base_b.has_indirect_call, 0
	.section	.AMDGPU.csdata,"",@progbits
; Kernel info:
; codeLenInByte = 1572
; TotalNumSgprs: 52
; NumVgprs: 20
; NumAgprs: 0
; TotalNumVgprs: 20
; ScratchSize: 0
; MemoryBound: 0
; FloatMode: 240
; IeeeMode: 1
; LDSByteSize: 8192 bytes/workgroup (compile time only)
; SGPRBlocks: 6
; VGPRBlocks: 2
; NumSGPRsForWavesPerEU: 52
; NumVGPRsForWavesPerEU: 20
; AccumOffset: 20
; Occupancy: 8
; WaveLimiterHint : 1
; COMPUTE_PGM_RSRC2:SCRATCH_EN: 0
; COMPUTE_PGM_RSRC2:USER_SGPR: 2
; COMPUTE_PGM_RSRC2:TRAP_HANDLER: 0
; COMPUTE_PGM_RSRC2:TGID_X_EN: 1
; COMPUTE_PGM_RSRC2:TGID_Y_EN: 0
; COMPUTE_PGM_RSRC2:TGID_Z_EN: 0
; COMPUTE_PGM_RSRC2:TIDIG_COMP_CNT: 0
; COMPUTE_PGM_RSRC3_GFX90A:ACCUM_OFFSET: 4
; COMPUTE_PGM_RSRC3_GFX90A:TG_SPLIT: 0
	.section	.text._ZN9rocsparseL22csrmvn_adaptive_kernelIiid21rocsparse_complex_numIdES2_S2_EEvbT_PKS3_PjPKT0_NS_24const_host_device_scalarIT4_EES5_S9_PKT1_PKT2_SC_PT3_21rocsparse_index_base_b,"axG",@progbits,_ZN9rocsparseL22csrmvn_adaptive_kernelIiid21rocsparse_complex_numIdES2_S2_EEvbT_PKS3_PjPKT0_NS_24const_host_device_scalarIT4_EES5_S9_PKT1_PKT2_SC_PT3_21rocsparse_index_base_b,comdat
	.globl	_ZN9rocsparseL22csrmvn_adaptive_kernelIiid21rocsparse_complex_numIdES2_S2_EEvbT_PKS3_PjPKT0_NS_24const_host_device_scalarIT4_EES5_S9_PKT1_PKT2_SC_PT3_21rocsparse_index_base_b ; -- Begin function _ZN9rocsparseL22csrmvn_adaptive_kernelIiid21rocsparse_complex_numIdES2_S2_EEvbT_PKS3_PjPKT0_NS_24const_host_device_scalarIT4_EES5_S9_PKT1_PKT2_SC_PT3_21rocsparse_index_base_b
	.p2align	8
	.type	_ZN9rocsparseL22csrmvn_adaptive_kernelIiid21rocsparse_complex_numIdES2_S2_EEvbT_PKS3_PjPKT0_NS_24const_host_device_scalarIT4_EES5_S9_PKT1_PKT2_SC_PT3_21rocsparse_index_base_b,@function
_ZN9rocsparseL22csrmvn_adaptive_kernelIiid21rocsparse_complex_numIdES2_S2_EEvbT_PKS3_PjPKT0_NS_24const_host_device_scalarIT4_EES5_S9_PKT1_PKT2_SC_PT3_21rocsparse_index_base_b: ; @_ZN9rocsparseL22csrmvn_adaptive_kernelIiid21rocsparse_complex_numIdES2_S2_EEvbT_PKS3_PjPKT0_NS_24const_host_device_scalarIT4_EES5_S9_PKT1_PKT2_SC_PT3_21rocsparse_index_base_b
; %bb.0:
	s_load_dwordx2 s[4:5], s[0:1], 0x20
	s_load_dwordx2 s[38:39], s[0:1], 0x68
	s_add_u32 s3, s0, 32
	s_addc_u32 s8, s1, 0
	s_add_u32 s9, s0, 0x50
	s_load_dwordx2 s[6:7], s[0:1], 0x50
	s_addc_u32 s10, s1, 0
	s_waitcnt lgkmcnt(0)
	s_bitcmp1_b32 s39, 0
	s_cselect_b32 s5, s8, s5
	s_cselect_b32 s3, s3, s4
	v_mov_b32_e32 v2, s3
	v_mov_b32_e32 v3, s5
	flat_load_dwordx4 v[6:9], v[2:3]
	s_cselect_b32 s3, s10, s7
	s_cselect_b32 s4, s9, s6
	v_mov_b32_e32 v2, s4
	v_mov_b32_e32 v3, s3
	flat_load_dwordx4 v[2:5], v[2:3]
	s_waitcnt vmcnt(0) lgkmcnt(0)
	v_cmp_eq_f64_e32 vcc, 0, v[6:7]
	v_cmp_eq_f64_e64 s[4:5], 0, v[8:9]
	s_and_b64 s[8:9], vcc, s[4:5]
	s_mov_b64 s[4:5], -1
	s_and_saveexec_b64 s[6:7], s[8:9]
; %bb.1:
	v_cmp_neq_f64_e32 vcc, 1.0, v[2:3]
	v_cmp_neq_f64_e64 s[4:5], 0, v[4:5]
	s_or_b64 s[4:5], vcc, s[4:5]
	s_orn2_b64 s[4:5], s[4:5], exec
; %bb.2:
	s_or_b64 exec, exec, s[6:7]
	s_and_saveexec_b64 s[6:7], s[4:5]
	s_cbranch_execz .LBB100_114
; %bb.3:
	s_load_dwordx2 s[4:5], s[0:1], 0x8
	s_load_dwordx2 s[6:7], s[0:1], 0x18
	s_ashr_i32 s3, s2, 31
	s_lshl_b64 s[42:43], s[2:3], 2
	s_waitcnt lgkmcnt(0)
	s_add_u32 s4, s4, s42
	s_addc_u32 s5, s5, s43
	s_load_dwordx2 s[34:35], s[4:5], 0x0
	s_load_dwordx2 s[22:23], s[0:1], 0x60
	s_load_dwordx8 s[24:31], s[0:1], 0x30
	s_waitcnt lgkmcnt(0)
	s_sub_i32 s3, s35, s34
	s_add_u32 s4, s6, s42
	s_mov_b32 s40, s34
	s_addc_u32 s5, s7, s43
	s_ashr_i32 s41, s34, 31
	s_load_dword s33, s[4:5], 0x0
	s_lshl_b64 s[4:5], s[40:41], 2
	s_add_u32 s36, s24, s4
	s_addc_u32 s37, s25, s5
	s_load_dword s39, s[36:37], 0x0
	s_cmp_lt_i32 s3, 2
	s_mov_b64 s[4:5], -1
	s_cbranch_scc0 .LBB100_70
; %bb.4:
	s_cmp_lg_u32 s3, 1
	s_cselect_b64 s[4:5], -1, 0
	s_waitcnt lgkmcnt(0)
	s_cmp_lg_u32 s33, 0
	s_cselect_b64 s[6:7], -1, 0
	s_or_b64 s[4:5], s[4:5], s[6:7]
	s_mov_b64 s[18:19], -1
	s_and_b64 vcc, exec, s[4:5]
	v_cmp_gt_u32_e64 s[4:5], 64, v0
	v_cmp_gt_u32_e64 s[6:7], 32, v0
	;; [unrolled: 1-line block ×6, first 2 shown]
	v_cmp_eq_u32_e64 s[16:17], 0, v0
	s_cbranch_vccnz .LBB100_32
; %bb.5:
	s_mov_b32 s18, 0
	s_brev_b32 s19, 1
	v_mul_f64 v[14:15], v[8:9], s[18:19]
	s_movk_i32 s3, 0x80
	v_cmp_neq_f64_e64 s[18:19], 0, v[2:3]
	v_cmp_neq_f64_e64 s[20:21], 0, v[4:5]
	v_subrev_u32_e32 v1, s38, v0
	v_mul_f64 v[16:17], v[6:7], 0
	v_lshlrev_b32_e32 v24, 4, v0
	v_cmp_gt_u32_e32 vcc, s3, v0
	s_or_b64 s[20:21], s[18:19], s[20:21]
	s_mov_b64 s[44:45], 0x800
	s_mov_b64 s[46:47], 0x400
	v_mov_b32_e32 v25, 0
	s_mov_b32 s48, s34
	s_branch .LBB100_8
.LBB100_6:                              ;   in Loop: Header=BB100_8 Depth=1
	s_or_b64 exec, exec, s[50:51]
	s_lshl_b64 s[50:51], s[48:49], 4
	s_add_u32 s50, s22, s50
	s_addc_u32 s51, s23, s51
	s_waitcnt lgkmcnt(0)
	global_store_dwordx4 v25, v[10:13], s[50:51]
.LBB100_7:                              ;   in Loop: Header=BB100_8 Depth=1
	s_or_b64 exec, exec, s[18:19]
	s_add_i32 s48, s48, 1
	s_cmp_ge_i32 s48, s35
	s_cbranch_scc1 .LBB100_31
.LBB100_8:                              ; =>This Loop Header: Depth=1
                                        ;     Child Loop BB100_10 Depth 2
	s_ashr_i32 s49, s48, 31
	s_lshl_b64 s[18:19], s[48:49], 2
	s_add_u32 s18, s24, s18
	s_addc_u32 s19, s25, s19
	s_load_dwordx2 s[50:51], s[18:19], 0x0
	v_mov_b64_e32 v[12:13], 0
	v_mov_b64_e32 v[10:11], 0
	s_waitcnt lgkmcnt(0)
	s_sub_i32 s3, s51, s38
	v_add_u32_e32 v18, s50, v1
	v_cmp_gt_i32_e64 s[18:19], s3, v18
	s_and_saveexec_b64 s[50:51], s[18:19]
	s_cbranch_execz .LBB100_12
; %bb.9:                                ;   in Loop: Header=BB100_8 Depth=1
	v_ashrrev_i32_e32 v19, 31, v18
	v_mov_b64_e32 v[12:13], 0
	v_lshl_add_u64 v[20:21], v[18:19], 3, s[28:29]
	v_lshl_add_u64 v[22:23], v[18:19], 2, s[26:27]
	s_mov_b64 s[52:53], 0
	v_mov_b64_e32 v[10:11], v[12:13]
.LBB100_10:                             ;   Parent Loop BB100_8 Depth=1
                                        ; =>  This Inner Loop Header: Depth=2
	global_load_dword v19, v[22:23], off
	global_load_dwordx2 v[30:31], v[20:21], off
	v_add_u32_e32 v18, 0x100, v18
	v_cmp_le_i32_e64 s[18:19], s3, v18
	v_lshl_add_u64 v[20:21], v[20:21], 0, s[44:45]
	v_lshl_add_u64 v[22:23], v[22:23], 0, s[46:47]
	s_or_b64 s[52:53], s[18:19], s[52:53]
	s_waitcnt vmcnt(1)
	v_subrev_u32_e32 v26, s38, v19
	v_ashrrev_i32_e32 v27, 31, v26
	v_lshl_add_u64 v[26:27], v[26:27], 4, s[30:31]
	global_load_dwordx4 v[26:29], v[26:27], off
	s_waitcnt vmcnt(1)
	v_fma_f64 v[32:33], v[6:7], v[30:31], v[14:15]
	v_fma_f64 v[30:31], v[8:9], v[30:31], v[16:17]
	s_waitcnt vmcnt(0)
	v_fmac_f64_e32 v[10:11], v[32:33], v[26:27]
	v_fmac_f64_e32 v[12:13], v[30:31], v[26:27]
	v_fma_f64 v[10:11], -v[30:31], v[28:29], v[10:11]
	v_fmac_f64_e32 v[12:13], v[32:33], v[28:29]
	s_andn2_b64 exec, exec, s[52:53]
	s_cbranch_execnz .LBB100_10
; %bb.11:                               ;   in Loop: Header=BB100_8 Depth=1
	s_or_b64 exec, exec, s[52:53]
.LBB100_12:                             ;   in Loop: Header=BB100_8 Depth=1
	s_or_b64 exec, exec, s[50:51]
	ds_write_b128 v24, v[10:13]
	s_waitcnt lgkmcnt(0)
	s_barrier
	s_and_saveexec_b64 s[18:19], vcc
	s_cbranch_execz .LBB100_14
; %bb.13:                               ;   in Loop: Header=BB100_8 Depth=1
	ds_read_b128 v[10:13], v24 offset:2048
	ds_read_b128 v[18:21], v24
	s_waitcnt lgkmcnt(0)
	v_add_f64 v[10:11], v[10:11], v[18:19]
	v_add_f64 v[12:13], v[12:13], v[20:21]
	ds_write_b128 v24, v[10:13]
.LBB100_14:                             ;   in Loop: Header=BB100_8 Depth=1
	s_or_b64 exec, exec, s[18:19]
	s_waitcnt lgkmcnt(0)
	s_barrier
	s_and_saveexec_b64 s[18:19], s[4:5]
	s_cbranch_execz .LBB100_16
; %bb.15:                               ;   in Loop: Header=BB100_8 Depth=1
	ds_read_b128 v[10:13], v24 offset:1024
	ds_read_b128 v[18:21], v24
	s_waitcnt lgkmcnt(0)
	v_add_f64 v[10:11], v[10:11], v[18:19]
	v_add_f64 v[12:13], v[12:13], v[20:21]
	ds_write_b128 v24, v[10:13]
.LBB100_16:                             ;   in Loop: Header=BB100_8 Depth=1
	s_or_b64 exec, exec, s[18:19]
	s_waitcnt lgkmcnt(0)
	s_barrier
	s_and_saveexec_b64 s[18:19], s[6:7]
	;; [unrolled: 13-line block ×6, first 2 shown]
	s_cbranch_execz .LBB100_26
; %bb.25:                               ;   in Loop: Header=BB100_8 Depth=1
	ds_read_b128 v[10:13], v24
	ds_read_b128 v[18:21], v24 offset:32
	s_waitcnt lgkmcnt(0)
	v_add_f64 v[10:11], v[18:19], v[10:11]
	v_add_f64 v[12:13], v[20:21], v[12:13]
	ds_write_b128 v24, v[10:13]
.LBB100_26:                             ;   in Loop: Header=BB100_8 Depth=1
	s_or_b64 exec, exec, s[18:19]
	s_waitcnt lgkmcnt(0)
	s_barrier
	s_and_saveexec_b64 s[18:19], s[16:17]
	s_cbranch_execz .LBB100_28
; %bb.27:                               ;   in Loop: Header=BB100_8 Depth=1
	ds_read_b128 v[10:13], v25
	ds_read_b128 v[18:21], v25 offset:16
	s_waitcnt lgkmcnt(0)
	v_add_f64 v[10:11], v[18:19], v[10:11]
	v_add_f64 v[12:13], v[20:21], v[12:13]
	ds_write_b128 v25, v[10:13]
.LBB100_28:                             ;   in Loop: Header=BB100_8 Depth=1
	s_or_b64 exec, exec, s[18:19]
	s_waitcnt lgkmcnt(0)
	s_barrier
	s_and_saveexec_b64 s[18:19], s[16:17]
	s_cbranch_execz .LBB100_7
; %bb.29:                               ;   in Loop: Header=BB100_8 Depth=1
	ds_read_b128 v[10:13], v25
	s_and_saveexec_b64 s[50:51], s[20:21]
	s_cbranch_execz .LBB100_6
; %bb.30:                               ;   in Loop: Header=BB100_8 Depth=1
	s_lshl_b64 s[52:53], s[48:49], 4
	s_add_u32 s52, s22, s52
	s_addc_u32 s53, s23, s53
	global_load_dwordx4 v[18:21], v25, s[52:53]
	s_waitcnt vmcnt(0) lgkmcnt(0)
	v_fmac_f64_e32 v[10:11], v[2:3], v[18:19]
	v_fmac_f64_e32 v[12:13], v[4:5], v[18:19]
	v_fma_f64 v[10:11], -v[4:5], v[20:21], v[10:11]
	v_fmac_f64_e32 v[12:13], v[2:3], v[20:21]
	s_branch .LBB100_6
.LBB100_31:
	s_mov_b64 s[18:19], 0
.LBB100_32:
	s_and_b64 vcc, exec, s[18:19]
	s_cbranch_vccz .LBB100_69
; %bb.33:
	s_load_dwordx2 s[4:5], s[0:1], 0x10
	s_sub_i32 s6, s2, s33
	v_mov_b32_e32 v14, 0
	v_or_b32_e32 v10, s33, v0
	v_cmp_eq_u32_e32 vcc, 0, v10
	s_waitcnt lgkmcnt(0)
	s_add_u32 s2, s4, s42
	s_addc_u32 s3, s5, s43
	global_load_dword v1, v14, s[2:3]
	v_mov_b64_e32 v[10:11], 0
	v_mov_b64_e32 v[12:13], 0
	s_and_saveexec_b64 s[8:9], vcc
	s_cbranch_execz .LBB100_37
; %bb.34:
	s_lshl_b64 s[12:13], s[40:41], 4
	s_add_u32 s12, s22, s12
	s_addc_u32 s13, s23, s13
	global_load_dwordx4 v[14:17], v14, s[12:13]
	s_mov_b64 s[10:11], exec
	v_mbcnt_lo_u32_b32 v10, s10, 0
	v_add_f64 v[18:19], v[2:3], -1.0
	v_mbcnt_hi_u32_b32 v20, s11, v10
	v_cmp_eq_u32_e32 vcc, 0, v20
	s_waitcnt vmcnt(0) expcnt(0) lgkmcnt(0)
	v_mul_f64 v[10:11], v[16:17], -v[4:5]
	v_mul_f64 v[12:13], v[18:19], v[16:17]
	s_and_saveexec_b64 s[12:13], vcc
	s_cbranch_execz .LBB100_36
; %bb.35:
	s_ashr_i32 s7, s6, 31
	s_lshl_b64 s[14:15], s[6:7], 2
	s_add_u32 s14, s4, s14
	s_addc_u32 s15, s5, s15
	s_bcnt1_i32_b64 s7, s[10:11]
	s_and_b32 s7, s7, 1
	v_mov_b32_e32 v16, 0
	v_mov_b32_e32 v17, s7
	global_atomic_xor v16, v17, s[14:15]
.LBB100_36:
	s_or_b64 exec, exec, s[12:13]
	v_fmac_f64_e32 v[10:11], v[18:19], v[14:15]
	v_fmac_f64_e32 v[12:13], v[4:5], v[14:15]
.LBB100_37:
	s_or_b64 exec, exec, s[8:9]
	s_load_dword s8, s[36:37], 0x4
	s_mul_i32 s7, s33, 0xc00
	s_sub_i32 s9, s39, s38
	s_add_i32 s7, s9, s7
	v_add_u32_e32 v14, s7, v0
	s_waitcnt lgkmcnt(0)
	s_sub_i32 s10, s8, s38
	v_cmp_gt_i32_e32 vcc, s10, v14
	s_and_saveexec_b64 s[8:9], vcc
	s_cbranch_execz .LBB100_41
; %bb.38:
	s_addk_i32 s7, 0xc00
	s_min_i32 s7, s7, s10
	s_mov_b32 s10, 0
	s_brev_b32 s11, 1
	v_ashrrev_i32_e32 v15, 31, v14
	v_mul_f64 v[16:17], v[8:9], s[10:11]
	s_mov_b64 s[10:11], 0
	v_mul_f64 v[18:19], v[6:7], 0
	v_lshl_add_u64 v[20:21], v[14:15], 3, s[28:29]
	v_lshl_add_u64 v[22:23], v[14:15], 2, s[26:27]
	s_mov_b64 s[12:13], 0x800
	s_mov_b64 s[14:15], 0x400
.LBB100_39:                             ; =>This Inner Loop Header: Depth=1
	global_load_dword v15, v[22:23], off
	global_load_dwordx2 v[28:29], v[20:21], off
	v_add_u32_e32 v14, 0x100, v14
	v_cmp_le_i32_e32 vcc, s7, v14
	v_lshl_add_u64 v[20:21], v[20:21], 0, s[12:13]
	v_lshl_add_u64 v[22:23], v[22:23], 0, s[14:15]
	s_or_b64 s[10:11], vcc, s[10:11]
	s_waitcnt vmcnt(1)
	v_subrev_u32_e32 v24, s38, v15
	v_ashrrev_i32_e32 v25, 31, v24
	v_lshl_add_u64 v[24:25], v[24:25], 4, s[30:31]
	global_load_dwordx4 v[24:27], v[24:25], off
	s_waitcnt vmcnt(1)
	v_fma_f64 v[30:31], v[6:7], v[28:29], v[16:17]
	v_fma_f64 v[28:29], v[8:9], v[28:29], v[18:19]
	s_waitcnt vmcnt(0)
	v_fmac_f64_e32 v[10:11], v[30:31], v[24:25]
	v_fmac_f64_e32 v[12:13], v[28:29], v[24:25]
	v_fma_f64 v[10:11], -v[28:29], v[26:27], v[10:11]
	v_fmac_f64_e32 v[12:13], v[30:31], v[26:27]
	s_andn2_b64 exec, exec, s[10:11]
	s_cbranch_execnz .LBB100_39
; %bb.40:
	s_or_b64 exec, exec, s[10:11]
.LBB100_41:
	s_or_b64 exec, exec, s[8:9]
	s_movk_i32 s7, 0x80
	v_lshlrev_b32_e32 v14, 4, v0
	v_cmp_gt_u32_e32 vcc, s7, v0
	ds_write_b128 v14, v[10:13]
	s_waitcnt lgkmcnt(0)
	s_barrier
	s_and_saveexec_b64 s[8:9], vcc
	s_cbranch_execz .LBB100_43
; %bb.42:
	ds_read_b128 v[10:13], v14 offset:2048
	ds_read_b128 v[16:19], v14
	s_waitcnt lgkmcnt(0)
	v_add_f64 v[10:11], v[10:11], v[16:17]
	v_add_f64 v[12:13], v[12:13], v[18:19]
	ds_write_b128 v14, v[10:13]
.LBB100_43:
	s_or_b64 exec, exec, s[8:9]
	v_cmp_gt_u32_e32 vcc, 64, v0
	s_waitcnt lgkmcnt(0)
	s_barrier
	s_and_saveexec_b64 s[8:9], vcc
	s_cbranch_execz .LBB100_45
; %bb.44:
	ds_read_b128 v[10:13], v14 offset:1024
	ds_read_b128 v[16:19], v14
	s_waitcnt lgkmcnt(0)
	v_add_f64 v[10:11], v[10:11], v[16:17]
	v_add_f64 v[12:13], v[12:13], v[18:19]
	ds_write_b128 v14, v[10:13]
.LBB100_45:
	s_or_b64 exec, exec, s[8:9]
	v_cmp_gt_u32_e32 vcc, 32, v0
	;; [unrolled: 14-line block ×6, first 2 shown]
	s_waitcnt lgkmcnt(0)
	s_barrier
	s_and_saveexec_b64 s[8:9], vcc
	s_cbranch_execz .LBB100_55
; %bb.54:
	ds_read_b128 v[10:13], v14
	ds_read_b128 v[16:19], v14 offset:32
	s_waitcnt lgkmcnt(0)
	v_add_f64 v[10:11], v[16:17], v[10:11]
	v_add_f64 v[12:13], v[18:19], v[12:13]
	ds_write_b128 v14, v[10:13]
.LBB100_55:
	s_or_b64 exec, exec, s[8:9]
	v_cmp_eq_u32_e32 vcc, 0, v0
	s_waitcnt lgkmcnt(0)
	s_barrier
	s_and_saveexec_b64 s[8:9], vcc
	s_cbranch_execz .LBB100_57
; %bb.56:
	v_mov_b32_e32 v18, 0
	ds_read_b128 v[10:13], v18
	ds_read_b128 v[14:17], v18 offset:16
	s_waitcnt lgkmcnt(0)
	v_add_f64 v[10:11], v[14:15], v[10:11]
	v_add_f64 v[12:13], v[16:17], v[12:13]
	ds_write_b128 v18, v[10:13]
.LBB100_57:
	s_or_b64 exec, exec, s[8:9]
	s_waitcnt lgkmcnt(0)
	s_barrier
	s_and_saveexec_b64 s[8:9], vcc
	s_cbranch_execz .LBB100_68
; %bb.58:
	s_cmp_eq_u32 s33, 0
	s_cbranch_scc1 .LBB100_64
; %bb.59:
	s_ashr_i32 s7, s6, 31
	s_lshl_b64 s[6:7], s[6:7], 2
	s_add_u32 s4, s4, s6
	s_addc_u32 s5, s5, s7
	v_mov_b32_e32 v10, 0
	s_branch .LBB100_61
.LBB100_60:                             ;   in Loop: Header=BB100_61 Depth=1
	s_or_b64 exec, exec, s[6:7]
	s_waitcnt vmcnt(0)
	v_readfirstlane_b32 s6, v11
	s_nop 1
	v_cmp_eq_u32_e32 vcc, s6, v1
	s_cbranch_vccz .LBB100_63
.LBB100_61:                             ; =>This Inner Loop Header: Depth=1
	v_mbcnt_lo_u32_b32 v11, exec_lo, 0
	v_mbcnt_hi_u32_b32 v11, exec_hi, v11
	v_cmp_eq_u32_e32 vcc, 0, v11
                                        ; implicit-def: $vgpr11
	s_and_saveexec_b64 s[6:7], vcc
	s_cbranch_execz .LBB100_60
; %bb.62:                               ;   in Loop: Header=BB100_61 Depth=1
	global_load_dword v11, v10, s[4:5] sc1
	s_branch .LBB100_60
.LBB100_63:
	v_mov_b32_e32 v1, 0
	global_load_ushort v10, v1, s[2:3]
	s_waitcnt vmcnt(0)
	v_xor_b32_e32 v10, 1, v10
	global_store_short v1, v10, s[2:3]
.LBB100_64:
	s_waitcnt vmcnt(0)
	v_mov_b32_e32 v1, 0
	ds_read_b128 v[10:13], v1
	s_mov_b64 s[4:5], exec
	s_lshl_b64 s[2:3], s[40:41], 4
	v_mbcnt_lo_u32_b32 v14, s4, 0
	s_add_u32 s2, s22, s2
	v_mbcnt_hi_u32_b32 v14, s5, v14
	s_addc_u32 s3, s23, s3
	v_cmp_eq_u32_e32 vcc, 0, v14
	s_and_saveexec_b64 s[6:7], vcc
	s_cbranch_execz .LBB100_66
; %bb.65:
	s_bcnt1_i32_b64 s4, s[4:5]
	v_cvt_f64_u32_e32 v[14:15], s4
	s_waitcnt lgkmcnt(0)
	v_mul_f64 v[10:11], v[10:11], v[14:15]
	global_atomic_add_f64 v1, v[10:11], s[2:3]
.LBB100_66:
	s_or_b64 exec, exec, s[6:7]
	s_mov_b64 s[4:5], exec
	v_mbcnt_lo_u32_b32 v1, s4, 0
	v_mbcnt_hi_u32_b32 v1, s5, v1
	v_cmp_eq_u32_e32 vcc, 0, v1
	s_and_b64 s[6:7], exec, vcc
	s_mov_b64 exec, s[6:7]
	s_cbranch_execz .LBB100_68
; %bb.67:
	s_bcnt1_i32_b64 s4, s[4:5]
	s_waitcnt lgkmcnt(0)
	v_cvt_f64_u32_e32 v[10:11], s4
	v_mul_f64 v[10:11], v[12:13], v[10:11]
	v_mov_b32_e32 v1, 0
	global_atomic_add_f64 v1, v[10:11], s[2:3] offset:8
.LBB100_68:
	s_or_b64 exec, exec, s[8:9]
.LBB100_69:
	s_mov_b64 s[4:5], 0
.LBB100_70:
	s_andn2_b64 vcc, exec, s[4:5]
	s_cbranch_vccnz .LBB100_114
; %bb.71:
	s_load_dword s0, s[0:1], 0x4
	s_waitcnt vmcnt(0)
	v_subrev_u32_e32 v1, s38, v0
	s_waitcnt lgkmcnt(0)
	v_add_u32_e32 v10, s39, v1
	v_add_u32_e32 v1, 0x300, v10
	v_cmp_le_i32_e32 vcc, s0, v1
	s_and_saveexec_b64 s[0:1], vcc
	s_xor_b64 s[0:1], exec, s[0:1]
	s_cbranch_execz .LBB100_76
; %bb.72:
	s_ashr_i32 s3, s35, 31
	s_mov_b32 s2, s35
	s_lshl_b64 s[2:3], s[2:3], 2
	s_add_u32 s2, s24, s2
	s_addc_u32 s3, s25, s3
	s_load_dword s2, s[2:3], 0x0
	s_waitcnt lgkmcnt(0)
	s_sub_i32 s6, s2, s38
	v_cmp_gt_i32_e32 vcc, s6, v10
	s_and_saveexec_b64 s[2:3], vcc
	s_cbranch_execz .LBB100_75
; %bb.73:
	s_mov_b32 s4, 0
	s_brev_b32 s5, 1
	v_mul_f64 v[12:13], v[8:9], s[4:5]
	s_mov_b64 s[4:5], 0
	v_mul_f64 v[14:15], v[6:7], 0
	v_lshlrev_b32_e32 v1, 4, v0
.LBB100_74:                             ; =>This Inner Loop Header: Depth=1
	v_ashrrev_i32_e32 v11, 31, v10
	v_lshl_add_u64 v[16:17], v[10:11], 2, s[26:27]
	global_load_dword v18, v[16:17], off
	v_lshl_add_u64 v[16:17], v[10:11], 3, s[28:29]
	global_load_dwordx2 v[20:21], v[16:17], off
	v_add_u32_e32 v10, 0x100, v10
	v_cmp_le_i32_e32 vcc, s6, v10
	s_or_b64 s[4:5], vcc, s[4:5]
	s_waitcnt vmcnt(1)
	v_subrev_u32_e32 v16, s38, v18
	v_ashrrev_i32_e32 v17, 31, v16
	v_lshl_add_u64 v[16:17], v[16:17], 4, s[30:31]
	global_load_dwordx4 v[16:19], v[16:17], off
	s_waitcnt vmcnt(1)
	v_fma_f64 v[24:25], v[6:7], v[20:21], v[12:13]
	v_fma_f64 v[26:27], v[8:9], v[20:21], v[14:15]
	s_waitcnt vmcnt(0)
	v_mul_f64 v[20:21], v[18:19], -v[26:27]
	v_mul_f64 v[22:23], v[24:25], v[18:19]
	v_fmac_f64_e32 v[20:21], v[24:25], v[16:17]
	v_fmac_f64_e32 v[22:23], v[26:27], v[16:17]
	ds_write_b128 v1, v[20:23]
	v_add_u32_e32 v1, 0x1000, v1
	s_andn2_b64 exec, exec, s[4:5]
	s_cbranch_execnz .LBB100_74
.LBB100_75:
	s_or_b64 exec, exec, s[2:3]
                                        ; implicit-def: $vgpr8_vgpr9
                                        ; implicit-def: $vgpr10
.LBB100_76:
	s_or_saveexec_b64 s[0:1], s[0:1]
	v_lshlrev_b32_e32 v1, 4, v0
	s_xor_b64 exec, exec, s[0:1]
	s_cbranch_execz .LBB100_78
; %bb.77:
	v_ashrrev_i32_e32 v11, 31, v10
	v_lshl_add_u64 v[12:13], v[10:11], 2, s[26:27]
	global_load_dword v14, v[12:13], off
	global_load_dword v15, v[12:13], off offset:1024
	global_load_dword v16, v[12:13], off offset:2048
	;; [unrolled: 1-line block ×3, first 2 shown]
	s_movk_i32 s2, 0x1000
	v_lshl_add_u64 v[10:11], v[10:11], 3, s[28:29]
	global_load_dwordx2 v[26:27], v[10:11], off
	global_load_dwordx2 v[28:29], v[10:11], off offset:2048
	v_add_co_u32_e32 v10, vcc, s2, v10
	s_mov_b32 s2, 0
	s_nop 0
	v_addc_co_u32_e32 v11, vcc, 0, v11, vcc
	global_load_dwordx2 v[30:31], v[10:11], off
	global_load_dwordx2 v[32:33], v[10:11], off offset:2048
	s_brev_b32 s3, 1
	v_mul_f64 v[38:39], v[6:7], 0
	v_mul_f64 v[40:41], v[8:9], s[2:3]
	s_waitcnt vmcnt(7)
	v_subrev_u32_e32 v10, s38, v14
	s_waitcnt vmcnt(6)
	v_subrev_u32_e32 v14, s38, v15
	;; [unrolled: 2-line block ×4, first 2 shown]
	v_ashrrev_i32_e32 v11, 31, v10
	v_ashrrev_i32_e32 v15, 31, v14
	;; [unrolled: 1-line block ×4, first 2 shown]
	v_lshl_add_u64 v[10:11], v[10:11], 4, s[30:31]
	global_load_dwordx4 v[10:13], v[10:11], off
	v_lshl_add_u64 v[14:15], v[14:15], 4, s[30:31]
	v_lshl_add_u64 v[18:19], v[18:19], 4, s[30:31]
	;; [unrolled: 1-line block ×3, first 2 shown]
	global_load_dwordx4 v[14:17], v[14:15], off
	s_waitcnt vmcnt(5)
	v_fma_f64 v[42:43], v[6:7], v[26:27], v[40:41]
	global_load_dwordx4 v[18:21], v[18:19], off
	v_fma_f64 v[44:45], v[8:9], v[26:27], v[38:39]
	global_load_dwordx4 v[22:25], v[22:23], off
	s_waitcnt vmcnt(6)
	v_fma_f64 v[46:47], v[6:7], v[28:29], v[40:41]
	v_fma_f64 v[48:49], v[8:9], v[28:29], v[38:39]
	s_waitcnt vmcnt(5)
	v_fma_f64 v[50:51], v[6:7], v[30:31], v[40:41]
	v_fma_f64 v[52:53], v[8:9], v[30:31], v[38:39]
	s_waitcnt vmcnt(4)
	v_fmac_f64_e32 v[40:41], v[6:7], v[32:33]
	v_fmac_f64_e32 v[38:39], v[8:9], v[32:33]
	s_waitcnt vmcnt(3)
	v_mul_f64 v[6:7], v[12:13], -v[44:45]
	v_mul_f64 v[8:9], v[42:43], v[12:13]
	v_fmac_f64_e32 v[6:7], v[42:43], v[10:11]
	v_fmac_f64_e32 v[8:9], v[44:45], v[10:11]
	s_waitcnt vmcnt(2)
	v_mul_f64 v[26:27], v[16:17], -v[48:49]
	v_mul_f64 v[28:29], v[46:47], v[16:17]
	s_waitcnt vmcnt(1)
	v_mul_f64 v[30:31], v[20:21], -v[52:53]
	v_mul_f64 v[32:33], v[50:51], v[20:21]
	;; [unrolled: 3-line block ×3, first 2 shown]
	v_fmac_f64_e32 v[26:27], v[46:47], v[14:15]
	v_fmac_f64_e32 v[28:29], v[48:49], v[14:15]
	;; [unrolled: 1-line block ×6, first 2 shown]
	ds_write_b128 v1, v[6:9]
	ds_write_b128 v1, v[26:29] offset:4096
	ds_write_b128 v1, v[30:33] offset:8192
	;; [unrolled: 1-line block ×3, first 2 shown]
.LBB100_78:
	s_or_b64 exec, exec, s[0:1]
	s_cmp_lt_i32 s33, 2
	s_mov_b64 s[0:1], -1
	s_waitcnt lgkmcnt(0)
	s_barrier
	s_cbranch_scc0 .LBB100_89
; %bb.79:
	v_add_u32_e32 v10, s34, v0
	v_cmp_gt_i32_e32 vcc, s35, v10
	s_and_saveexec_b64 s[2:3], vcc
	s_cbranch_execz .LBB100_88
; %bb.80:
	v_cmp_neq_f64_e32 vcc, 0, v[2:3]
	v_cmp_neq_f64_e64 s[0:1], 0, v[4:5]
	s_lshl_b32 s6, s39, 4
	s_mov_b64 s[4:5], 0
	s_or_b64 s[0:1], vcc, s[0:1]
	s_sub_i32 s10, 0, s6
	s_branch .LBB100_82
.LBB100_81:                             ;   in Loop: Header=BB100_82 Depth=1
	s_or_b64 exec, exec, s[6:7]
	v_add_u32_e32 v10, 0x100, v10
	v_cmp_le_i32_e32 vcc, s35, v10
	s_or_b64 s[4:5], vcc, s[4:5]
	global_store_dwordx4 v[12:13], v[6:9], off
	s_andn2_b64 exec, exec, s[4:5]
	s_cbranch_execz .LBB100_88
.LBB100_82:                             ; =>This Loop Header: Depth=1
                                        ;     Child Loop BB100_84 Depth 2
	v_ashrrev_i32_e32 v11, 31, v10
	v_lshl_add_u64 v[6:7], v[10:11], 2, s[24:25]
	global_load_dwordx2 v[12:13], v[6:7], off
	v_mov_b64_e32 v[8:9], 0
	v_mov_b64_e32 v[6:7], 0
	s_waitcnt vmcnt(0)
	v_cmp_lt_i32_e32 vcc, v12, v13
	s_and_saveexec_b64 s[6:7], vcc
	s_cbranch_execz .LBB100_86
; %bb.83:                               ;   in Loop: Header=BB100_82 Depth=1
	v_mov_b64_e32 v[8:9], 0
	v_subrev_u32_e32 v13, s39, v13
	v_subrev_u32_e32 v14, s39, v12
	v_lshl_add_u32 v12, v12, 4, s10
	s_mov_b64 s[8:9], 0
	v_mov_b64_e32 v[6:7], v[8:9]
.LBB100_84:                             ;   Parent Loop BB100_82 Depth=1
                                        ; =>  This Inner Loop Header: Depth=2
	ds_read_b128 v[16:19], v12
	v_add_u32_e32 v14, 1, v14
	v_cmp_ge_i32_e32 vcc, v14, v13
	v_add_u32_e32 v12, 16, v12
	s_or_b64 s[8:9], vcc, s[8:9]
	s_waitcnt lgkmcnt(0)
	v_add_f64 v[6:7], v[6:7], v[16:17]
	v_add_f64 v[8:9], v[8:9], v[18:19]
	s_andn2_b64 exec, exec, s[8:9]
	s_cbranch_execnz .LBB100_84
; %bb.85:                               ;   in Loop: Header=BB100_82 Depth=1
	s_or_b64 exec, exec, s[8:9]
.LBB100_86:                             ;   in Loop: Header=BB100_82 Depth=1
	s_or_b64 exec, exec, s[6:7]
	v_lshl_add_u64 v[12:13], v[10:11], 4, s[22:23]
	s_and_saveexec_b64 s[6:7], s[0:1]
	s_cbranch_execz .LBB100_81
; %bb.87:                               ;   in Loop: Header=BB100_82 Depth=1
	global_load_dwordx4 v[14:17], v[12:13], off
	s_waitcnt vmcnt(0)
	v_fmac_f64_e32 v[6:7], v[2:3], v[14:15]
	v_fmac_f64_e32 v[8:9], v[4:5], v[14:15]
	v_fma_f64 v[6:7], -v[4:5], v[16:17], v[6:7]
	v_fmac_f64_e32 v[8:9], v[2:3], v[16:17]
	s_branch .LBB100_81
.LBB100_88:
	s_or_b64 exec, exec, s[2:3]
	s_mov_b64 s[0:1], 0
.LBB100_89:
	s_andn2_b64 vcc, exec, s[0:1]
	s_cbranch_vccnz .LBB100_114
; %bb.90:
	s_flbit_i32_b32 s0, s33
	s_xor_b32 s0, s0, 31
	v_lshrrev_b32_e32 v11, s0, v0
	v_add_u32_e32 v10, s34, v11
	s_add_i32 s0, s33, -1
	v_mov_b64_e32 v[6:7], 0
	v_and_b32_e32 v0, s0, v0
	v_cmp_le_i32_e32 vcc, s35, v10
	v_cmp_gt_i32_e64 s[0:1], s35, v10
	v_mov_b64_e32 v[8:9], v[6:7]
	s_and_saveexec_b64 s[2:3], s[0:1]
	s_cbranch_execz .LBB100_96
; %bb.91:
	v_lshlrev_b32_e32 v6, 2, v11
	global_load_dwordx2 v[6:7], v6, s[36:37]
	v_subrev_u32_e32 v12, s39, v0
	v_mov_b64_e32 v[8:9], 0
	s_waitcnt vmcnt(0)
	v_subrev_u32_e32 v11, s39, v7
	v_add_u32_e32 v12, v6, v12
	v_cmp_lt_i32_e64 s[0:1], v12, v11
	v_mov_b64_e32 v[6:7], 0
	s_and_saveexec_b64 s[4:5], s[0:1]
	s_cbranch_execz .LBB100_95
; %bb.92:
	v_mov_b64_e32 v[8:9], 0
	v_lshlrev_b32_e32 v13, 4, v12
	s_lshl_b32 s8, s33, 4
	s_mov_b64 s[6:7], 0
	v_mov_b64_e32 v[6:7], v[8:9]
.LBB100_93:                             ; =>This Inner Loop Header: Depth=1
	ds_read_b128 v[14:17], v13
	v_add_u32_e32 v12, s33, v12
	v_cmp_ge_i32_e64 s[0:1], v12, v11
	v_add_u32_e32 v13, s8, v13
	s_or_b64 s[6:7], s[0:1], s[6:7]
	s_waitcnt lgkmcnt(0)
	v_add_f64 v[6:7], v[6:7], v[14:15]
	v_add_f64 v[8:9], v[8:9], v[16:17]
	s_andn2_b64 exec, exec, s[6:7]
	s_cbranch_execnz .LBB100_93
; %bb.94:
	s_or_b64 exec, exec, s[6:7]
.LBB100_95:
	s_or_b64 exec, exec, s[4:5]
.LBB100_96:
	s_or_b64 exec, exec, s[2:3]
	s_cmpk_lt_u32 s33, 0x81
	s_barrier
	ds_write_b128 v1, v[6:9]
	s_waitcnt lgkmcnt(0)
	s_barrier
	s_cbranch_scc1 .LBB100_98
; %bb.97:
	ds_read_b128 v[12:15], v1 offset:2048
	s_waitcnt lgkmcnt(0)
	s_barrier
	v_add_f64 v[6:7], v[6:7], v[12:13]
	v_add_f64 v[8:9], v[8:9], v[14:15]
	ds_write_b128 v1, v[6:9]
.LBB100_98:
	s_cmpk_lt_u32 s33, 0x41
	s_waitcnt lgkmcnt(0)
	s_barrier
	s_cbranch_scc1 .LBB100_100
; %bb.99:
	ds_read_b128 v[12:15], v1 offset:1024
	s_waitcnt lgkmcnt(0)
	s_barrier
	v_add_f64 v[6:7], v[6:7], v[12:13]
	v_add_f64 v[8:9], v[8:9], v[14:15]
	ds_write_b128 v1, v[6:9]
.LBB100_100:
	s_cmp_lt_u32 s33, 33
	s_waitcnt lgkmcnt(0)
	s_barrier
	s_cbranch_scc1 .LBB100_102
; %bb.101:
	ds_read_b128 v[12:15], v1 offset:512
	s_waitcnt lgkmcnt(0)
	s_barrier
	v_add_f64 v[6:7], v[6:7], v[12:13]
	v_add_f64 v[8:9], v[8:9], v[14:15]
	ds_write_b128 v1, v[6:9]
.LBB100_102:
	s_cmp_lt_u32 s33, 17
	;; [unrolled: 12-line block ×4, first 2 shown]
	s_waitcnt lgkmcnt(0)
	s_barrier
	s_cbranch_scc1 .LBB100_108
; %bb.107:
	ds_read_b128 v[12:15], v1 offset:64
	s_waitcnt lgkmcnt(0)
	s_barrier
	v_add_f64 v[6:7], v[6:7], v[12:13]
	v_add_f64 v[8:9], v[8:9], v[14:15]
	ds_write_b128 v1, v[6:9]
.LBB100_108:
	s_cmp_eq_u32 s33, 2
	s_waitcnt lgkmcnt(0)
	s_barrier
	s_cbranch_scc1 .LBB100_110
; %bb.109:
	ds_read_b128 v[12:15], v1 offset:32
	s_waitcnt lgkmcnt(0)
	s_barrier
	v_add_f64 v[6:7], v[6:7], v[12:13]
	v_add_f64 v[8:9], v[8:9], v[14:15]
	ds_write_b128 v1, v[6:9]
.LBB100_110:
	s_waitcnt lgkmcnt(0)
	s_barrier
	ds_read_b128 v[12:15], v1 offset:16
	v_cmp_eq_u32_e64 s[0:1], 0, v0
	s_xor_b64 s[2:3], vcc, -1
	s_and_b64 s[0:1], s[0:1], s[2:3]
	s_waitcnt lgkmcnt(0)
	v_add_f64 v[6:7], v[6:7], v[12:13]
	v_add_f64 v[8:9], v[8:9], v[14:15]
	s_barrier
	ds_write_b128 v1, v[6:9]
	s_and_b64 exec, exec, s[0:1]
	s_cbranch_execz .LBB100_114
; %bb.111:
	v_ashrrev_i32_e32 v11, 31, v10
	v_cmp_neq_f64_e32 vcc, 0, v[2:3]
	v_cmp_neq_f64_e64 s[0:1], 0, v[4:5]
	s_or_b64 s[2:3], vcc, s[0:1]
	v_lshl_add_u64 v[0:1], v[10:11], 4, s[22:23]
	s_and_saveexec_b64 s[0:1], s[2:3]
	s_cbranch_execz .LBB100_113
; %bb.112:
	global_load_dwordx4 v[10:13], v[0:1], off
	s_waitcnt vmcnt(0)
	v_fmac_f64_e32 v[6:7], v[2:3], v[10:11]
	v_fmac_f64_e32 v[8:9], v[4:5], v[10:11]
	v_fma_f64 v[6:7], -v[4:5], v[12:13], v[6:7]
	v_fmac_f64_e32 v[8:9], v[2:3], v[12:13]
.LBB100_113:
	s_or_b64 exec, exec, s[0:1]
	global_store_dwordx4 v[0:1], v[6:9], off
.LBB100_114:
	s_endpgm
	.section	.rodata,"a",@progbits
	.p2align	6, 0x0
	.amdhsa_kernel _ZN9rocsparseL22csrmvn_adaptive_kernelIiid21rocsparse_complex_numIdES2_S2_EEvbT_PKS3_PjPKT0_NS_24const_host_device_scalarIT4_EES5_S9_PKT1_PKT2_SC_PT3_21rocsparse_index_base_b
		.amdhsa_group_segment_fixed_size 16384
		.amdhsa_private_segment_fixed_size 0
		.amdhsa_kernarg_size 112
		.amdhsa_user_sgpr_count 2
		.amdhsa_user_sgpr_dispatch_ptr 0
		.amdhsa_user_sgpr_queue_ptr 0
		.amdhsa_user_sgpr_kernarg_segment_ptr 1
		.amdhsa_user_sgpr_dispatch_id 0
		.amdhsa_user_sgpr_kernarg_preload_length 0
		.amdhsa_user_sgpr_kernarg_preload_offset 0
		.amdhsa_user_sgpr_private_segment_size 0
		.amdhsa_uses_dynamic_stack 0
		.amdhsa_enable_private_segment 0
		.amdhsa_system_sgpr_workgroup_id_x 1
		.amdhsa_system_sgpr_workgroup_id_y 0
		.amdhsa_system_sgpr_workgroup_id_z 0
		.amdhsa_system_sgpr_workgroup_info 0
		.amdhsa_system_vgpr_workitem_id 0
		.amdhsa_next_free_vgpr 54
		.amdhsa_next_free_sgpr 54
		.amdhsa_accum_offset 56
		.amdhsa_reserve_vcc 1
		.amdhsa_float_round_mode_32 0
		.amdhsa_float_round_mode_16_64 0
		.amdhsa_float_denorm_mode_32 3
		.amdhsa_float_denorm_mode_16_64 3
		.amdhsa_dx10_clamp 1
		.amdhsa_ieee_mode 1
		.amdhsa_fp16_overflow 0
		.amdhsa_tg_split 0
		.amdhsa_exception_fp_ieee_invalid_op 0
		.amdhsa_exception_fp_denorm_src 0
		.amdhsa_exception_fp_ieee_div_zero 0
		.amdhsa_exception_fp_ieee_overflow 0
		.amdhsa_exception_fp_ieee_underflow 0
		.amdhsa_exception_fp_ieee_inexact 0
		.amdhsa_exception_int_div_zero 0
	.end_amdhsa_kernel
	.section	.text._ZN9rocsparseL22csrmvn_adaptive_kernelIiid21rocsparse_complex_numIdES2_S2_EEvbT_PKS3_PjPKT0_NS_24const_host_device_scalarIT4_EES5_S9_PKT1_PKT2_SC_PT3_21rocsparse_index_base_b,"axG",@progbits,_ZN9rocsparseL22csrmvn_adaptive_kernelIiid21rocsparse_complex_numIdES2_S2_EEvbT_PKS3_PjPKT0_NS_24const_host_device_scalarIT4_EES5_S9_PKT1_PKT2_SC_PT3_21rocsparse_index_base_b,comdat
.Lfunc_end100:
	.size	_ZN9rocsparseL22csrmvn_adaptive_kernelIiid21rocsparse_complex_numIdES2_S2_EEvbT_PKS3_PjPKT0_NS_24const_host_device_scalarIT4_EES5_S9_PKT1_PKT2_SC_PT3_21rocsparse_index_base_b, .Lfunc_end100-_ZN9rocsparseL22csrmvn_adaptive_kernelIiid21rocsparse_complex_numIdES2_S2_EEvbT_PKS3_PjPKT0_NS_24const_host_device_scalarIT4_EES5_S9_PKT1_PKT2_SC_PT3_21rocsparse_index_base_b
                                        ; -- End function
	.set _ZN9rocsparseL22csrmvn_adaptive_kernelIiid21rocsparse_complex_numIdES2_S2_EEvbT_PKS3_PjPKT0_NS_24const_host_device_scalarIT4_EES5_S9_PKT1_PKT2_SC_PT3_21rocsparse_index_base_b.num_vgpr, 54
	.set _ZN9rocsparseL22csrmvn_adaptive_kernelIiid21rocsparse_complex_numIdES2_S2_EEvbT_PKS3_PjPKT0_NS_24const_host_device_scalarIT4_EES5_S9_PKT1_PKT2_SC_PT3_21rocsparse_index_base_b.num_agpr, 0
	.set _ZN9rocsparseL22csrmvn_adaptive_kernelIiid21rocsparse_complex_numIdES2_S2_EEvbT_PKS3_PjPKT0_NS_24const_host_device_scalarIT4_EES5_S9_PKT1_PKT2_SC_PT3_21rocsparse_index_base_b.numbered_sgpr, 54
	.set _ZN9rocsparseL22csrmvn_adaptive_kernelIiid21rocsparse_complex_numIdES2_S2_EEvbT_PKS3_PjPKT0_NS_24const_host_device_scalarIT4_EES5_S9_PKT1_PKT2_SC_PT3_21rocsparse_index_base_b.num_named_barrier, 0
	.set _ZN9rocsparseL22csrmvn_adaptive_kernelIiid21rocsparse_complex_numIdES2_S2_EEvbT_PKS3_PjPKT0_NS_24const_host_device_scalarIT4_EES5_S9_PKT1_PKT2_SC_PT3_21rocsparse_index_base_b.private_seg_size, 0
	.set _ZN9rocsparseL22csrmvn_adaptive_kernelIiid21rocsparse_complex_numIdES2_S2_EEvbT_PKS3_PjPKT0_NS_24const_host_device_scalarIT4_EES5_S9_PKT1_PKT2_SC_PT3_21rocsparse_index_base_b.uses_vcc, 1
	.set _ZN9rocsparseL22csrmvn_adaptive_kernelIiid21rocsparse_complex_numIdES2_S2_EEvbT_PKS3_PjPKT0_NS_24const_host_device_scalarIT4_EES5_S9_PKT1_PKT2_SC_PT3_21rocsparse_index_base_b.uses_flat_scratch, 0
	.set _ZN9rocsparseL22csrmvn_adaptive_kernelIiid21rocsparse_complex_numIdES2_S2_EEvbT_PKS3_PjPKT0_NS_24const_host_device_scalarIT4_EES5_S9_PKT1_PKT2_SC_PT3_21rocsparse_index_base_b.has_dyn_sized_stack, 0
	.set _ZN9rocsparseL22csrmvn_adaptive_kernelIiid21rocsparse_complex_numIdES2_S2_EEvbT_PKS3_PjPKT0_NS_24const_host_device_scalarIT4_EES5_S9_PKT1_PKT2_SC_PT3_21rocsparse_index_base_b.has_recursion, 0
	.set _ZN9rocsparseL22csrmvn_adaptive_kernelIiid21rocsparse_complex_numIdES2_S2_EEvbT_PKS3_PjPKT0_NS_24const_host_device_scalarIT4_EES5_S9_PKT1_PKT2_SC_PT3_21rocsparse_index_base_b.has_indirect_call, 0
	.section	.AMDGPU.csdata,"",@progbits
; Kernel info:
; codeLenInByte = 4496
; TotalNumSgprs: 60
; NumVgprs: 54
; NumAgprs: 0
; TotalNumVgprs: 54
; ScratchSize: 0
; MemoryBound: 0
; FloatMode: 240
; IeeeMode: 1
; LDSByteSize: 16384 bytes/workgroup (compile time only)
; SGPRBlocks: 7
; VGPRBlocks: 6
; NumSGPRsForWavesPerEU: 60
; NumVGPRsForWavesPerEU: 54
; AccumOffset: 56
; Occupancy: 8
; WaveLimiterHint : 1
; COMPUTE_PGM_RSRC2:SCRATCH_EN: 0
; COMPUTE_PGM_RSRC2:USER_SGPR: 2
; COMPUTE_PGM_RSRC2:TRAP_HANDLER: 0
; COMPUTE_PGM_RSRC2:TGID_X_EN: 1
; COMPUTE_PGM_RSRC2:TGID_Y_EN: 0
; COMPUTE_PGM_RSRC2:TGID_Z_EN: 0
; COMPUTE_PGM_RSRC2:TIDIG_COMP_CNT: 0
; COMPUTE_PGM_RSRC3_GFX90A:ACCUM_OFFSET: 13
; COMPUTE_PGM_RSRC3_GFX90A:TG_SPLIT: 0
	.section	.text._ZN9rocsparseL27csrmvn_symm_adaptive_kernelIiid21rocsparse_complex_numIdES2_S2_EEvbT_S3_PKS3_NS_24const_host_device_scalarIT4_EES5_PKT0_PKT1_PKT2_S8_PT3_21rocsparse_index_base_b,"axG",@progbits,_ZN9rocsparseL27csrmvn_symm_adaptive_kernelIiid21rocsparse_complex_numIdES2_S2_EEvbT_S3_PKS3_NS_24const_host_device_scalarIT4_EES5_PKT0_PKT1_PKT2_S8_PT3_21rocsparse_index_base_b,comdat
	.globl	_ZN9rocsparseL27csrmvn_symm_adaptive_kernelIiid21rocsparse_complex_numIdES2_S2_EEvbT_S3_PKS3_NS_24const_host_device_scalarIT4_EES5_PKT0_PKT1_PKT2_S8_PT3_21rocsparse_index_base_b ; -- Begin function _ZN9rocsparseL27csrmvn_symm_adaptive_kernelIiid21rocsparse_complex_numIdES2_S2_EEvbT_S3_PKS3_NS_24const_host_device_scalarIT4_EES5_PKT0_PKT1_PKT2_S8_PT3_21rocsparse_index_base_b
	.p2align	8
	.type	_ZN9rocsparseL27csrmvn_symm_adaptive_kernelIiid21rocsparse_complex_numIdES2_S2_EEvbT_S3_PKS3_NS_24const_host_device_scalarIT4_EES5_PKT0_PKT1_PKT2_S8_PT3_21rocsparse_index_base_b,@function
_ZN9rocsparseL27csrmvn_symm_adaptive_kernelIiid21rocsparse_complex_numIdES2_S2_EEvbT_S3_PKS3_NS_24const_host_device_scalarIT4_EES5_PKT0_PKT1_PKT2_S8_PT3_21rocsparse_index_base_b: ; @_ZN9rocsparseL27csrmvn_symm_adaptive_kernelIiid21rocsparse_complex_numIdES2_S2_EEvbT_S3_PKS3_NS_24const_host_device_scalarIT4_EES5_PKT0_PKT1_PKT2_S8_PT3_21rocsparse_index_base_b
; %bb.0:
	s_load_dwordx2 s[22:23], s[0:1], 0x60
	s_load_dwordx2 s[4:5], s[0:1], 0x18
	s_add_u32 s3, s0, 24
	s_addc_u32 s10, s1, 0
	s_waitcnt lgkmcnt(0)
	s_bitcmp1_b32 s23, 0
	s_cselect_b64 s[8:9], -1, 0
	s_and_b64 s[6:7], s[8:9], exec
	s_cselect_b32 s5, s10, s5
	s_cselect_b32 s3, s3, s4
	v_mov_b32_e32 v2, s3
	v_mov_b32_e32 v3, s5
	flat_load_dwordx4 v[2:5], v[2:3]
	s_waitcnt vmcnt(0) lgkmcnt(0)
	v_cmp_eq_f64_e32 vcc, 0, v[2:3]
	v_cmp_eq_f64_e64 s[4:5], 0, v[4:5]
	s_and_b64 s[10:11], vcc, s[4:5]
	s_mov_b64 s[4:5], -1
	s_and_saveexec_b64 s[6:7], s[10:11]
	s_cbranch_execz .LBB101_2
; %bb.1:
	s_load_dwordx2 s[4:5], s[0:1], 0x48
	s_add_u32 s3, s0, 0x48
	s_addc_u32 s10, s1, 0
	s_and_b64 s[8:9], s[8:9], exec
	s_waitcnt lgkmcnt(0)
	s_cselect_b32 s5, s10, s5
	s_cselect_b32 s3, s3, s4
	v_mov_b32_e32 v6, s3
	v_mov_b32_e32 v7, s5
	flat_load_dwordx4 v[6:9], v[6:7]
	s_waitcnt vmcnt(0) lgkmcnt(0)
	v_cmp_neq_f64_e32 vcc, 1.0, v[6:7]
	v_cmp_neq_f64_e64 s[4:5], 0, v[8:9]
	s_or_b64 s[4:5], vcc, s[4:5]
	s_orn2_b64 s[4:5], s[4:5], exec
.LBB101_2:
	s_or_b64 exec, exec, s[6:7]
	s_and_saveexec_b64 s[6:7], s[4:5]
	s_cbranch_execz .LBB101_145
; %bb.3:
	s_load_dwordx2 s[8:9], s[0:1], 0x10
	s_mov_b32 s4, 0
	s_ashr_i32 s3, s2, 31
	s_mov_b32 s6, s4
	s_mov_b32 s7, s4
	s_lshl_b64 s[2:3], s[2:3], 2
	s_mov_b32 s5, s4
	v_mov_b64_e32 v[8:9], s[6:7]
	s_waitcnt lgkmcnt(0)
	s_add_u32 s2, s8, s2
	v_lshlrev_b32_e32 v1, 4, v0
	v_mov_b64_e32 v[6:7], s[4:5]
	s_addc_u32 s3, s9, s3
	ds_write_b128 v1, v[6:9]
	ds_write_b128 v1, v[6:9] offset:4096
	ds_write_b128 v1, v[6:9] offset:8192
	ds_write_b128 v1, v[6:9] offset:12288
	s_waitcnt lgkmcnt(0)
	s_barrier
	s_load_dwordx2 s[20:21], s[2:3], 0x0
	s_load_dwordx2 s[10:11], s[0:1], 0x58
	s_load_dwordx8 s[12:19], s[0:1], 0x28
	s_mov_b64 s[2:3], -1
	v_subrev_u32_e32 v16, s22, v0
	s_waitcnt lgkmcnt(0)
	s_sub_i32 s23, s21, s20
	s_cmp_gt_i32 s23, 2
	s_cbranch_scc1 .LBB101_38
; %bb.4:
	s_cmp_le_i32 s21, s20
	s_cbranch_scc1 .LBB101_28
; %bb.5:
	v_cmp_gt_u32_e32 vcc, 64, v0
	v_cmp_gt_u32_e64 s[2:3], 16, v0
	v_cmp_gt_u32_e64 s[4:5], 4, v0
	v_cmp_eq_u32_e64 s[6:7], 0, v0
	s_mov_b64 s[24:25], 0x400
	s_mov_b64 s[26:27], 0x800
	v_mov_b32_e32 v17, 0
	s_mov_b32 s28, s20
	s_branch .LBB101_7
.LBB101_6:                              ;   in Loop: Header=BB101_7 Depth=1
	s_or_b64 exec, exec, s[30:31]
	s_add_i32 s28, s28, 1
	s_cmp_ge_i32 s28, s21
	s_cbranch_scc1 .LBB101_28
.LBB101_7:                              ; =>This Loop Header: Depth=1
                                        ;     Child Loop BB101_9 Depth 2
                                        ;     Child Loop BB101_21 Depth 2
	;; [unrolled: 1-line block ×3, first 2 shown]
	s_ashr_i32 s29, s28, 31
	s_lshl_b64 s[8:9], s[28:29], 2
	s_add_u32 s8, s12, s8
	s_addc_u32 s9, s13, s9
	s_load_dwordx2 s[30:31], s[8:9], 0x0
	v_mov_b64_e32 v[8:9], 0
	v_mov_b64_e32 v[6:7], 0
	s_waitcnt lgkmcnt(0)
	v_add_u32_e32 v10, s30, v16
	s_sub_i32 s33, s31, s22
	v_cmp_gt_i32_e64 s[8:9], s33, v10
	s_and_saveexec_b64 s[30:31], s[8:9]
	s_cbranch_execz .LBB101_11
; %bb.8:                                ;   in Loop: Header=BB101_7 Depth=1
	v_ashrrev_i32_e32 v11, 31, v10
	v_mov_b64_e32 v[8:9], 0
	v_lshl_add_u64 v[12:13], v[10:11], 2, s[14:15]
	v_lshl_add_u64 v[14:15], v[10:11], 3, s[16:17]
	s_mov_b64 s[34:35], 0
	v_mov_b64_e32 v[6:7], v[8:9]
.LBB101_9:                              ;   Parent Loop BB101_7 Depth=1
                                        ; =>  This Inner Loop Header: Depth=2
	global_load_dword v11, v[12:13], off
	global_load_dwordx2 v[22:23], v[14:15], off
	v_add_u32_e32 v10, 0x100, v10
	v_cmp_le_i32_e64 s[8:9], s33, v10
	v_lshl_add_u64 v[12:13], v[12:13], 0, s[24:25]
	v_lshl_add_u64 v[14:15], v[14:15], 0, s[26:27]
	s_or_b64 s[34:35], s[8:9], s[34:35]
	s_waitcnt vmcnt(1)
	v_subrev_u32_e32 v18, s22, v11
	v_ashrrev_i32_e32 v19, 31, v18
	v_lshl_add_u64 v[18:19], v[18:19], 4, s[18:19]
	global_load_dwordx4 v[18:21], v[18:19], off
	s_waitcnt vmcnt(0)
	v_fmac_f64_e32 v[6:7], v[22:23], v[18:19]
	v_fmac_f64_e32 v[8:9], 0, v[18:19]
	;; [unrolled: 1-line block ×4, first 2 shown]
	s_andn2_b64 exec, exec, s[34:35]
	s_cbranch_execnz .LBB101_9
; %bb.10:                               ;   in Loop: Header=BB101_7 Depth=1
	s_or_b64 exec, exec, s[34:35]
.LBB101_11:                             ;   in Loop: Header=BB101_7 Depth=1
	s_or_b64 exec, exec, s[30:31]
	ds_write_b128 v1, v[6:9]
	s_waitcnt lgkmcnt(0)
	s_barrier
	ds_read_b128 v[6:9], v1 offset:4096
	ds_read_b128 v[10:13], v1 offset:8192
	;; [unrolled: 1-line block ×3, first 2 shown]
	ds_read_b128 v[22:25], v1
	s_waitcnt lgkmcnt(2)
	v_add_f64 v[6:7], v[10:11], v[6:7]
	v_add_f64 v[8:9], v[12:13], v[8:9]
	s_waitcnt lgkmcnt(1)
	v_add_f64 v[6:7], v[6:7], v[18:19]
	v_add_f64 v[8:9], v[8:9], v[20:21]
	;; [unrolled: 3-line block ×3, first 2 shown]
	ds_write_b128 v1, v[6:9]
	s_waitcnt lgkmcnt(0)
	s_barrier
	s_and_saveexec_b64 s[8:9], vcc
	s_cbranch_execz .LBB101_13
; %bb.12:                               ;   in Loop: Header=BB101_7 Depth=1
	ds_read_b128 v[6:9], v1 offset:1024
	ds_read_b128 v[10:13], v1 offset:2048
	ds_read_b128 v[18:21], v1 offset:3072
	ds_read_b128 v[22:25], v1
	s_waitcnt lgkmcnt(2)
	v_add_f64 v[6:7], v[10:11], v[6:7]
	v_add_f64 v[8:9], v[12:13], v[8:9]
	s_waitcnt lgkmcnt(1)
	v_add_f64 v[6:7], v[6:7], v[18:19]
	v_add_f64 v[8:9], v[8:9], v[20:21]
	s_waitcnt lgkmcnt(0)
	v_add_f64 v[6:7], v[6:7], v[22:23]
	v_add_f64 v[8:9], v[8:9], v[24:25]
	ds_write_b128 v1, v[6:9]
.LBB101_13:                             ;   in Loop: Header=BB101_7 Depth=1
	s_or_b64 exec, exec, s[8:9]
	s_waitcnt lgkmcnt(0)
	s_barrier
	s_and_saveexec_b64 s[8:9], s[2:3]
	s_cbranch_execz .LBB101_15
; %bb.14:                               ;   in Loop: Header=BB101_7 Depth=1
	ds_read_b128 v[6:9], v1 offset:256
	ds_read_b128 v[10:13], v1 offset:512
	ds_read_b128 v[18:21], v1 offset:768
	ds_read_b128 v[22:25], v1
	s_waitcnt lgkmcnt(2)
	v_add_f64 v[6:7], v[10:11], v[6:7]
	v_add_f64 v[8:9], v[12:13], v[8:9]
	s_waitcnt lgkmcnt(1)
	v_add_f64 v[6:7], v[6:7], v[18:19]
	v_add_f64 v[8:9], v[8:9], v[20:21]
	s_waitcnt lgkmcnt(0)
	v_add_f64 v[6:7], v[6:7], v[22:23]
	v_add_f64 v[8:9], v[8:9], v[24:25]
	ds_write_b128 v1, v[6:9]
.LBB101_15:                             ;   in Loop: Header=BB101_7 Depth=1
	s_or_b64 exec, exec, s[8:9]
	s_waitcnt lgkmcnt(0)
	s_barrier
	s_and_saveexec_b64 s[8:9], s[4:5]
	;; [unrolled: 21-line block ×4, first 2 shown]
	s_cbranch_execz .LBB101_6
; %bb.20:                               ;   in Loop: Header=BB101_7 Depth=1
	ds_read_b128 v[6:9], v17
	v_mov_b32_e32 v10, 0
	s_mov_b64 s[8:9], exec
	v_bfrev_b32_e32 v11, 1
	s_waitcnt lgkmcnt(0)
	v_mul_f64 v[12:13], v[8:9], -v[4:5]
	v_fmac_f64_e32 v[12:13], v[2:3], v[6:7]
.LBB101_21:                             ;   Parent Loop BB101_7 Depth=1
                                        ; =>  This Inner Loop Header: Depth=2
	s_ff1_i32_b64 s33, s[8:9]
	s_lshl_b64 s[36:37], 1, s33
	v_readlane_b32 s35, v13, s33
	v_readlane_b32 s34, v12, s33
	s_andn2_b64 s[8:9], s[8:9], s[36:37]
	s_cmp_lg_u64 s[8:9], 0
	v_add_f64 v[10:11], v[10:11], s[34:35]
	s_cbranch_scc1 .LBB101_21
; %bb.22:                               ;   in Loop: Header=BB101_7 Depth=1
	s_lshl_b64 s[8:9], s[28:29], 4
	v_mbcnt_lo_u32_b32 v12, exec_lo, 0
	s_add_u32 s34, s10, s8
	v_mbcnt_hi_u32_b32 v12, exec_hi, v12
	s_addc_u32 s35, s11, s9
	v_cmp_eq_u32_e64 s[8:9], 0, v12
	s_and_saveexec_b64 s[36:37], s[8:9]
	s_xor_b64 s[8:9], exec, s[36:37]
	s_cbranch_execz .LBB101_24
; %bb.23:                               ;   in Loop: Header=BB101_7 Depth=1
	global_atomic_add_f64 v17, v[10:11], s[34:35]
.LBB101_24:                             ;   in Loop: Header=BB101_7 Depth=1
	s_or_b64 exec, exec, s[8:9]
	v_mul_f64 v[8:9], v[2:3], v[8:9]
	v_fmac_f64_e32 v[8:9], v[4:5], v[6:7]
	v_mov_b32_e32 v6, 0
	s_mov_b64 s[8:9], exec
	v_bfrev_b32_e32 v7, 1
.LBB101_25:                             ;   Parent Loop BB101_7 Depth=1
                                        ; =>  This Inner Loop Header: Depth=2
	s_ff1_i32_b64 s29, s[8:9]
	s_lshl_b64 s[38:39], 1, s29
	v_readlane_b32 s37, v9, s29
	v_readlane_b32 s36, v8, s29
	s_andn2_b64 s[8:9], s[8:9], s[38:39]
	s_cmp_lg_u64 s[8:9], 0
	v_add_f64 v[6:7], v[6:7], s[36:37]
	s_cbranch_scc1 .LBB101_25
; %bb.26:                               ;   in Loop: Header=BB101_7 Depth=1
	v_mbcnt_lo_u32_b32 v8, exec_lo, 0
	v_mbcnt_hi_u32_b32 v8, exec_hi, v8
	v_cmp_eq_u32_e64 s[8:9], 0, v8
	s_and_saveexec_b64 s[36:37], s[8:9]
	s_xor_b64 s[36:37], exec, s[36:37]
	s_cbranch_execz .LBB101_6
; %bb.27:                               ;   in Loop: Header=BB101_7 Depth=1
	global_atomic_add_f64 v17, v[6:7], s[34:35] offset:8
	s_branch .LBB101_6
.LBB101_28:
	s_ashr_i32 s3, s20, 31
	s_mov_b32 s2, s20
	s_lshl_b64 s[2:3], s[2:3], 2
	s_add_u32 s2, s12, s2
	s_addc_u32 s3, s13, s3
	s_ashr_i32 s5, s21, 31
	s_mov_b32 s4, s21
	s_lshl_b64 s[4:5], s[4:5], 2
	s_add_u32 s4, s12, s4
	s_addc_u32 s5, s13, s5
	s_load_dword s6, s[4:5], 0x0
	s_load_dword s7, s[2:3], 0x0
	s_waitcnt lgkmcnt(0)
	s_sub_i32 s26, s6, s22
	v_add_u32_e32 v6, s7, v16
	v_cmp_gt_i32_e32 vcc, s26, v6
	s_and_saveexec_b64 s[6:7], vcc
	s_cbranch_execz .LBB101_37
; %bb.29:
	s_add_i32 s27, s21, -1
	s_cmp_lt_i32 s20, s27
	s_cselect_b64 s[2:3], -1, 0
	s_add_i32 s4, s21, -2
	s_cmp_lg_u32 s20, s4
	s_cselect_b64 s[4:5], -1, 0
	s_mov_b32 s8, 0
	s_and_b64 s[2:3], s[2:3], s[4:5]
	s_brev_b32 s9, 1
	v_cndmask_b32_e64 v7, 0, 1, s[2:3]
	v_mul_f64 v[8:9], v[4:5], s[8:9]
	s_mov_b64 s[8:9], 0
	v_mul_f64 v[10:11], v[2:3], 0
	v_cmp_ne_u32_e64 s[2:3], 1, v7
	s_branch .LBB101_31
.LBB101_30:                             ;   in Loop: Header=BB101_31 Depth=1
	s_or_b64 exec, exec, s[4:5]
	v_add_u32_e32 v6, 0x100, v6
	v_cmp_le_i32_e32 vcc, s26, v6
	s_or_b64 s[8:9], vcc, s[8:9]
	s_andn2_b64 exec, exec, s[8:9]
	s_cbranch_execz .LBB101_37
.LBB101_31:                             ; =>This Loop Header: Depth=1
                                        ;     Child Loop BB101_33 Depth 2
	s_and_b64 vcc, exec, s[2:3]
	v_mov_b32_e32 v14, s20
	v_mov_b32_e32 v12, s27
	s_cbranch_vccnz .LBB101_35
; %bb.32:                               ;   in Loop: Header=BB101_31 Depth=1
	s_mov_b64 s[24:25], 0
	v_mov_b32_e32 v14, s20
	v_mov_b32_e32 v12, s27
.LBB101_33:                             ;   Parent Loop BB101_31 Depth=1
                                        ; =>  This Inner Loop Header: Depth=2
	v_add_u32_e32 v7, v12, v14
	v_lshrrev_b32_e32 v13, 31, v7
	v_add_u32_e32 v7, v7, v13
	v_ashrrev_i32_e32 v18, 1, v7
	v_ashrrev_i32_e32 v19, 31, v18
	v_lshl_add_u64 v[20:21], v[18:19], 2, s[12:13]
	global_load_dword v7, v[20:21], off
	s_waitcnt vmcnt(0)
	v_subrev_u32_e32 v7, s22, v7
	v_cmp_lt_i32_e32 vcc, v6, v7
	s_nop 1
	v_cndmask_b32_e32 v12, v12, v18, vcc
	v_cndmask_b32_e32 v14, v18, v14, vcc
	v_add_u32_e32 v7, -1, v12
	v_cmp_ge_i32_e32 vcc, v14, v12
	v_cmp_eq_u32_e64 s[4:5], v14, v7
	s_or_b64 s[4:5], vcc, s[4:5]
	s_and_b64 s[4:5], exec, s[4:5]
	s_or_b64 s[24:25], s[4:5], s[24:25]
	s_andn2_b64 exec, exec, s[24:25]
	s_cbranch_execnz .LBB101_33
; %bb.34:                               ;   in Loop: Header=BB101_31 Depth=1
	s_or_b64 exec, exec, s[24:25]
.LBB101_35:                             ;   in Loop: Header=BB101_31 Depth=1
	v_ashrrev_i32_e32 v13, 31, v12
	v_lshl_add_u64 v[18:19], v[12:13], 2, s[12:13]
	global_load_dword v13, v[18:19], off
	v_ashrrev_i32_e32 v7, 31, v6
	v_lshl_add_u64 v[18:19], v[6:7], 2, s[14:15]
	global_load_dword v15, v[18:19], off
	s_waitcnt vmcnt(1)
	v_subrev_u32_e32 v13, s22, v13
	v_cmp_lt_i32_e32 vcc, v6, v13
	s_nop 1
	v_cndmask_b32_e32 v14, v12, v14, vcc
	s_waitcnt vmcnt(0)
	v_subrev_u32_e32 v12, s22, v15
	v_cmp_ne_u32_e32 vcc, v12, v14
	s_and_saveexec_b64 s[4:5], vcc
	s_cbranch_execz .LBB101_30
; %bb.36:                               ;   in Loop: Header=BB101_31 Depth=1
	v_lshl_add_u64 v[18:19], v[6:7], 3, s[16:17]
	v_ashrrev_i32_e32 v15, 31, v14
	global_load_dwordx2 v[22:23], v[18:19], off
	v_lshl_add_u64 v[14:15], v[14:15], 4, s[18:19]
	global_load_dwordx4 v[18:21], v[14:15], off
	v_ashrrev_i32_e32 v13, 31, v12
	v_lshl_add_u64 v[12:13], v[12:13], 4, s[10:11]
	s_waitcnt vmcnt(1)
	v_fma_f64 v[14:15], v[2:3], v[22:23], v[8:9]
	v_fma_f64 v[22:23], v[4:5], v[22:23], v[10:11]
	s_waitcnt vmcnt(0)
	v_mul_f64 v[24:25], v[20:21], -v[22:23]
	v_mul_f64 v[20:21], v[14:15], v[20:21]
	v_fmac_f64_e32 v[24:25], v[14:15], v[18:19]
	v_fmac_f64_e32 v[20:21], v[22:23], v[18:19]
	global_atomic_add_f64 v[12:13], v[24:25], off
	global_atomic_add_f64 v[12:13], v[20:21], off offset:8
	s_branch .LBB101_30
.LBB101_37:
	s_or_b64 exec, exec, s[6:7]
	s_mov_b64 s[2:3], 0
.LBB101_38:
	s_and_b64 vcc, exec, s[2:3]
	s_cbranch_vccz .LBB101_145
; %bb.39:
	v_cvt_f32_u32_e32 v6, s23
	s_ashr_i32 s3, s20, 31
	s_mov_b32 s2, s20
	s_sub_i32 s8, 0, s23
	v_rcp_iflag_f32_e32 v6, v6
	s_lshl_b64 s[2:3], s[2:3], 2
	s_add_u32 s4, s12, s2
	s_addc_u32 s5, s13, s3
	v_mul_f32_e32 v6, 0x4f7ffffe, v6
	v_cvt_u32_f32_e32 v6, v6
	s_load_dword s28, s[4:5], 0x0
	s_load_dwordx2 s[6:7], s[0:1], 0x4
	s_load_dword s26, s[0:1], 0x74
	v_readfirstlane_b32 s27, v6
	s_waitcnt lgkmcnt(0)
	v_add_u32_e32 v6, s28, v16
	s_mul_i32 s8, s8, s27
	v_add_u32_e32 v16, 0x300, v6
	s_mul_hi_u32 s30, s27, s8
	v_cmp_le_i32_e64 s[0:1], s6, v16
	s_and_saveexec_b64 s[2:3], s[0:1]
	s_xor_b64 s[2:3], exec, s[2:3]
	s_cbranch_execz .LBB101_44
; %bb.40:
	s_ashr_i32 s9, s21, 31
	s_mov_b32 s8, s21
	s_lshl_b64 s[8:9], s[8:9], 2
	s_add_u32 s8, s12, s8
	s_addc_u32 s9, s13, s9
	s_load_dword s6, s[8:9], 0x0
	s_waitcnt lgkmcnt(0)
	s_sub_i32 s6, s6, s28
	v_cmp_gt_i32_e32 vcc, s6, v0
	s_and_saveexec_b64 s[8:9], vcc
	s_cbranch_execz .LBB101_43
; %bb.41:
	s_mov_b32 s24, 0
	s_brev_b32 s25, 1
	v_mul_f64 v[8:9], v[4:5], s[24:25]
	s_mov_b64 s[24:25], 0
	v_mul_f64 v[10:11], v[2:3], 0
	s_sub_i32 s29, s28, s22
	v_mov_b32_e32 v7, v1
	v_mov_b32_e32 v12, v0
.LBB101_42:                             ; =>This Inner Loop Header: Depth=1
	v_add_u32_e32 v14, s29, v12
	v_ashrrev_i32_e32 v15, 31, v14
	v_lshl_add_u64 v[14:15], v[14:15], 3, s[16:17]
	global_load_dwordx2 v[14:15], v[14:15], off
	v_add_u32_e32 v12, 0x100, v12
	v_cmp_le_i32_e32 vcc, s6, v12
	s_or_b64 s[24:25], vcc, s[24:25]
	s_waitcnt vmcnt(0)
	v_fma_f64 v[18:19], v[2:3], v[14:15], v[8:9]
	v_fma_f64 v[20:21], v[4:5], v[14:15], v[10:11]
	ds_write_b128 v7, v[18:21]
	v_add_u32_e32 v7, 0x1000, v7
	s_andn2_b64 exec, exec, s[24:25]
	s_cbranch_execnz .LBB101_42
.LBB101_43:
	s_or_b64 exec, exec, s[8:9]
                                        ; implicit-def: $vgpr4_vgpr5
.LBB101_44:
	s_or_saveexec_b64 s[2:3], s[2:3]
	s_and_b32 s29, s26, 0xffff
	s_add_i32 s27, s27, s30
	v_ashrrev_i32_e32 v7, 31, v6
	s_xor_b64 exec, exec, s[2:3]
	s_cbranch_execz .LBB101_46
; %bb.45:
	v_lshl_add_u64 v[8:9], v[6:7], 3, s[16:17]
	global_load_dwordx2 v[14:15], v[8:9], off
	global_load_dwordx2 v[20:21], v[8:9], off offset:2048
	v_add_co_u32_e32 v8, vcc, 0x1000, v8
	s_mov_b32 s8, 0
	s_nop 0
	v_addc_co_u32_e32 v9, vcc, 0, v9, vcc
	global_load_dwordx2 v[22:23], v[8:9], off
	global_load_dwordx2 v[24:25], v[8:9], off offset:2048
	s_brev_b32 s9, 1
	v_mul_f64 v[10:11], v[2:3], 0
	v_mul_f64 v[8:9], v[4:5], s[8:9]
	s_waitcnt vmcnt(3)
	v_fma_f64 v[12:13], v[2:3], v[14:15], v[8:9]
	v_fma_f64 v[14:15], v[4:5], v[14:15], v[10:11]
	s_waitcnt vmcnt(2)
	v_fma_f64 v[18:19], v[2:3], v[20:21], v[8:9]
	v_fma_f64 v[20:21], v[4:5], v[20:21], v[10:11]
	ds_write_b128 v1, v[12:15]
	ds_write_b128 v1, v[18:21] offset:4096
	s_waitcnt vmcnt(1)
	v_fma_f64 v[12:13], v[2:3], v[22:23], v[8:9]
	v_fma_f64 v[14:15], v[4:5], v[22:23], v[10:11]
	s_waitcnt vmcnt(0)
	v_fmac_f64_e32 v[8:9], v[2:3], v[24:25]
	v_fmac_f64_e32 v[10:11], v[4:5], v[24:25]
	ds_write_b128 v1, v[12:15] offset:8192
	ds_write_b128 v1, v[8:11] offset:12288
.LBB101_46:
	s_or_b64 exec, exec, s[2:3]
	s_mul_hi_u32 s6, s29, s27
	v_cmp_gt_i32_e32 vcc, s7, v0
	s_and_saveexec_b64 s[2:3], vcc
	s_cbranch_execz .LBB101_49
; %bb.47:
	s_mov_b32 s16, 0
	v_mov_b32_e32 v2, 0x4000
	s_mov_b32 s17, s16
	s_mov_b32 s24, s16
	s_mov_b32 s25, s16
	v_lshl_add_u32 v8, v0, 4, v2
	s_mov_b64 s[8:9], 0
	v_mov_b64_e32 v[2:3], s[16:17]
	v_mov_b64_e32 v[4:5], s[24:25]
	v_mov_b32_e32 v9, v0
.LBB101_48:                             ; =>This Inner Loop Header: Depth=1
	v_add_u32_e32 v9, 0x100, v9
	v_cmp_le_i32_e32 vcc, s7, v9
	ds_write2_b64 v8, v[2:3], v[4:5] offset1:1
	s_or_b64 s[8:9], vcc, s[8:9]
	v_add_u32_e32 v8, 0x1000, v8
	s_andn2_b64 exec, exec, s[8:9]
	s_cbranch_execnz .LBB101_48
.LBB101_49:
	s_or_b64 exec, exec, s[2:3]
	s_sub_i32 s2, s21, s7
	s_cmp_ge_i32 s21, s7
	s_cselect_b32 s30, s2, 0
	s_waitcnt lgkmcnt(0)
	s_barrier
	s_and_saveexec_b64 s[2:3], s[0:1]
	s_xor_b64 s[8:9], exec, s[2:3]
	s_cbranch_execz .LBB101_66
; %bb.50:
	s_ashr_i32 s1, s21, 31
	s_mov_b32 s0, s21
	s_lshl_b64 s[0:1], s[0:1], 2
	s_add_u32 s0, s12, s0
	s_addc_u32 s1, s13, s1
	s_load_dword s0, s[0:1], 0x0
	s_waitcnt lgkmcnt(0)
	s_sub_i32 s31, s0, s28
	v_cmp_gt_i32_e32 vcc, s31, v0
	s_and_saveexec_b64 s[16:17], vcc
	s_cbranch_execz .LBB101_65
; %bb.51:
	s_add_i32 s33, s21, -1
	s_add_i32 s1, s21, -2
	s_cmp_lg_u32 s20, s1
	s_cselect_b64 s[2:3], -1, 0
	v_cndmask_b32_e64 v2, 0, 1, s[2:3]
	s_sub_i32 s34, s0, s22
	s_mov_b32 s35, 0
	s_mov_b64 s[24:25], 0
	v_cmp_ne_u32_e64 s[0:1], 1, v2
	v_mov_b32_e32 v7, 0x4000
	s_branch .LBB101_54
.LBB101_52:                             ;   in Loop: Header=BB101_54 Depth=1
	s_or_b64 exec, exec, s[2:3]
	v_xor_b32_e32 v11, 0x80000000, v5
	v_mov_b32_e32 v10, v4
.LBB101_53:                             ;   in Loop: Header=BB101_54 Depth=1
	s_or_b64 exec, exec, s[26:27]
	v_ashrrev_i32_e32 v9, 31, v8
	v_lshl_add_u64 v[8:9], v[8:9], 4, s[18:19]
	global_load_dwordx4 v[16:19], v[8:9], off
	s_addk_i32 s35, 0x100
	v_add_u32_e32 v8, s35, v0
	v_cmp_le_i32_e32 vcc, s31, v8
	s_or_b64 s[24:25], vcc, s[24:25]
	s_waitcnt vmcnt(0)
	v_mul_f64 v[8:9], v[18:19], v[10:11]
	v_mul_f64 v[10:11], v[18:19], v[2:3]
	v_fmac_f64_e32 v[8:9], v[2:3], v[16:17]
	v_fmac_f64_e32 v[10:11], v[4:5], v[16:17]
	ds_write_b128 v14, v[8:11]
	s_andn2_b64 exec, exec, s[24:25]
	s_cbranch_execz .LBB101_65
.LBB101_54:                             ; =>This Loop Header: Depth=1
                                        ;     Child Loop BB101_56 Depth 2
	v_add_u32_e32 v2, s35, v6
	s_and_b64 vcc, exec, s[0:1]
	v_mov_b32_e32 v9, s20
	v_mov_b32_e32 v4, s33
	s_cbranch_vccnz .LBB101_58
; %bb.55:                               ;   in Loop: Header=BB101_54 Depth=1
	s_mov_b64 s[26:27], 0
	v_mov_b32_e32 v9, s20
	v_mov_b32_e32 v4, s33
.LBB101_56:                             ;   Parent Loop BB101_54 Depth=1
                                        ; =>  This Inner Loop Header: Depth=2
	v_add_u32_e32 v3, v4, v9
	v_lshrrev_b32_e32 v5, 31, v3
	v_add_u32_e32 v3, v3, v5
	v_ashrrev_i32_e32 v10, 1, v3
	v_ashrrev_i32_e32 v11, 31, v10
	v_lshl_add_u64 v[12:13], v[10:11], 2, s[12:13]
	global_load_dword v3, v[12:13], off
	s_waitcnt vmcnt(0)
	v_subrev_u32_e32 v3, s22, v3
	v_cmp_lt_i32_e32 vcc, v2, v3
	s_nop 1
	v_cndmask_b32_e32 v4, v4, v10, vcc
	v_cndmask_b32_e32 v9, v10, v9, vcc
	v_add_u32_e32 v3, -1, v4
	v_cmp_ge_i32_e32 vcc, v9, v4
	v_cmp_eq_u32_e64 s[2:3], v9, v3
	s_or_b64 s[2:3], vcc, s[2:3]
	s_and_b64 s[2:3], exec, s[2:3]
	s_or_b64 s[26:27], s[2:3], s[26:27]
	s_andn2_b64 exec, exec, s[26:27]
	s_cbranch_execnz .LBB101_56
; %bb.57:                               ;   in Loop: Header=BB101_54 Depth=1
	s_or_b64 exec, exec, s[26:27]
.LBB101_58:                             ;   in Loop: Header=BB101_54 Depth=1
	v_ashrrev_i32_e32 v5, 31, v4
	v_lshl_add_u64 v[10:11], v[4:5], 2, s[12:13]
	global_load_dword v5, v[10:11], off
	v_ashrrev_i32_e32 v3, 31, v2
	v_lshl_add_u64 v[10:11], v[2:3], 2, s[14:15]
	global_load_dword v3, v[10:11], off
	v_cmp_le_i32_e32 vcc, s34, v2
	v_lshl_add_u32 v14, s35, 4, v1
                                        ; implicit-def: $vgpr10_vgpr11
	s_waitcnt vmcnt(1)
	v_subrev_u32_e32 v5, s22, v5
	v_cmp_lt_i32_e64 s[2:3], v2, v5
	s_waitcnt vmcnt(0)
	v_subrev_u32_e32 v8, s22, v3
	v_cndmask_b32_e64 v12, v4, v9, s[2:3]
	v_cmp_eq_u32_e64 s[2:3], v8, v12
	s_or_b64 s[2:3], s[2:3], vcc
                                        ; implicit-def: $vgpr2_vgpr3
	s_and_saveexec_b64 s[26:27], s[2:3]
	s_xor_b64 s[2:3], exec, s[26:27]
	s_cbranch_execz .LBB101_60
; %bb.59:                               ;   in Loop: Header=BB101_54 Depth=1
	ds_read_b128 v[2:5], v14
                                        ; implicit-def: $vgpr12
	s_waitcnt lgkmcnt(0)
	v_xor_b32_e32 v11, 0x80000000, v5
	v_mov_b32_e32 v10, v4
.LBB101_60:                             ;   in Loop: Header=BB101_54 Depth=1
	s_andn2_saveexec_b64 s[26:27], s[2:3]
	s_cbranch_execz .LBB101_53
; %bb.61:                               ;   in Loop: Header=BB101_54 Depth=1
	v_ashrrev_i32_e32 v13, 31, v12
	v_lshl_add_u64 v[2:3], v[12:13], 4, s[18:19]
	global_load_dwordx4 v[16:19], v[2:3], off
	ds_read_b128 v[2:5], v14
	v_cmp_gt_i32_e32 vcc, s30, v8
	v_cmp_le_i32_e64 s[2:3], s21, v8
	s_or_b64 s[2:3], vcc, s[2:3]
	s_waitcnt vmcnt(0) lgkmcnt(0)
	v_mul_f64 v[10:11], v[18:19], -v[4:5]
	v_mul_f64 v[12:13], v[18:19], v[2:3]
	v_fmac_f64_e32 v[10:11], v[2:3], v[16:17]
	v_fmac_f64_e32 v[12:13], v[4:5], v[16:17]
	s_and_saveexec_b64 s[36:37], s[2:3]
	s_xor_b64 s[2:3], exec, s[36:37]
	s_cbranch_execz .LBB101_63
; %bb.62:                               ;   in Loop: Header=BB101_54 Depth=1
	v_ashrrev_i32_e32 v9, 31, v8
	v_lshl_add_u64 v[16:17], v[8:9], 4, s[10:11]
	global_atomic_add_f64 v[16:17], v[10:11], off
	global_atomic_add_f64 v[16:17], v[12:13], off offset:8
                                        ; implicit-def: $vgpr10_vgpr11
                                        ; implicit-def: $vgpr12_vgpr13
.LBB101_63:                             ;   in Loop: Header=BB101_54 Depth=1
	s_andn2_saveexec_b64 s[2:3], s[2:3]
	s_cbranch_execz .LBB101_52
; %bb.64:                               ;   in Loop: Header=BB101_54 Depth=1
	v_subrev_u32_e32 v9, s30, v8
	v_lshl_add_u32 v9, v9, 4, v7
	ds_add_f64 v9, v[10:11]
	ds_add_f64 v9, v[12:13] offset:8
	s_branch .LBB101_52
.LBB101_65:
	s_or_b64 exec, exec, s[16:17]
                                        ; implicit-def: $vgpr16
                                        ; implicit-def: $vgpr6
.LBB101_66:
	s_andn2_saveexec_b64 s[8:9], s[8:9]
	s_cbranch_execz .LBB101_120
; %bb.67:
	s_add_i32 s26, s21, -1
	s_add_i32 s0, s21, -2
	s_cmp_lg_u32 s20, s0
	s_cselect_b64 s[2:3], -1, 0
	s_cmp_eq_u32 s20, s0
	v_mov_b32_e32 v4, s20
	v_mov_b32_e32 v2, s26
	s_cbranch_scc1 .LBB101_71
; %bb.68:
	s_mov_b64 s[16:17], 0
	v_mov_b32_e32 v4, s20
	v_mov_b32_e32 v2, s26
.LBB101_69:                             ; =>This Inner Loop Header: Depth=1
	v_add_u32_e32 v3, v2, v4
	v_lshrrev_b32_e32 v5, 31, v3
	v_add_u32_e32 v3, v3, v5
	v_ashrrev_i32_e32 v8, 1, v3
	v_ashrrev_i32_e32 v9, 31, v8
	v_lshl_add_u64 v[10:11], v[8:9], 2, s[12:13]
	global_load_dword v3, v[10:11], off
	s_waitcnt vmcnt(0)
	v_subrev_u32_e32 v3, s22, v3
	v_cmp_lt_i32_e32 vcc, v6, v3
	s_nop 1
	v_cndmask_b32_e32 v2, v2, v8, vcc
	v_cndmask_b32_e32 v4, v8, v4, vcc
	v_add_u32_e32 v3, -1, v2
	v_cmp_ge_i32_e32 vcc, v4, v2
	v_cmp_eq_u32_e64 s[0:1], v4, v3
	s_or_b64 s[0:1], vcc, s[0:1]
	s_and_b64 s[0:1], exec, s[0:1]
	s_or_b64 s[16:17], s[0:1], s[16:17]
	s_andn2_b64 exec, exec, s[16:17]
	s_cbranch_execnz .LBB101_69
; %bb.70:
	s_or_b64 exec, exec, s[16:17]
.LBB101_71:
	v_ashrrev_i32_e32 v3, 31, v2
	v_lshl_add_u64 v[8:9], v[2:3], 2, s[12:13]
	global_load_dword v3, v[8:9], off
	v_lshl_add_u64 v[8:9], v[6:7], 2, s[14:15]
	global_load_dword v5, v[8:9], off
	s_ashr_i32 s1, s21, 31
	s_mov_b32 s0, s21
	s_lshl_b64 s[0:1], s[0:1], 2
	s_add_u32 s14, s12, s0
	s_addc_u32 s15, s13, s1
	s_waitcnt vmcnt(1)
	v_subrev_u32_e32 v3, s22, v3
	v_cmp_lt_i32_e32 vcc, v6, v3
	s_waitcnt vmcnt(0)
	v_subrev_u32_e32 v10, s22, v5
	v_cndmask_b32_e32 v12, v2, v4, vcc
	v_cmp_ne_u32_e32 vcc, v10, v12
                                        ; implicit-def: $vgpr2_vgpr3
	s_and_saveexec_b64 s[0:1], vcc
	s_xor_b64 s[16:17], exec, s[0:1]
	s_cbranch_execz .LBB101_78
; %bb.72:
	s_load_dword s0, s[14:15], 0x0
	ds_read_b128 v[2:5], v1
	s_waitcnt lgkmcnt(0)
	s_sub_i32 s0, s0, s22
	v_cmp_gt_i32_e32 vcc, s0, v6
	s_and_saveexec_b64 s[24:25], vcc
	s_cbranch_execz .LBB101_77
; %bb.73:
	v_ashrrev_i32_e32 v13, 31, v12
	v_lshl_add_u64 v[12:13], v[12:13], 4, s[18:19]
	global_load_dwordx4 v[18:21], v[12:13], off
	v_cmp_gt_i32_e32 vcc, s30, v10
	v_cmp_le_i32_e64 s[0:1], s21, v10
	s_or_b64 s[0:1], vcc, s[0:1]
	s_waitcnt vmcnt(0)
	v_mul_f64 v[12:13], v[20:21], -v[4:5]
	v_mul_f64 v[14:15], v[20:21], v[2:3]
	v_fmac_f64_e32 v[12:13], v[2:3], v[18:19]
	v_fmac_f64_e32 v[14:15], v[4:5], v[18:19]
	s_and_saveexec_b64 s[34:35], s[0:1]
	s_xor_b64 s[0:1], exec, s[34:35]
	s_cbranch_execz .LBB101_75
; %bb.74:
	v_ashrrev_i32_e32 v11, 31, v10
	v_lshl_add_u64 v[18:19], v[10:11], 4, s[10:11]
	global_atomic_add_f64 v[18:19], v[12:13], off
	global_atomic_add_f64 v[18:19], v[14:15], off offset:8
                                        ; implicit-def: $vgpr12_vgpr13
                                        ; implicit-def: $vgpr14_vgpr15
.LBB101_75:
	s_andn2_saveexec_b64 s[0:1], s[0:1]
	s_cbranch_execz .LBB101_77
; %bb.76:
	v_subrev_u32_e32 v7, s30, v10
	v_mov_b32_e32 v11, 0x4000
	v_lshl_add_u32 v7, v7, 4, v11
	ds_add_f64 v7, v[12:13]
	ds_add_f64 v7, v[14:15] offset:8
.LBB101_77:
	s_or_b64 exec, exec, s[24:25]
.LBB101_78:
	s_andn2_saveexec_b64 s[0:1], s[16:17]
; %bb.79:
	ds_read_b128 v[2:5], v1
; %bb.80:
	s_or_b64 exec, exec, s[0:1]
	v_ashrrev_i32_e32 v11, 31, v10
	v_lshl_add_u64 v[10:11], v[10:11], 4, s[18:19]
	global_load_dwordx4 v[12:15], v[10:11], off
	v_cndmask_b32_e64 v11, 0, 1, s[2:3]
	v_add_u32_e32 v7, 0x100, v6
	v_mov_b32_e32 v10, s20
	v_cmp_ne_u32_e64 s[0:1], 1, v11
	s_andn2_b64 vcc, exec, s[2:3]
	s_waitcnt vmcnt(0) lgkmcnt(0)
	v_mul_f64 v[18:19], v[14:15], -v[4:5]
	v_mul_f64 v[20:21], v[14:15], v[2:3]
	v_fmac_f64_e32 v[18:19], v[2:3], v[12:13]
	v_fmac_f64_e32 v[20:21], v[4:5], v[12:13]
	v_mov_b32_e32 v2, s26
	ds_write_b128 v1, v[18:21]
	s_cbranch_vccnz .LBB101_84
; %bb.81:
	s_mov_b64 s[16:17], 0
	v_mov_b32_e32 v10, s20
	v_mov_b32_e32 v2, s26
.LBB101_82:                             ; =>This Inner Loop Header: Depth=1
	v_add_u32_e32 v3, v2, v10
	v_lshrrev_b32_e32 v4, 31, v3
	v_add_u32_e32 v3, v3, v4
	v_ashrrev_i32_e32 v4, 1, v3
	v_ashrrev_i32_e32 v5, 31, v4
	v_lshl_add_u64 v[12:13], v[4:5], 2, s[12:13]
	global_load_dword v3, v[12:13], off
	s_waitcnt vmcnt(0)
	v_subrev_u32_e32 v3, s22, v3
	v_cmp_lt_i32_e32 vcc, v7, v3
	s_nop 1
	v_cndmask_b32_e32 v2, v2, v4, vcc
	v_cndmask_b32_e32 v10, v4, v10, vcc
	v_add_u32_e32 v3, -1, v2
	v_cmp_ge_i32_e32 vcc, v10, v2
	v_cmp_eq_u32_e64 s[2:3], v10, v3
	s_or_b64 s[2:3], vcc, s[2:3]
	s_and_b64 s[2:3], exec, s[2:3]
	s_or_b64 s[16:17], s[2:3], s[16:17]
	s_andn2_b64 exec, exec, s[16:17]
	s_cbranch_execnz .LBB101_82
; %bb.83:
	s_or_b64 exec, exec, s[16:17]
.LBB101_84:
	v_ashrrev_i32_e32 v3, 31, v2
	v_lshl_add_u64 v[4:5], v[2:3], 2, s[12:13]
	global_load_dword v3, v[4:5], off
	global_load_dword v11, v[8:9], off offset:1024
	s_waitcnt vmcnt(1)
	v_subrev_u32_e32 v3, s22, v3
	v_cmp_lt_i32_e32 vcc, v7, v3
	s_nop 1
	v_cndmask_b32_e32 v12, v2, v10, vcc
	s_waitcnt vmcnt(0)
	v_subrev_u32_e32 v10, s22, v11
	v_cmp_ne_u32_e32 vcc, v10, v12
                                        ; implicit-def: $vgpr2_vgpr3
	s_and_saveexec_b64 s[2:3], vcc
	s_xor_b64 s[16:17], exec, s[2:3]
	s_cbranch_execz .LBB101_91
; %bb.85:
	s_load_dword s2, s[14:15], 0x0
	ds_read_b128 v[2:5], v1 offset:4096
	s_waitcnt lgkmcnt(0)
	s_sub_i32 s2, s2, s22
	v_cmp_gt_i32_e32 vcc, s2, v7
	s_and_saveexec_b64 s[24:25], vcc
	s_cbranch_execz .LBB101_90
; %bb.86:
	v_ashrrev_i32_e32 v13, 31, v12
	v_lshl_add_u64 v[12:13], v[12:13], 4, s[18:19]
	global_load_dwordx4 v[18:21], v[12:13], off
	v_cmp_gt_i32_e32 vcc, s30, v10
	v_cmp_le_i32_e64 s[2:3], s21, v10
	s_or_b64 s[2:3], vcc, s[2:3]
	s_waitcnt vmcnt(0)
	v_mul_f64 v[12:13], v[20:21], -v[4:5]
	v_mul_f64 v[14:15], v[20:21], v[2:3]
	v_fmac_f64_e32 v[12:13], v[2:3], v[18:19]
	v_fmac_f64_e32 v[14:15], v[4:5], v[18:19]
	s_and_saveexec_b64 s[34:35], s[2:3]
	s_xor_b64 s[2:3], exec, s[34:35]
	s_cbranch_execz .LBB101_88
; %bb.87:
	v_ashrrev_i32_e32 v11, 31, v10
	v_lshl_add_u64 v[18:19], v[10:11], 4, s[10:11]
	global_atomic_add_f64 v[18:19], v[12:13], off
	global_atomic_add_f64 v[18:19], v[14:15], off offset:8
                                        ; implicit-def: $vgpr12_vgpr13
                                        ; implicit-def: $vgpr14_vgpr15
.LBB101_88:
	s_andn2_saveexec_b64 s[2:3], s[2:3]
	s_cbranch_execz .LBB101_90
; %bb.89:
	v_subrev_u32_e32 v7, s30, v10
	v_mov_b32_e32 v11, 0x4000
	v_lshl_add_u32 v7, v7, 4, v11
	ds_add_f64 v7, v[12:13]
	ds_add_f64 v7, v[14:15] offset:8
.LBB101_90:
	s_or_b64 exec, exec, s[24:25]
.LBB101_91:
	s_andn2_saveexec_b64 s[2:3], s[16:17]
; %bb.92:
	ds_read_b128 v[2:5], v1 offset:4096
; %bb.93:
	s_or_b64 exec, exec, s[2:3]
	v_ashrrev_i32_e32 v11, 31, v10
	v_lshl_add_u64 v[10:11], v[10:11], 4, s[18:19]
	global_load_dwordx4 v[10:13], v[10:11], off
	v_add_u32_e32 v7, 0x200, v6
	s_and_b64 vcc, exec, s[0:1]
	v_mov_b32_e32 v6, s20
	s_waitcnt vmcnt(0) lgkmcnt(0)
	v_mul_f64 v[18:19], v[12:13], -v[4:5]
	v_mul_f64 v[20:21], v[12:13], v[2:3]
	v_fmac_f64_e32 v[18:19], v[2:3], v[10:11]
	v_fmac_f64_e32 v[20:21], v[4:5], v[10:11]
	v_mov_b32_e32 v2, s26
	ds_write_b128 v1, v[18:21] offset:4096
	s_cbranch_vccnz .LBB101_97
; %bb.94:
	s_mov_b64 s[16:17], 0
	v_mov_b32_e32 v6, s20
	v_mov_b32_e32 v2, s26
.LBB101_95:                             ; =>This Inner Loop Header: Depth=1
	v_add_u32_e32 v3, v2, v6
	v_lshrrev_b32_e32 v4, 31, v3
	v_add_u32_e32 v3, v3, v4
	v_ashrrev_i32_e32 v4, 1, v3
	v_ashrrev_i32_e32 v5, 31, v4
	v_lshl_add_u64 v[10:11], v[4:5], 2, s[12:13]
	global_load_dword v3, v[10:11], off
	s_waitcnt vmcnt(0)
	v_subrev_u32_e32 v3, s22, v3
	v_cmp_lt_i32_e32 vcc, v7, v3
	s_nop 1
	v_cndmask_b32_e32 v2, v2, v4, vcc
	v_cndmask_b32_e32 v6, v4, v6, vcc
	v_add_u32_e32 v3, -1, v2
	v_cmp_ge_i32_e32 vcc, v6, v2
	v_cmp_eq_u32_e64 s[2:3], v6, v3
	s_or_b64 s[2:3], vcc, s[2:3]
	s_and_b64 s[2:3], exec, s[2:3]
	s_or_b64 s[16:17], s[2:3], s[16:17]
	s_andn2_b64 exec, exec, s[16:17]
	s_cbranch_execnz .LBB101_95
; %bb.96:
	s_or_b64 exec, exec, s[16:17]
.LBB101_97:
	v_ashrrev_i32_e32 v3, 31, v2
	v_lshl_add_u64 v[4:5], v[2:3], 2, s[12:13]
	global_load_dword v3, v[4:5], off
	global_load_dword v11, v[8:9], off offset:2048
	s_waitcnt vmcnt(1)
	v_subrev_u32_e32 v3, s22, v3
	v_cmp_lt_i32_e32 vcc, v7, v3
	s_nop 1
	v_cndmask_b32_e32 v10, v2, v6, vcc
	s_waitcnt vmcnt(0)
	v_subrev_u32_e32 v6, s22, v11
	v_cmp_ne_u32_e32 vcc, v6, v10
                                        ; implicit-def: $vgpr2_vgpr3
	s_and_saveexec_b64 s[2:3], vcc
	s_xor_b64 s[16:17], exec, s[2:3]
	s_cbranch_execz .LBB101_104
; %bb.98:
	s_load_dword s2, s[14:15], 0x0
	ds_read_b128 v[2:5], v1 offset:8192
	s_waitcnt lgkmcnt(0)
	s_sub_i32 s2, s2, s22
	v_cmp_gt_i32_e32 vcc, s2, v7
	s_and_saveexec_b64 s[24:25], vcc
	s_cbranch_execz .LBB101_103
; %bb.99:
	v_ashrrev_i32_e32 v11, 31, v10
	v_lshl_add_u64 v[10:11], v[10:11], 4, s[18:19]
	global_load_dwordx4 v[18:21], v[10:11], off
	v_cmp_gt_i32_e32 vcc, s30, v6
	v_cmp_le_i32_e64 s[2:3], s21, v6
	s_or_b64 s[2:3], vcc, s[2:3]
	s_waitcnt vmcnt(0)
	v_mul_f64 v[10:11], v[20:21], -v[4:5]
	v_mul_f64 v[12:13], v[20:21], v[2:3]
	v_fmac_f64_e32 v[10:11], v[2:3], v[18:19]
	v_fmac_f64_e32 v[12:13], v[4:5], v[18:19]
	s_and_saveexec_b64 s[34:35], s[2:3]
	s_xor_b64 s[2:3], exec, s[34:35]
	s_cbranch_execz .LBB101_101
; %bb.100:
	v_ashrrev_i32_e32 v7, 31, v6
	v_lshl_add_u64 v[14:15], v[6:7], 4, s[10:11]
	global_atomic_add_f64 v[14:15], v[10:11], off
	global_atomic_add_f64 v[14:15], v[12:13], off offset:8
                                        ; implicit-def: $vgpr10_vgpr11
                                        ; implicit-def: $vgpr12_vgpr13
.LBB101_101:
	s_andn2_saveexec_b64 s[2:3], s[2:3]
	s_cbranch_execz .LBB101_103
; %bb.102:
	v_subrev_u32_e32 v7, s30, v6
	v_mov_b32_e32 v14, 0x4000
	v_lshl_add_u32 v7, v7, 4, v14
	ds_add_f64 v7, v[10:11]
	ds_add_f64 v7, v[12:13] offset:8
.LBB101_103:
	s_or_b64 exec, exec, s[24:25]
.LBB101_104:
	s_andn2_saveexec_b64 s[2:3], s[16:17]
; %bb.105:
	ds_read_b128 v[2:5], v1 offset:8192
; %bb.106:
	s_or_b64 exec, exec, s[2:3]
	v_ashrrev_i32_e32 v7, 31, v6
	v_lshl_add_u64 v[6:7], v[6:7], 4, s[18:19]
	global_load_dwordx4 v[10:13], v[6:7], off
	s_and_b64 vcc, exec, s[0:1]
	v_mov_b32_e32 v6, s20
	s_waitcnt vmcnt(0) lgkmcnt(0)
	v_mul_f64 v[18:19], v[12:13], -v[4:5]
	v_mul_f64 v[20:21], v[12:13], v[2:3]
	v_fmac_f64_e32 v[18:19], v[2:3], v[10:11]
	v_fmac_f64_e32 v[20:21], v[4:5], v[10:11]
	v_mov_b32_e32 v2, s26
	ds_write_b128 v1, v[18:21] offset:8192
	s_cbranch_vccnz .LBB101_110
; %bb.107:
	s_mov_b64 s[2:3], 0
	v_mov_b32_e32 v6, s20
	v_mov_b32_e32 v2, s26
.LBB101_108:                            ; =>This Inner Loop Header: Depth=1
	v_add_u32_e32 v3, v2, v6
	v_lshrrev_b32_e32 v4, 31, v3
	v_add_u32_e32 v3, v3, v4
	v_ashrrev_i32_e32 v4, 1, v3
	v_ashrrev_i32_e32 v5, 31, v4
	v_lshl_add_u64 v[10:11], v[4:5], 2, s[12:13]
	global_load_dword v3, v[10:11], off
	s_waitcnt vmcnt(0)
	v_subrev_u32_e32 v3, s22, v3
	v_cmp_lt_i32_e32 vcc, v16, v3
	s_nop 1
	v_cndmask_b32_e32 v2, v2, v4, vcc
	v_cndmask_b32_e32 v6, v4, v6, vcc
	v_add_u32_e32 v3, -1, v2
	v_cmp_ge_i32_e32 vcc, v6, v2
	v_cmp_eq_u32_e64 s[0:1], v6, v3
	s_or_b64 s[0:1], vcc, s[0:1]
	s_and_b64 s[0:1], exec, s[0:1]
	s_or_b64 s[2:3], s[0:1], s[2:3]
	s_andn2_b64 exec, exec, s[2:3]
	s_cbranch_execnz .LBB101_108
; %bb.109:
	s_or_b64 exec, exec, s[2:3]
.LBB101_110:
	v_ashrrev_i32_e32 v3, 31, v2
	v_lshl_add_u64 v[4:5], v[2:3], 2, s[12:13]
	global_load_dword v3, v[4:5], off
	global_load_dword v7, v[8:9], off offset:3072
	s_waitcnt vmcnt(1)
	v_subrev_u32_e32 v3, s22, v3
	v_cmp_lt_i32_e32 vcc, v16, v3
	s_nop 1
	v_cndmask_b32_e32 v8, v2, v6, vcc
	s_waitcnt vmcnt(0)
	v_subrev_u32_e32 v6, s22, v7
	v_cmp_ne_u32_e32 vcc, v6, v8
                                        ; implicit-def: $vgpr2_vgpr3
	s_and_saveexec_b64 s[0:1], vcc
	s_xor_b64 s[2:3], exec, s[0:1]
	s_cbranch_execz .LBB101_117
; %bb.111:
	s_load_dword s0, s[14:15], 0x0
	ds_read_b128 v[2:5], v1 offset:12288
	s_waitcnt lgkmcnt(0)
	s_sub_i32 s0, s0, s22
	v_cmp_gt_i32_e32 vcc, s0, v16
	s_and_saveexec_b64 s[14:15], vcc
	s_cbranch_execz .LBB101_116
; %bb.112:
	v_ashrrev_i32_e32 v9, 31, v8
	v_lshl_add_u64 v[8:9], v[8:9], 4, s[18:19]
	global_load_dwordx4 v[12:15], v[8:9], off
	v_cmp_gt_i32_e32 vcc, s30, v6
	v_cmp_le_i32_e64 s[0:1], s21, v6
	s_or_b64 s[0:1], vcc, s[0:1]
	s_waitcnt vmcnt(0)
	v_mul_f64 v[8:9], v[14:15], -v[4:5]
	v_mul_f64 v[10:11], v[14:15], v[2:3]
	v_fmac_f64_e32 v[8:9], v[2:3], v[12:13]
	v_fmac_f64_e32 v[10:11], v[4:5], v[12:13]
	s_and_saveexec_b64 s[16:17], s[0:1]
	s_xor_b64 s[0:1], exec, s[16:17]
	s_cbranch_execz .LBB101_114
; %bb.113:
	v_ashrrev_i32_e32 v7, 31, v6
	v_lshl_add_u64 v[12:13], v[6:7], 4, s[10:11]
	global_atomic_add_f64 v[12:13], v[8:9], off
	global_atomic_add_f64 v[12:13], v[10:11], off offset:8
                                        ; implicit-def: $vgpr8_vgpr9
                                        ; implicit-def: $vgpr10_vgpr11
.LBB101_114:
	s_andn2_saveexec_b64 s[0:1], s[0:1]
	s_cbranch_execz .LBB101_116
; %bb.115:
	v_subrev_u32_e32 v7, s30, v6
	v_mov_b32_e32 v12, 0x4000
	v_lshl_add_u32 v7, v7, 4, v12
	ds_add_f64 v7, v[8:9]
	ds_add_f64 v7, v[10:11] offset:8
.LBB101_116:
	s_or_b64 exec, exec, s[14:15]
.LBB101_117:
	s_andn2_saveexec_b64 s[0:1], s[2:3]
; %bb.118:
	ds_read_b128 v[2:5], v1 offset:12288
; %bb.119:
	s_or_b64 exec, exec, s[0:1]
	v_ashrrev_i32_e32 v7, 31, v6
	v_lshl_add_u64 v[6:7], v[6:7], 4, s[18:19]
	global_load_dwordx4 v[6:9], v[6:7], off
	s_waitcnt vmcnt(0) lgkmcnt(0)
	v_mul_f64 v[10:11], v[8:9], -v[4:5]
	v_mul_f64 v[12:13], v[8:9], v[2:3]
	v_fmac_f64_e32 v[10:11], v[2:3], v[6:7]
	v_fmac_f64_e32 v[12:13], v[4:5], v[6:7]
	ds_write_b128 v1, v[10:13] offset:12288
.LBB101_120:
	s_or_b64 exec, exec, s[8:9]
	s_min_i32 s7, s21, s7
	s_sub_i32 s14, s7, s23
	v_cmp_gt_i32_e32 vcc, s14, v0
	s_waitcnt lgkmcnt(0)
	s_barrier
	s_and_saveexec_b64 s[0:1], vcc
	s_cbranch_execz .LBB101_123
; %bb.121:
	v_mov_b32_e32 v2, 0x4000
	v_lshl_add_u32 v2, v0, 4, v2
	s_mov_b64 s[2:3], 0
	v_mov_b32_e32 v3, v0
.LBB101_122:                            ; =>This Inner Loop Header: Depth=1
	ds_read2_b64 v[6:9], v2 offset1:1
	v_add_u32_e32 v4, s30, v3
	v_ashrrev_i32_e32 v5, 31, v4
	v_lshl_add_u64 v[4:5], v[4:5], 4, s[10:11]
	v_add_u32_e32 v3, 0x100, v3
	s_waitcnt lgkmcnt(0)
	global_atomic_add_f64 v[4:5], v[6:7], off
	global_atomic_add_f64 v[4:5], v[8:9], off offset:8
	v_cmp_le_i32_e32 vcc, s14, v3
	s_or_b64 s[2:3], vcc, s[2:3]
	v_add_u32_e32 v2, 0x1000, v2
	s_andn2_b64 exec, exec, s[2:3]
	s_cbranch_execnz .LBB101_122
.LBB101_123:
	s_or_b64 exec, exec, s[0:1]
	s_mul_i32 s0, s6, s23
	s_sub_i32 s0, s29, s0
	s_add_i32 s1, s6, 1
	s_sub_i32 s2, s0, s23
	s_cmp_ge_u32 s0, s23
	s_cselect_b32 s1, s1, s6
	s_cselect_b32 s0, s2, s0
	s_add_i32 s2, s1, 1
	s_cmp_ge_u32 s0, s23
	s_cselect_b32 s0, s2, s1
	s_add_i32 s0, s0, -1
	s_ashr_i32 s1, s0, 1
	s_or_b32 s0, s1, s0
	s_ashr_i32 s1, s0, 2
	s_or_b32 s0, s1, s0
	;; [unrolled: 2-line block ×5, first 2 shown]
	s_add_i32 s0, s0, 1
	s_ashr_i32 s15, s0, 1
	v_add_u32_e32 v6, s20, v0
	s_cmp_gt_i32 s15, 1
	s_mov_b64 s[0:1], -1
	s_barrier
	s_cbranch_scc1 .LBB101_132
; %bb.124:
	v_cmp_gt_i32_e32 vcc, s21, v6
	s_and_saveexec_b64 s[0:1], vcc
	s_cbranch_execz .LBB101_131
; %bb.125:
	s_sub_i32 s2, s7, s21
	s_lshl_b32 s2, s2, 4
	s_add_i32 s16, s2, 0x4000
	s_lshl_b32 s2, s28, 4
	s_sub_i32 s17, 0, s2
	s_mov_b64 s[2:3], 0
	v_mov_b32_e32 v2, v6
	s_branch .LBB101_127
.LBB101_126:                            ;   in Loop: Header=BB101_127 Depth=1
	s_or_b64 exec, exec, s[6:7]
	v_lshl_add_u32 v7, v2, 4, s16
	ds_read2_b64 v[10:13], v7 offset1:1
	s_waitcnt lgkmcnt(0)
	v_add_f64 v[8:9], v[8:9], v[10:11]
	v_lshl_add_u64 v[10:11], v[2:3], 4, s[10:11]
	v_add_f64 v[4:5], v[4:5], v[12:13]
	global_atomic_add_f64 v[10:11], v[8:9], off
	global_atomic_add_f64 v[10:11], v[4:5], off offset:8
	v_add_u32_e32 v2, s29, v2
	v_cmp_le_i32_e32 vcc, s21, v2
	s_or_b64 s[2:3], vcc, s[2:3]
	s_andn2_b64 exec, exec, s[2:3]
	s_cbranch_execz .LBB101_131
.LBB101_127:                            ; =>This Loop Header: Depth=1
                                        ;     Child Loop BB101_129 Depth 2
	v_ashrrev_i32_e32 v3, 31, v2
	v_lshl_add_u64 v[4:5], v[2:3], 2, s[12:13]
	global_load_dwordx2 v[10:11], v[4:5], off
	v_mov_b64_e32 v[4:5], 0
	v_mov_b64_e32 v[8:9], 0
	s_waitcnt vmcnt(0)
	v_cmp_lt_i32_e32 vcc, v10, v11
	s_and_saveexec_b64 s[6:7], vcc
	s_cbranch_execz .LBB101_126
; %bb.128:                              ;   in Loop: Header=BB101_127 Depth=1
	v_subrev_u32_e32 v7, s28, v11
	v_subrev_u32_e32 v11, s28, v10
	v_lshl_add_u32 v10, v10, 4, s17
	v_mov_b64_e32 v[4:5], 0
	s_mov_b64 s[8:9], 0
	v_mov_b64_e32 v[8:9], 0
.LBB101_129:                            ;   Parent Loop BB101_127 Depth=1
                                        ; =>  This Inner Loop Header: Depth=2
	ds_read_b128 v[12:15], v10
	v_add_u32_e32 v11, 1, v11
	v_cmp_ge_i32_e32 vcc, v11, v7
	v_add_u32_e32 v10, 16, v10
	s_or_b64 s[8:9], vcc, s[8:9]
	s_waitcnt lgkmcnt(0)
	v_add_f64 v[8:9], v[8:9], v[12:13]
	v_add_f64 v[4:5], v[4:5], v[14:15]
	s_andn2_b64 exec, exec, s[8:9]
	s_cbranch_execnz .LBB101_129
; %bb.130:                              ;   in Loop: Header=BB101_127 Depth=1
	s_or_b64 exec, exec, s[8:9]
	s_branch .LBB101_126
.LBB101_131:
	s_or_b64 exec, exec, s[0:1]
	s_mov_b64 s[0:1], 0
.LBB101_132:
	s_andn2_b64 vcc, exec, s[0:1]
	s_cbranch_vccnz .LBB101_145
; %bb.133:
	v_cvt_f32_u32_e32 v2, s15
	s_sub_i32 s0, 0, s15
	v_rcp_iflag_f32_e32 v2, v2
	s_nop 0
	v_mul_f32_e32 v2, 0x4f7ffffe, v2
	v_cvt_u32_f32_e32 v2, v2
	v_mul_lo_u32 v3, s0, v2
	v_mul_hi_u32 v3, v2, v3
	v_add_u32_e32 v2, v2, v3
	v_mul_hi_u32 v2, v0, v2
	v_mul_lo_u32 v3, v2, s15
	v_sub_u32_e32 v3, v0, v3
	v_add_u32_e32 v4, 1, v2
	v_cmp_le_u32_e32 vcc, s15, v3
	s_nop 1
	v_cndmask_b32_e32 v2, v2, v4, vcc
	v_subrev_u32_e32 v4, s15, v3
	v_cndmask_b32_e32 v3, v3, v4, vcc
	v_add_u32_e32 v4, 1, v2
	v_cmp_le_u32_e32 vcc, s15, v3
	s_nop 1
	v_cndmask_b32_e32 v2, v2, v4, vcc
	v_lshlrev_b32_e32 v3, 2, v2
	global_load_dwordx2 v[8:9], v3, s[4:5]
	v_cmp_gt_i32_e32 vcc, s23, v2
	v_mov_b64_e32 v[4:5], 0
	v_mov_b64_e32 v[2:3], 0
	s_and_saveexec_b64 s[0:1], vcc
	s_cbranch_execz .LBB101_141
; %bb.134:
	s_abs_i32 s4, s15
	v_cvt_f32_u32_e32 v2, s4
	s_waitcnt vmcnt(0)
	v_subrev_u32_e32 v8, s28, v8
	v_subrev_u32_e32 v7, s28, v9
	v_sub_u32_e32 v3, v7, v8
	v_rcp_iflag_f32_e32 v2, v2
	s_sub_i32 s2, 0, s4
	v_sub_u32_e32 v5, 0, v3
	v_ashrrev_i32_e32 v4, 31, v3
	v_mul_f32_e32 v2, 0x4f7ffffe, v2
	v_cvt_u32_f32_e32 v2, v2
	v_max_i32_e32 v5, v3, v5
	s_ashr_i32 s5, s15, 31
	v_mul_lo_u32 v3, s2, v2
	v_mul_hi_u32 v3, v2, v3
	v_add_u32_e32 v2, v2, v3
	v_mad_u64_u32 v[2:3], s[2:3], v5, v2, 0
	v_xor_b32_e32 v2, s5, v4
	v_mul_lo_u32 v4, v3, s4
	v_sub_u32_e32 v4, v5, v4
	v_add_u32_e32 v5, 1, v3
	v_cmp_le_u32_e32 vcc, s4, v4
	s_add_i32 s2, s15, -1
	v_and_b32_e32 v11, s2, v0
	v_cndmask_b32_e32 v3, v3, v5, vcc
	v_subrev_u32_e32 v5, s4, v4
	v_cndmask_b32_e32 v4, v4, v5, vcc
	v_add_u32_e32 v5, 1, v3
	v_cmp_le_u32_e32 vcc, s4, v4
	v_lshlrev_b32_e32 v10, 4, v11
	s_nop 0
	v_cndmask_b32_e32 v3, v3, v5, vcc
	v_xor_b32_e32 v3, v3, v2
	v_sub_u32_e32 v9, v3, v2
	v_cmp_lt_i32_e32 vcc, 0, v9
	v_mov_b64_e32 v[4:5], 0
	v_mov_b64_e32 v[2:3], 0
	s_and_saveexec_b64 s[2:3], vcc
	s_cbranch_execz .LBB101_138
; %bb.135:
	v_mov_b64_e32 v[4:5], 0
	v_lshl_add_u32 v12, v8, 4, v10
	s_lshl_b32 s6, s15, 4
	s_mov_b64 s[4:5], 0
	v_mov_b32_e32 v13, v9
	v_mov_b64_e32 v[2:3], v[4:5]
.LBB101_136:                            ; =>This Inner Loop Header: Depth=1
	ds_read_b128 v[14:17], v12
	v_add_u32_e32 v13, -1, v13
	v_cmp_eq_u32_e32 vcc, 0, v13
	v_add_u32_e32 v12, s6, v12
	s_or_b64 s[4:5], vcc, s[4:5]
	s_waitcnt lgkmcnt(0)
	v_add_f64 v[2:3], v[2:3], v[14:15]
	v_add_f64 v[4:5], v[4:5], v[16:17]
	s_andn2_b64 exec, exec, s[4:5]
	s_cbranch_execnz .LBB101_136
; %bb.137:
	s_or_b64 exec, exec, s[4:5]
.LBB101_138:
	s_or_b64 exec, exec, s[2:3]
	v_mad_u64_u32 v[8:9], s[2:3], v9, s15, v[8:9]
	v_sub_u32_e32 v7, v7, v8
	v_cmp_lt_i32_e32 vcc, v11, v7
	s_and_saveexec_b64 s[2:3], vcc
	s_cbranch_execz .LBB101_140
; %bb.139:
	v_lshl_add_u32 v7, v8, 4, v10
	ds_read_b128 v[8:11], v7
	s_waitcnt lgkmcnt(0)
	v_add_f64 v[2:3], v[2:3], v[8:9]
	v_add_f64 v[4:5], v[4:5], v[10:11]
.LBB101_140:
	s_or_b64 exec, exec, s[2:3]
.LBB101_141:
	s_or_b64 exec, exec, s[0:1]
	v_cmp_gt_i32_e32 vcc, s23, v0
	s_barrier
	ds_write_b128 v1, v[2:5]
	s_waitcnt lgkmcnt(0)
	s_barrier
	s_and_b64 exec, exec, vcc
	s_cbranch_execz .LBB101_145
; %bb.142:
	v_mul_lo_u32 v1, s15, v0
	v_lshlrev_b32_e32 v1, 4, v1
	v_mov_b64_e32 v[2:3], 0
	v_mov_b64_e32 v[4:5], 0
.LBB101_143:                            ; =>This Inner Loop Header: Depth=1
	s_waitcnt vmcnt(0)
	ds_read_b128 v[8:11], v1
	s_add_i32 s15, s15, -1
	v_add_u32_e32 v1, 16, v1
	s_cmp_eq_u32 s15, 0
	s_waitcnt lgkmcnt(0)
	v_add_f64 v[4:5], v[4:5], v[8:9]
	v_add_f64 v[2:3], v[2:3], v[10:11]
	s_cbranch_scc0 .LBB101_143
; %bb.144:
	s_lshl_b32 s0, s14, 4
	s_addk_i32 s0, 0x4000
	v_lshl_add_u32 v0, v0, 4, s0
	ds_read2_b64 v[8:11], v0 offset1:1
	v_ashrrev_i32_e32 v7, 31, v6
	s_waitcnt lgkmcnt(0)
	v_add_f64 v[0:1], v[4:5], v[8:9]
	v_lshl_add_u64 v[4:5], v[6:7], 4, s[10:11]
	v_add_f64 v[2:3], v[2:3], v[10:11]
	global_atomic_add_f64 v[4:5], v[0:1], off
	global_atomic_add_f64 v[4:5], v[2:3], off offset:8
.LBB101_145:
	s_endpgm
	.section	.rodata,"a",@progbits
	.p2align	6, 0x0
	.amdhsa_kernel _ZN9rocsparseL27csrmvn_symm_adaptive_kernelIiid21rocsparse_complex_numIdES2_S2_EEvbT_S3_PKS3_NS_24const_host_device_scalarIT4_EES5_PKT0_PKT1_PKT2_S8_PT3_21rocsparse_index_base_b
		.amdhsa_group_segment_fixed_size 16384
		.amdhsa_private_segment_fixed_size 0
		.amdhsa_kernarg_size 360
		.amdhsa_user_sgpr_count 2
		.amdhsa_user_sgpr_dispatch_ptr 0
		.amdhsa_user_sgpr_queue_ptr 0
		.amdhsa_user_sgpr_kernarg_segment_ptr 1
		.amdhsa_user_sgpr_dispatch_id 0
		.amdhsa_user_sgpr_kernarg_preload_length 0
		.amdhsa_user_sgpr_kernarg_preload_offset 0
		.amdhsa_user_sgpr_private_segment_size 0
		.amdhsa_uses_dynamic_stack 0
		.amdhsa_enable_private_segment 0
		.amdhsa_system_sgpr_workgroup_id_x 1
		.amdhsa_system_sgpr_workgroup_id_y 0
		.amdhsa_system_sgpr_workgroup_id_z 0
		.amdhsa_system_sgpr_workgroup_info 0
		.amdhsa_system_vgpr_workitem_id 0
		.amdhsa_next_free_vgpr 26
		.amdhsa_next_free_sgpr 40
		.amdhsa_accum_offset 28
		.amdhsa_reserve_vcc 1
		.amdhsa_float_round_mode_32 0
		.amdhsa_float_round_mode_16_64 0
		.amdhsa_float_denorm_mode_32 3
		.amdhsa_float_denorm_mode_16_64 3
		.amdhsa_dx10_clamp 1
		.amdhsa_ieee_mode 1
		.amdhsa_fp16_overflow 0
		.amdhsa_tg_split 0
		.amdhsa_exception_fp_ieee_invalid_op 0
		.amdhsa_exception_fp_denorm_src 0
		.amdhsa_exception_fp_ieee_div_zero 0
		.amdhsa_exception_fp_ieee_overflow 0
		.amdhsa_exception_fp_ieee_underflow 0
		.amdhsa_exception_fp_ieee_inexact 0
		.amdhsa_exception_int_div_zero 0
	.end_amdhsa_kernel
	.section	.text._ZN9rocsparseL27csrmvn_symm_adaptive_kernelIiid21rocsparse_complex_numIdES2_S2_EEvbT_S3_PKS3_NS_24const_host_device_scalarIT4_EES5_PKT0_PKT1_PKT2_S8_PT3_21rocsparse_index_base_b,"axG",@progbits,_ZN9rocsparseL27csrmvn_symm_adaptive_kernelIiid21rocsparse_complex_numIdES2_S2_EEvbT_S3_PKS3_NS_24const_host_device_scalarIT4_EES5_PKT0_PKT1_PKT2_S8_PT3_21rocsparse_index_base_b,comdat
.Lfunc_end101:
	.size	_ZN9rocsparseL27csrmvn_symm_adaptive_kernelIiid21rocsparse_complex_numIdES2_S2_EEvbT_S3_PKS3_NS_24const_host_device_scalarIT4_EES5_PKT0_PKT1_PKT2_S8_PT3_21rocsparse_index_base_b, .Lfunc_end101-_ZN9rocsparseL27csrmvn_symm_adaptive_kernelIiid21rocsparse_complex_numIdES2_S2_EEvbT_S3_PKS3_NS_24const_host_device_scalarIT4_EES5_PKT0_PKT1_PKT2_S8_PT3_21rocsparse_index_base_b
                                        ; -- End function
	.set _ZN9rocsparseL27csrmvn_symm_adaptive_kernelIiid21rocsparse_complex_numIdES2_S2_EEvbT_S3_PKS3_NS_24const_host_device_scalarIT4_EES5_PKT0_PKT1_PKT2_S8_PT3_21rocsparse_index_base_b.num_vgpr, 26
	.set _ZN9rocsparseL27csrmvn_symm_adaptive_kernelIiid21rocsparse_complex_numIdES2_S2_EEvbT_S3_PKS3_NS_24const_host_device_scalarIT4_EES5_PKT0_PKT1_PKT2_S8_PT3_21rocsparse_index_base_b.num_agpr, 0
	.set _ZN9rocsparseL27csrmvn_symm_adaptive_kernelIiid21rocsparse_complex_numIdES2_S2_EEvbT_S3_PKS3_NS_24const_host_device_scalarIT4_EES5_PKT0_PKT1_PKT2_S8_PT3_21rocsparse_index_base_b.numbered_sgpr, 40
	.set _ZN9rocsparseL27csrmvn_symm_adaptive_kernelIiid21rocsparse_complex_numIdES2_S2_EEvbT_S3_PKS3_NS_24const_host_device_scalarIT4_EES5_PKT0_PKT1_PKT2_S8_PT3_21rocsparse_index_base_b.num_named_barrier, 0
	.set _ZN9rocsparseL27csrmvn_symm_adaptive_kernelIiid21rocsparse_complex_numIdES2_S2_EEvbT_S3_PKS3_NS_24const_host_device_scalarIT4_EES5_PKT0_PKT1_PKT2_S8_PT3_21rocsparse_index_base_b.private_seg_size, 0
	.set _ZN9rocsparseL27csrmvn_symm_adaptive_kernelIiid21rocsparse_complex_numIdES2_S2_EEvbT_S3_PKS3_NS_24const_host_device_scalarIT4_EES5_PKT0_PKT1_PKT2_S8_PT3_21rocsparse_index_base_b.uses_vcc, 1
	.set _ZN9rocsparseL27csrmvn_symm_adaptive_kernelIiid21rocsparse_complex_numIdES2_S2_EEvbT_S3_PKS3_NS_24const_host_device_scalarIT4_EES5_PKT0_PKT1_PKT2_S8_PT3_21rocsparse_index_base_b.uses_flat_scratch, 0
	.set _ZN9rocsparseL27csrmvn_symm_adaptive_kernelIiid21rocsparse_complex_numIdES2_S2_EEvbT_S3_PKS3_NS_24const_host_device_scalarIT4_EES5_PKT0_PKT1_PKT2_S8_PT3_21rocsparse_index_base_b.has_dyn_sized_stack, 0
	.set _ZN9rocsparseL27csrmvn_symm_adaptive_kernelIiid21rocsparse_complex_numIdES2_S2_EEvbT_S3_PKS3_NS_24const_host_device_scalarIT4_EES5_PKT0_PKT1_PKT2_S8_PT3_21rocsparse_index_base_b.has_recursion, 0
	.set _ZN9rocsparseL27csrmvn_symm_adaptive_kernelIiid21rocsparse_complex_numIdES2_S2_EEvbT_S3_PKS3_NS_24const_host_device_scalarIT4_EES5_PKT0_PKT1_PKT2_S8_PT3_21rocsparse_index_base_b.has_indirect_call, 0
	.section	.AMDGPU.csdata,"",@progbits
; Kernel info:
; codeLenInByte = 6392
; TotalNumSgprs: 46
; NumVgprs: 26
; NumAgprs: 0
; TotalNumVgprs: 26
; ScratchSize: 0
; MemoryBound: 0
; FloatMode: 240
; IeeeMode: 1
; LDSByteSize: 16384 bytes/workgroup (compile time only)
; SGPRBlocks: 5
; VGPRBlocks: 3
; NumSGPRsForWavesPerEU: 46
; NumVGPRsForWavesPerEU: 26
; AccumOffset: 28
; Occupancy: 8
; WaveLimiterHint : 1
; COMPUTE_PGM_RSRC2:SCRATCH_EN: 0
; COMPUTE_PGM_RSRC2:USER_SGPR: 2
; COMPUTE_PGM_RSRC2:TRAP_HANDLER: 0
; COMPUTE_PGM_RSRC2:TGID_X_EN: 1
; COMPUTE_PGM_RSRC2:TGID_Y_EN: 0
; COMPUTE_PGM_RSRC2:TGID_Z_EN: 0
; COMPUTE_PGM_RSRC2:TIDIG_COMP_CNT: 0
; COMPUTE_PGM_RSRC3_GFX90A:ACCUM_OFFSET: 6
; COMPUTE_PGM_RSRC3_GFX90A:TG_SPLIT: 0
	.section	.text._ZL33csrmvn_symm_large_adaptive_kernelIiid21rocsparse_complex_numIdES1_S1_EvbT_PKS2_N9rocsparse24const_host_device_scalarIT4_EES4_PKT0_PKT1_PKT2_S8_PT3_21rocsparse_index_base_b,"axG",@progbits,_ZL33csrmvn_symm_large_adaptive_kernelIiid21rocsparse_complex_numIdES1_S1_EvbT_PKS2_N9rocsparse24const_host_device_scalarIT4_EES4_PKT0_PKT1_PKT2_S8_PT3_21rocsparse_index_base_b,comdat
	.globl	_ZL33csrmvn_symm_large_adaptive_kernelIiid21rocsparse_complex_numIdES1_S1_EvbT_PKS2_N9rocsparse24const_host_device_scalarIT4_EES4_PKT0_PKT1_PKT2_S8_PT3_21rocsparse_index_base_b ; -- Begin function _ZL33csrmvn_symm_large_adaptive_kernelIiid21rocsparse_complex_numIdES1_S1_EvbT_PKS2_N9rocsparse24const_host_device_scalarIT4_EES4_PKT0_PKT1_PKT2_S8_PT3_21rocsparse_index_base_b
	.p2align	8
	.type	_ZL33csrmvn_symm_large_adaptive_kernelIiid21rocsparse_complex_numIdES1_S1_EvbT_PKS2_N9rocsparse24const_host_device_scalarIT4_EES4_PKT0_PKT1_PKT2_S8_PT3_21rocsparse_index_base_b,@function
_ZL33csrmvn_symm_large_adaptive_kernelIiid21rocsparse_complex_numIdES1_S1_EvbT_PKS2_N9rocsparse24const_host_device_scalarIT4_EES4_PKT0_PKT1_PKT2_S8_PT3_21rocsparse_index_base_b: ; @_ZL33csrmvn_symm_large_adaptive_kernelIiid21rocsparse_complex_numIdES1_S1_EvbT_PKS2_N9rocsparse24const_host_device_scalarIT4_EES4_PKT0_PKT1_PKT2_S8_PT3_21rocsparse_index_base_b
; %bb.0:
	s_load_dwordx2 s[16:17], s[0:1], 0x58
	s_load_dwordx2 s[4:5], s[0:1], 0x10
	s_add_u32 s3, s0, 16
	s_addc_u32 s10, s1, 0
	s_waitcnt lgkmcnt(0)
	s_bitcmp1_b32 s17, 0
	s_cselect_b64 s[8:9], -1, 0
	s_and_b64 s[6:7], s[8:9], exec
	s_cselect_b32 s5, s10, s5
	s_cselect_b32 s3, s3, s4
	v_mov_b32_e32 v2, s3
	v_mov_b32_e32 v3, s5
	flat_load_dwordx4 v[2:5], v[2:3]
	s_waitcnt vmcnt(0) lgkmcnt(0)
	v_cmp_eq_f64_e32 vcc, 0, v[2:3]
	v_cmp_eq_f64_e64 s[4:5], 0, v[4:5]
	s_and_b64 s[10:11], vcc, s[4:5]
	s_mov_b64 s[4:5], -1
	s_and_saveexec_b64 s[6:7], s[10:11]
	s_cbranch_execz .LBB102_2
; %bb.1:
	s_load_dwordx2 s[4:5], s[0:1], 0x40
	s_add_u32 s3, s0, 64
	s_addc_u32 s10, s1, 0
	s_and_b64 s[8:9], s[8:9], exec
	s_waitcnt lgkmcnt(0)
	s_cselect_b32 s5, s10, s5
	s_cselect_b32 s3, s3, s4
	v_mov_b32_e32 v6, s3
	v_mov_b32_e32 v7, s5
	flat_load_dwordx4 v[6:9], v[6:7]
	s_waitcnt vmcnt(0) lgkmcnt(0)
	v_cmp_neq_f64_e32 vcc, 1.0, v[6:7]
	v_cmp_neq_f64_e64 s[4:5], 0, v[8:9]
	s_or_b64 s[4:5], vcc, s[4:5]
	s_orn2_b64 s[4:5], s[4:5], exec
.LBB102_2:
	s_or_b64 exec, exec, s[6:7]
	s_and_saveexec_b64 s[6:7], s[4:5]
	s_cbranch_execz .LBB102_36
; %bb.3:
	s_load_dwordx2 s[8:9], s[0:1], 0x8
	s_mov_b32 s4, 0
	s_ashr_i32 s3, s2, 31
	s_mov_b32 s6, s4
	s_mov_b32 s7, s4
	s_lshl_b64 s[2:3], s[2:3], 2
	s_mov_b32 s5, s4
	v_mov_b64_e32 v[8:9], s[6:7]
	s_waitcnt lgkmcnt(0)
	s_add_u32 s2, s8, s2
	v_lshlrev_b32_e32 v14, 4, v0
	v_mov_b64_e32 v[6:7], s[4:5]
	s_addc_u32 s3, s9, s3
	ds_write_b128 v14, v[6:9]
	ds_write_b128 v14, v[6:9] offset:4096
	ds_write_b128 v14, v[6:9] offset:8192
	;; [unrolled: 1-line block ×3, first 2 shown]
	s_waitcnt lgkmcnt(0)
	s_barrier
	s_load_dwordx2 s[18:19], s[2:3], 0x0
	s_load_dwordx2 s[20:21], s[0:1], 0x50
	s_load_dwordx8 s[8:15], s[0:1], 0x20
	v_subrev_u32_e32 v15, s16, v0
	s_waitcnt lgkmcnt(0)
	s_cmp_ge_i32 s18, s19
	s_cbranch_scc1 .LBB102_27
; %bb.4:
	v_cmp_gt_u32_e32 vcc, 64, v0
	v_cmp_gt_u32_e64 s[0:1], 16, v0
	v_cmp_gt_u32_e64 s[2:3], 4, v0
	v_cmp_eq_u32_e64 s[4:5], 0, v0
	s_mov_b64 s[22:23], 0x400
	s_mov_b64 s[24:25], 0x800
	v_mov_b32_e32 v16, 0
	s_mov_b32 s26, s18
	s_branch .LBB102_6
.LBB102_5:                              ;   in Loop: Header=BB102_6 Depth=1
	s_or_b64 exec, exec, s[28:29]
	s_add_i32 s26, s26, 1
	s_cmp_ge_i32 s26, s19
	s_cbranch_scc1 .LBB102_27
.LBB102_6:                              ; =>This Loop Header: Depth=1
                                        ;     Child Loop BB102_8 Depth 2
                                        ;     Child Loop BB102_20 Depth 2
	;; [unrolled: 1-line block ×3, first 2 shown]
	s_ashr_i32 s27, s26, 31
	s_lshl_b64 s[6:7], s[26:27], 2
	s_add_u32 s6, s8, s6
	s_addc_u32 s7, s9, s7
	s_load_dwordx2 s[28:29], s[6:7], 0x0
	v_mov_b64_e32 v[8:9], 0
	v_mov_b64_e32 v[6:7], 0
	s_waitcnt lgkmcnt(0)
	v_add_u32_e32 v0, s28, v15
	s_sub_i32 s17, s29, s16
	v_cmp_gt_i32_e64 s[6:7], s17, v0
	s_and_saveexec_b64 s[28:29], s[6:7]
	s_cbranch_execz .LBB102_10
; %bb.7:                                ;   in Loop: Header=BB102_6 Depth=1
	v_ashrrev_i32_e32 v1, 31, v0
	v_mov_b64_e32 v[8:9], 0
	v_lshl_add_u64 v[10:11], v[0:1], 2, s[10:11]
	v_lshl_add_u64 v[12:13], v[0:1], 3, s[12:13]
	s_mov_b64 s[30:31], 0
	v_mov_b64_e32 v[6:7], v[8:9]
.LBB102_8:                              ;   Parent Loop BB102_6 Depth=1
                                        ; =>  This Inner Loop Header: Depth=2
	global_load_dword v1, v[10:11], off
	global_load_dwordx2 v[22:23], v[12:13], off
	v_add_u32_e32 v0, 0x100, v0
	v_cmp_le_i32_e64 s[6:7], s17, v0
	v_lshl_add_u64 v[10:11], v[10:11], 0, s[22:23]
	v_lshl_add_u64 v[12:13], v[12:13], 0, s[24:25]
	s_or_b64 s[30:31], s[6:7], s[30:31]
	s_waitcnt vmcnt(1)
	v_subrev_u32_e32 v18, s16, v1
	v_ashrrev_i32_e32 v19, 31, v18
	v_lshl_add_u64 v[18:19], v[18:19], 4, s[14:15]
	global_load_dwordx4 v[18:21], v[18:19], off
	s_waitcnt vmcnt(0)
	v_fmac_f64_e32 v[6:7], v[22:23], v[18:19]
	v_fmac_f64_e32 v[8:9], 0, v[18:19]
	;; [unrolled: 1-line block ×4, first 2 shown]
	s_andn2_b64 exec, exec, s[30:31]
	s_cbranch_execnz .LBB102_8
; %bb.9:                                ;   in Loop: Header=BB102_6 Depth=1
	s_or_b64 exec, exec, s[30:31]
.LBB102_10:                             ;   in Loop: Header=BB102_6 Depth=1
	s_or_b64 exec, exec, s[28:29]
	ds_write_b128 v14, v[6:9]
	s_waitcnt lgkmcnt(0)
	s_barrier
	ds_read_b128 v[6:9], v14 offset:4096
	ds_read_b128 v[10:13], v14 offset:8192
	;; [unrolled: 1-line block ×3, first 2 shown]
	ds_read_b128 v[22:25], v14
	s_waitcnt lgkmcnt(2)
	v_add_f64 v[0:1], v[10:11], v[6:7]
	v_add_f64 v[6:7], v[12:13], v[8:9]
	s_waitcnt lgkmcnt(1)
	v_add_f64 v[0:1], v[0:1], v[18:19]
	v_add_f64 v[8:9], v[6:7], v[20:21]
	;; [unrolled: 3-line block ×3, first 2 shown]
	ds_write_b128 v14, v[6:9]
	s_waitcnt lgkmcnt(0)
	s_barrier
	s_and_saveexec_b64 s[6:7], vcc
	s_cbranch_execz .LBB102_12
; %bb.11:                               ;   in Loop: Header=BB102_6 Depth=1
	ds_read_b128 v[6:9], v14 offset:1024
	ds_read_b128 v[10:13], v14 offset:2048
	ds_read_b128 v[18:21], v14 offset:3072
	ds_read_b128 v[22:25], v14
	s_waitcnt lgkmcnt(2)
	v_add_f64 v[0:1], v[10:11], v[6:7]
	v_add_f64 v[6:7], v[12:13], v[8:9]
	s_waitcnt lgkmcnt(1)
	v_add_f64 v[0:1], v[0:1], v[18:19]
	v_add_f64 v[8:9], v[6:7], v[20:21]
	s_waitcnt lgkmcnt(0)
	v_add_f64 v[6:7], v[0:1], v[22:23]
	v_add_f64 v[8:9], v[8:9], v[24:25]
	ds_write_b128 v14, v[6:9]
.LBB102_12:                             ;   in Loop: Header=BB102_6 Depth=1
	s_or_b64 exec, exec, s[6:7]
	s_waitcnt lgkmcnt(0)
	s_barrier
	s_and_saveexec_b64 s[6:7], s[0:1]
	s_cbranch_execz .LBB102_14
; %bb.13:                               ;   in Loop: Header=BB102_6 Depth=1
	ds_read_b128 v[6:9], v14 offset:256
	ds_read_b128 v[10:13], v14 offset:512
	ds_read_b128 v[18:21], v14 offset:768
	ds_read_b128 v[22:25], v14
	s_waitcnt lgkmcnt(2)
	v_add_f64 v[0:1], v[10:11], v[6:7]
	v_add_f64 v[6:7], v[12:13], v[8:9]
	s_waitcnt lgkmcnt(1)
	v_add_f64 v[0:1], v[0:1], v[18:19]
	v_add_f64 v[8:9], v[6:7], v[20:21]
	s_waitcnt lgkmcnt(0)
	v_add_f64 v[6:7], v[0:1], v[22:23]
	v_add_f64 v[8:9], v[8:9], v[24:25]
	ds_write_b128 v14, v[6:9]
.LBB102_14:                             ;   in Loop: Header=BB102_6 Depth=1
	s_or_b64 exec, exec, s[6:7]
	s_waitcnt lgkmcnt(0)
	s_barrier
	s_and_saveexec_b64 s[6:7], s[2:3]
	;; [unrolled: 21-line block ×4, first 2 shown]
	s_cbranch_execz .LBB102_5
; %bb.19:                               ;   in Loop: Header=BB102_6 Depth=1
	ds_read_b128 v[6:9], v16
	v_mov_b32_e32 v0, 0
	s_mov_b64 s[6:7], exec
	v_bfrev_b32_e32 v1, 1
	s_waitcnt lgkmcnt(0)
	v_mul_f64 v[10:11], v[8:9], -v[4:5]
	v_fmac_f64_e32 v[10:11], v[2:3], v[6:7]
.LBB102_20:                             ;   Parent Loop BB102_6 Depth=1
                                        ; =>  This Inner Loop Header: Depth=2
	s_ff1_i32_b64 s17, s[6:7]
	s_lshl_b64 s[34:35], 1, s17
	v_readlane_b32 s31, v11, s17
	v_readlane_b32 s30, v10, s17
	s_andn2_b64 s[6:7], s[6:7], s[34:35]
	s_cmp_lg_u64 s[6:7], 0
	v_add_f64 v[0:1], v[0:1], s[30:31]
	s_cbranch_scc1 .LBB102_20
; %bb.21:                               ;   in Loop: Header=BB102_6 Depth=1
	s_lshl_b64 s[6:7], s[26:27], 4
	v_mbcnt_lo_u32_b32 v10, exec_lo, 0
	s_add_u32 s30, s20, s6
	v_mbcnt_hi_u32_b32 v10, exec_hi, v10
	s_addc_u32 s31, s21, s7
	v_cmp_eq_u32_e64 s[6:7], 0, v10
	s_and_saveexec_b64 s[34:35], s[6:7]
	s_xor_b64 s[6:7], exec, s[34:35]
	s_cbranch_execz .LBB102_23
; %bb.22:                               ;   in Loop: Header=BB102_6 Depth=1
	global_atomic_add_f64 v16, v[0:1], s[30:31]
.LBB102_23:                             ;   in Loop: Header=BB102_6 Depth=1
	s_or_b64 exec, exec, s[6:7]
	v_mul_f64 v[8:9], v[2:3], v[8:9]
	v_mov_b32_e32 v0, 0
	s_mov_b64 s[6:7], exec
	v_fmac_f64_e32 v[8:9], v[4:5], v[6:7]
	v_bfrev_b32_e32 v1, 1
.LBB102_24:                             ;   Parent Loop BB102_6 Depth=1
                                        ; =>  This Inner Loop Header: Depth=2
	s_ff1_i32_b64 s17, s[6:7]
	s_lshl_b64 s[36:37], 1, s17
	v_readlane_b32 s35, v9, s17
	v_readlane_b32 s34, v8, s17
	s_andn2_b64 s[6:7], s[6:7], s[36:37]
	s_cmp_lg_u64 s[6:7], 0
	v_add_f64 v[0:1], v[0:1], s[34:35]
	s_cbranch_scc1 .LBB102_24
; %bb.25:                               ;   in Loop: Header=BB102_6 Depth=1
	v_mbcnt_lo_u32_b32 v6, exec_lo, 0
	v_mbcnt_hi_u32_b32 v6, exec_hi, v6
	v_cmp_eq_u32_e64 s[6:7], 0, v6
	s_and_saveexec_b64 s[34:35], s[6:7]
	s_xor_b64 s[34:35], exec, s[34:35]
	s_cbranch_execz .LBB102_5
; %bb.26:                               ;   in Loop: Header=BB102_6 Depth=1
	global_atomic_add_f64 v16, v[0:1], s[30:31] offset:8
	s_branch .LBB102_5
.LBB102_27:
	s_ashr_i32 s1, s18, 31
	s_mov_b32 s0, s18
	s_lshl_b64 s[0:1], s[0:1], 2
	s_add_u32 s0, s8, s0
	s_addc_u32 s1, s9, s1
	s_ashr_i32 s3, s19, 31
	s_mov_b32 s2, s19
	s_lshl_b64 s[2:3], s[2:3], 2
	s_add_u32 s2, s8, s2
	s_addc_u32 s3, s9, s3
	s_load_dword s4, s[2:3], 0x0
	s_load_dword s5, s[0:1], 0x0
	s_waitcnt lgkmcnt(0)
	s_sub_i32 s17, s4, s16
	v_add_u32_e32 v0, s5, v15
	v_cmp_gt_i32_e32 vcc, s17, v0
	s_and_b64 exec, exec, vcc
	s_cbranch_execz .LBB102_36
; %bb.28:
	s_add_i32 s22, s19, -1
	s_cmp_lt_i32 s18, s22
	s_cselect_b64 s[0:1], -1, 0
	s_add_i32 s2, s19, -2
	s_cmp_lg_u32 s18, s2
	s_cselect_b64 s[2:3], -1, 0
	s_mov_b32 s4, 0
	s_and_b64 s[0:1], s[0:1], s[2:3]
	s_brev_b32 s5, 1
	v_cndmask_b32_e64 v1, 0, 1, s[0:1]
	v_mul_f64 v[6:7], v[4:5], s[4:5]
	s_mov_b64 s[4:5], 0
	v_mul_f64 v[8:9], v[2:3], 0
	v_cmp_ne_u32_e64 s[0:1], 1, v1
	s_branch .LBB102_30
.LBB102_29:                             ;   in Loop: Header=BB102_30 Depth=1
	s_or_b64 exec, exec, s[2:3]
	v_add_u32_e32 v0, 0x100, v0
	v_cmp_le_i32_e32 vcc, s17, v0
	s_or_b64 s[4:5], vcc, s[4:5]
	s_andn2_b64 exec, exec, s[4:5]
	s_cbranch_execz .LBB102_36
.LBB102_30:                             ; =>This Loop Header: Depth=1
                                        ;     Child Loop BB102_32 Depth 2
	s_and_b64 vcc, exec, s[0:1]
	v_mov_b32_e32 v12, s18
	v_mov_b32_e32 v10, s22
	s_cbranch_vccnz .LBB102_34
; %bb.31:                               ;   in Loop: Header=BB102_30 Depth=1
	s_mov_b64 s[6:7], 0
	v_mov_b32_e32 v12, s18
	v_mov_b32_e32 v10, s22
.LBB102_32:                             ;   Parent Loop BB102_30 Depth=1
                                        ; =>  This Inner Loop Header: Depth=2
	v_add_u32_e32 v1, v10, v12
	v_lshrrev_b32_e32 v11, 31, v1
	v_add_u32_e32 v1, v1, v11
	v_ashrrev_i32_e32 v14, 1, v1
	v_ashrrev_i32_e32 v15, 31, v14
	v_lshl_add_u64 v[16:17], v[14:15], 2, s[8:9]
	global_load_dword v1, v[16:17], off
	s_waitcnt vmcnt(0)
	v_subrev_u32_e32 v1, s16, v1
	v_cmp_lt_i32_e32 vcc, v0, v1
	s_nop 1
	v_cndmask_b32_e32 v10, v10, v14, vcc
	v_cndmask_b32_e32 v12, v14, v12, vcc
	v_add_u32_e32 v1, -1, v10
	v_cmp_ge_i32_e32 vcc, v12, v10
	v_cmp_eq_u32_e64 s[2:3], v12, v1
	s_or_b64 s[2:3], vcc, s[2:3]
	s_and_b64 s[2:3], exec, s[2:3]
	s_or_b64 s[6:7], s[2:3], s[6:7]
	s_andn2_b64 exec, exec, s[6:7]
	s_cbranch_execnz .LBB102_32
; %bb.33:                               ;   in Loop: Header=BB102_30 Depth=1
	s_or_b64 exec, exec, s[6:7]
.LBB102_34:                             ;   in Loop: Header=BB102_30 Depth=1
	v_ashrrev_i32_e32 v11, 31, v10
	v_lshl_add_u64 v[14:15], v[10:11], 2, s[8:9]
	global_load_dword v11, v[14:15], off
	v_ashrrev_i32_e32 v1, 31, v0
	v_lshl_add_u64 v[14:15], v[0:1], 2, s[10:11]
	global_load_dword v13, v[14:15], off
	s_waitcnt vmcnt(1)
	v_subrev_u32_e32 v11, s16, v11
	v_cmp_lt_i32_e32 vcc, v0, v11
	s_nop 1
	v_cndmask_b32_e32 v12, v10, v12, vcc
	s_waitcnt vmcnt(0)
	v_subrev_u32_e32 v10, s16, v13
	v_cmp_ne_u32_e32 vcc, v10, v12
	s_and_saveexec_b64 s[2:3], vcc
	s_cbranch_execz .LBB102_29
; %bb.35:                               ;   in Loop: Header=BB102_30 Depth=1
	v_lshl_add_u64 v[14:15], v[0:1], 3, s[12:13]
	v_ashrrev_i32_e32 v13, 31, v12
	global_load_dwordx2 v[16:17], v[14:15], off
	v_lshl_add_u64 v[12:13], v[12:13], 4, s[14:15]
	global_load_dwordx4 v[12:15], v[12:13], off
	v_ashrrev_i32_e32 v11, 31, v10
	v_lshl_add_u64 v[10:11], v[10:11], 4, s[20:21]
	s_waitcnt vmcnt(1)
	v_fma_f64 v[18:19], v[2:3], v[16:17], v[6:7]
	v_fma_f64 v[16:17], v[4:5], v[16:17], v[8:9]
	s_waitcnt vmcnt(0)
	v_mul_f64 v[20:21], v[14:15], -v[16:17]
	v_mul_f64 v[14:15], v[18:19], v[14:15]
	v_fmac_f64_e32 v[20:21], v[18:19], v[12:13]
	v_fmac_f64_e32 v[14:15], v[16:17], v[12:13]
	global_atomic_add_f64 v[10:11], v[20:21], off
	global_atomic_add_f64 v[10:11], v[14:15], off offset:8
	s_branch .LBB102_29
.LBB102_36:
	s_endpgm
	.section	.rodata,"a",@progbits
	.p2align	6, 0x0
	.amdhsa_kernel _ZL33csrmvn_symm_large_adaptive_kernelIiid21rocsparse_complex_numIdES1_S1_EvbT_PKS2_N9rocsparse24const_host_device_scalarIT4_EES4_PKT0_PKT1_PKT2_S8_PT3_21rocsparse_index_base_b
		.amdhsa_group_segment_fixed_size 16384
		.amdhsa_private_segment_fixed_size 0
		.amdhsa_kernarg_size 96
		.amdhsa_user_sgpr_count 2
		.amdhsa_user_sgpr_dispatch_ptr 0
		.amdhsa_user_sgpr_queue_ptr 0
		.amdhsa_user_sgpr_kernarg_segment_ptr 1
		.amdhsa_user_sgpr_dispatch_id 0
		.amdhsa_user_sgpr_kernarg_preload_length 0
		.amdhsa_user_sgpr_kernarg_preload_offset 0
		.amdhsa_user_sgpr_private_segment_size 0
		.amdhsa_uses_dynamic_stack 0
		.amdhsa_enable_private_segment 0
		.amdhsa_system_sgpr_workgroup_id_x 1
		.amdhsa_system_sgpr_workgroup_id_y 0
		.amdhsa_system_sgpr_workgroup_id_z 0
		.amdhsa_system_sgpr_workgroup_info 0
		.amdhsa_system_vgpr_workitem_id 0
		.amdhsa_next_free_vgpr 26
		.amdhsa_next_free_sgpr 38
		.amdhsa_accum_offset 28
		.amdhsa_reserve_vcc 1
		.amdhsa_float_round_mode_32 0
		.amdhsa_float_round_mode_16_64 0
		.amdhsa_float_denorm_mode_32 3
		.amdhsa_float_denorm_mode_16_64 3
		.amdhsa_dx10_clamp 1
		.amdhsa_ieee_mode 1
		.amdhsa_fp16_overflow 0
		.amdhsa_tg_split 0
		.amdhsa_exception_fp_ieee_invalid_op 0
		.amdhsa_exception_fp_denorm_src 0
		.amdhsa_exception_fp_ieee_div_zero 0
		.amdhsa_exception_fp_ieee_overflow 0
		.amdhsa_exception_fp_ieee_underflow 0
		.amdhsa_exception_fp_ieee_inexact 0
		.amdhsa_exception_int_div_zero 0
	.end_amdhsa_kernel
	.section	.text._ZL33csrmvn_symm_large_adaptive_kernelIiid21rocsparse_complex_numIdES1_S1_EvbT_PKS2_N9rocsparse24const_host_device_scalarIT4_EES4_PKT0_PKT1_PKT2_S8_PT3_21rocsparse_index_base_b,"axG",@progbits,_ZL33csrmvn_symm_large_adaptive_kernelIiid21rocsparse_complex_numIdES1_S1_EvbT_PKS2_N9rocsparse24const_host_device_scalarIT4_EES4_PKT0_PKT1_PKT2_S8_PT3_21rocsparse_index_base_b,comdat
.Lfunc_end102:
	.size	_ZL33csrmvn_symm_large_adaptive_kernelIiid21rocsparse_complex_numIdES1_S1_EvbT_PKS2_N9rocsparse24const_host_device_scalarIT4_EES4_PKT0_PKT1_PKT2_S8_PT3_21rocsparse_index_base_b, .Lfunc_end102-_ZL33csrmvn_symm_large_adaptive_kernelIiid21rocsparse_complex_numIdES1_S1_EvbT_PKS2_N9rocsparse24const_host_device_scalarIT4_EES4_PKT0_PKT1_PKT2_S8_PT3_21rocsparse_index_base_b
                                        ; -- End function
	.set _ZL33csrmvn_symm_large_adaptive_kernelIiid21rocsparse_complex_numIdES1_S1_EvbT_PKS2_N9rocsparse24const_host_device_scalarIT4_EES4_PKT0_PKT1_PKT2_S8_PT3_21rocsparse_index_base_b.num_vgpr, 26
	.set _ZL33csrmvn_symm_large_adaptive_kernelIiid21rocsparse_complex_numIdES1_S1_EvbT_PKS2_N9rocsparse24const_host_device_scalarIT4_EES4_PKT0_PKT1_PKT2_S8_PT3_21rocsparse_index_base_b.num_agpr, 0
	.set _ZL33csrmvn_symm_large_adaptive_kernelIiid21rocsparse_complex_numIdES1_S1_EvbT_PKS2_N9rocsparse24const_host_device_scalarIT4_EES4_PKT0_PKT1_PKT2_S8_PT3_21rocsparse_index_base_b.numbered_sgpr, 38
	.set _ZL33csrmvn_symm_large_adaptive_kernelIiid21rocsparse_complex_numIdES1_S1_EvbT_PKS2_N9rocsparse24const_host_device_scalarIT4_EES4_PKT0_PKT1_PKT2_S8_PT3_21rocsparse_index_base_b.num_named_barrier, 0
	.set _ZL33csrmvn_symm_large_adaptive_kernelIiid21rocsparse_complex_numIdES1_S1_EvbT_PKS2_N9rocsparse24const_host_device_scalarIT4_EES4_PKT0_PKT1_PKT2_S8_PT3_21rocsparse_index_base_b.private_seg_size, 0
	.set _ZL33csrmvn_symm_large_adaptive_kernelIiid21rocsparse_complex_numIdES1_S1_EvbT_PKS2_N9rocsparse24const_host_device_scalarIT4_EES4_PKT0_PKT1_PKT2_S8_PT3_21rocsparse_index_base_b.uses_vcc, 1
	.set _ZL33csrmvn_symm_large_adaptive_kernelIiid21rocsparse_complex_numIdES1_S1_EvbT_PKS2_N9rocsparse24const_host_device_scalarIT4_EES4_PKT0_PKT1_PKT2_S8_PT3_21rocsparse_index_base_b.uses_flat_scratch, 0
	.set _ZL33csrmvn_symm_large_adaptive_kernelIiid21rocsparse_complex_numIdES1_S1_EvbT_PKS2_N9rocsparse24const_host_device_scalarIT4_EES4_PKT0_PKT1_PKT2_S8_PT3_21rocsparse_index_base_b.has_dyn_sized_stack, 0
	.set _ZL33csrmvn_symm_large_adaptive_kernelIiid21rocsparse_complex_numIdES1_S1_EvbT_PKS2_N9rocsparse24const_host_device_scalarIT4_EES4_PKT0_PKT1_PKT2_S8_PT3_21rocsparse_index_base_b.has_recursion, 0
	.set _ZL33csrmvn_symm_large_adaptive_kernelIiid21rocsparse_complex_numIdES1_S1_EvbT_PKS2_N9rocsparse24const_host_device_scalarIT4_EES4_PKT0_PKT1_PKT2_S8_PT3_21rocsparse_index_base_b.has_indirect_call, 0
	.section	.AMDGPU.csdata,"",@progbits
; Kernel info:
; codeLenInByte = 1980
; TotalNumSgprs: 44
; NumVgprs: 26
; NumAgprs: 0
; TotalNumVgprs: 26
; ScratchSize: 0
; MemoryBound: 0
; FloatMode: 240
; IeeeMode: 1
; LDSByteSize: 16384 bytes/workgroup (compile time only)
; SGPRBlocks: 5
; VGPRBlocks: 3
; NumSGPRsForWavesPerEU: 44
; NumVGPRsForWavesPerEU: 26
; AccumOffset: 28
; Occupancy: 8
; WaveLimiterHint : 1
; COMPUTE_PGM_RSRC2:SCRATCH_EN: 0
; COMPUTE_PGM_RSRC2:USER_SGPR: 2
; COMPUTE_PGM_RSRC2:TRAP_HANDLER: 0
; COMPUTE_PGM_RSRC2:TGID_X_EN: 1
; COMPUTE_PGM_RSRC2:TGID_Y_EN: 0
; COMPUTE_PGM_RSRC2:TGID_Z_EN: 0
; COMPUTE_PGM_RSRC2:TIDIG_COMP_CNT: 0
; COMPUTE_PGM_RSRC3_GFX90A:ACCUM_OFFSET: 6
; COMPUTE_PGM_RSRC3_GFX90A:TG_SPLIT: 0
	.section	.text._ZN9rocsparseL22csrmvn_adaptive_kernelIlid21rocsparse_complex_numIdES2_S2_EEvbT_PKS3_PjPKT0_NS_24const_host_device_scalarIT4_EES5_S9_PKT1_PKT2_SC_PT3_21rocsparse_index_base_b,"axG",@progbits,_ZN9rocsparseL22csrmvn_adaptive_kernelIlid21rocsparse_complex_numIdES2_S2_EEvbT_PKS3_PjPKT0_NS_24const_host_device_scalarIT4_EES5_S9_PKT1_PKT2_SC_PT3_21rocsparse_index_base_b,comdat
	.globl	_ZN9rocsparseL22csrmvn_adaptive_kernelIlid21rocsparse_complex_numIdES2_S2_EEvbT_PKS3_PjPKT0_NS_24const_host_device_scalarIT4_EES5_S9_PKT1_PKT2_SC_PT3_21rocsparse_index_base_b ; -- Begin function _ZN9rocsparseL22csrmvn_adaptive_kernelIlid21rocsparse_complex_numIdES2_S2_EEvbT_PKS3_PjPKT0_NS_24const_host_device_scalarIT4_EES5_S9_PKT1_PKT2_SC_PT3_21rocsparse_index_base_b
	.p2align	8
	.type	_ZN9rocsparseL22csrmvn_adaptive_kernelIlid21rocsparse_complex_numIdES2_S2_EEvbT_PKS3_PjPKT0_NS_24const_host_device_scalarIT4_EES5_S9_PKT1_PKT2_SC_PT3_21rocsparse_index_base_b,@function
_ZN9rocsparseL22csrmvn_adaptive_kernelIlid21rocsparse_complex_numIdES2_S2_EEvbT_PKS3_PjPKT0_NS_24const_host_device_scalarIT4_EES5_S9_PKT1_PKT2_SC_PT3_21rocsparse_index_base_b: ; @_ZN9rocsparseL22csrmvn_adaptive_kernelIlid21rocsparse_complex_numIdES2_S2_EEvbT_PKS3_PjPKT0_NS_24const_host_device_scalarIT4_EES5_S9_PKT1_PKT2_SC_PT3_21rocsparse_index_base_b
; %bb.0:
	s_load_dwordx2 s[4:5], s[0:1], 0x28
	s_load_dwordx2 s[42:43], s[0:1], 0x70
	s_add_u32 s3, s0, 40
	s_addc_u32 s8, s1, 0
	s_add_u32 s9, s0, 0x58
	s_load_dwordx2 s[6:7], s[0:1], 0x58
	s_addc_u32 s10, s1, 0
	s_waitcnt lgkmcnt(0)
	s_bitcmp1_b32 s43, 0
	s_cselect_b32 s5, s8, s5
	s_cselect_b32 s3, s3, s4
	v_mov_b32_e32 v2, s3
	v_mov_b32_e32 v3, s5
	flat_load_dwordx4 v[6:9], v[2:3]
	s_cselect_b32 s3, s10, s7
	s_cselect_b32 s4, s9, s6
	v_mov_b32_e32 v2, s4
	v_mov_b32_e32 v3, s3
	flat_load_dwordx4 v[2:5], v[2:3]
	s_waitcnt vmcnt(0) lgkmcnt(0)
	v_cmp_eq_f64_e32 vcc, 0, v[6:7]
	v_cmp_eq_f64_e64 s[4:5], 0, v[8:9]
	s_and_b64 s[8:9], vcc, s[4:5]
	s_mov_b64 s[4:5], -1
	s_and_saveexec_b64 s[6:7], s[8:9]
; %bb.1:
	v_cmp_neq_f64_e32 vcc, 1.0, v[2:3]
	v_cmp_neq_f64_e64 s[4:5], 0, v[4:5]
	s_or_b64 s[4:5], vcc, s[4:5]
	s_orn2_b64 s[4:5], s[4:5], exec
; %bb.2:
	s_or_b64 exec, exec, s[6:7]
	s_and_saveexec_b64 s[6:7], s[4:5]
	s_cbranch_execz .LBB103_115
; %bb.3:
	s_load_dwordx2 s[4:5], s[0:1], 0x10
	s_load_dwordx2 s[6:7], s[0:1], 0x20
	s_ashr_i32 s3, s2, 31
	s_lshl_b64 s[8:9], s[2:3], 3
	s_waitcnt lgkmcnt(0)
	s_add_u32 s4, s4, s8
	s_addc_u32 s5, s5, s9
	s_load_dwordx4 s[36:39], s[4:5], 0x0
	s_load_dwordx2 s[22:23], s[0:1], 0x68
	s_load_dwordx8 s[24:31], s[0:1], 0x38
	s_lshl_b64 s[44:45], s[2:3], 2
	s_waitcnt lgkmcnt(0)
	s_sub_i32 s3, s38, s36
	s_add_u32 s4, s6, s44
	s_addc_u32 s5, s7, s45
	s_lshl_b64 s[6:7], s[36:37], 3
	s_add_u32 s40, s24, s6
	s_addc_u32 s41, s25, s7
	s_load_dword s33, s[4:5], 0x0
	s_load_dwordx2 s[34:35], s[40:41], 0x0
	s_cmp_lt_i32 s3, 2
	s_mov_b64 s[4:5], -1
	s_cbranch_scc0 .LBB103_71
; %bb.4:
	s_cmp_lg_u32 s3, 1
	s_cselect_b64 s[4:5], -1, 0
	s_waitcnt lgkmcnt(0)
	s_cmp_lg_u32 s33, 0
	s_cselect_b64 s[6:7], -1, 0
	s_or_b64 s[6:7], s[4:5], s[6:7]
	s_mov_b64 s[4:5], -1
	s_and_b64 vcc, exec, s[6:7]
	s_cbranch_vccnz .LBB103_33
; %bb.5:
	v_mov_b64_e32 v[10:11], s[36:37]
	v_cmp_le_i64_e32 vcc, s[38:39], v[10:11]
	s_cbranch_vccnz .LBB103_32
; %bb.6:
	v_subrev_co_u32_e32 v14, vcc, s42, v0
	s_movk_i32 s3, 0x80
	s_nop 0
	v_subb_co_u32_e64 v15, s[4:5], 0, 0, vcc
	s_mov_b32 s4, 0
	s_brev_b32 s5, 1
	v_cmp_neq_f64_e32 vcc, 0, v[2:3]
	v_cmp_neq_f64_e64 s[20:21], 0, v[4:5]
	v_mov_b32_e32 v1, 0
	v_mul_f64 v[16:17], v[8:9], s[4:5]
	v_mul_f64 v[18:19], v[6:7], 0
	v_lshlrev_b32_e32 v28, 4, v0
	v_cmp_gt_u32_e64 s[4:5], s3, v0
	v_cmp_gt_u32_e64 s[6:7], 64, v0
	;; [unrolled: 1-line block ×7, first 2 shown]
	v_cmp_eq_u32_e64 s[18:19], 0, v0
	s_or_b64 s[20:21], vcc, s[20:21]
	s_mov_b64 s[46:47], 0x100
	s_mov_b64 s[48:49], 0x800
	;; [unrolled: 1-line block ×3, first 2 shown]
	v_mov_b64_e32 v[20:21], s[38:39]
	s_mov_b64 s[52:53], s[36:37]
	s_branch .LBB103_9
.LBB103_7:                              ;   in Loop: Header=BB103_9 Depth=1
	s_or_b64 exec, exec, s[56:57]
	s_lshl_b64 s[56:57], s[52:53], 4
	s_add_u32 s56, s22, s56
	s_addc_u32 s57, s23, s57
	s_waitcnt lgkmcnt(0)
	global_store_dwordx4 v1, v[10:13], s[56:57]
.LBB103_8:                              ;   in Loop: Header=BB103_9 Depth=1
	s_or_b64 exec, exec, s[54:55]
	s_add_u32 s52, s52, 1
	s_addc_u32 s53, s53, 0
	v_cmp_ge_i64_e32 vcc, s[52:53], v[20:21]
	s_cbranch_vccnz .LBB103_32
.LBB103_9:                              ; =>This Loop Header: Depth=1
                                        ;     Child Loop BB103_11 Depth 2
	s_lshl_b64 s[54:55], s[52:53], 3
	s_add_u32 s54, s24, s54
	s_addc_u32 s55, s25, s55
	s_load_dwordx4 s[60:63], s[54:55], 0x0
	v_mov_b64_e32 v[12:13], 0
	v_mov_b64_e32 v[10:11], 0
	s_waitcnt lgkmcnt(0)
	s_sub_u32 s56, s62, s42
	v_lshl_add_u64 v[22:23], s[60:61], 0, v[14:15]
	s_subb_u32 s57, s63, 0
	v_cmp_gt_i64_e32 vcc, s[56:57], v[22:23]
	s_and_saveexec_b64 s[54:55], vcc
	s_cbranch_execz .LBB103_13
; %bb.10:                               ;   in Loop: Header=BB103_9 Depth=1
	v_mov_b64_e32 v[12:13], 0
	v_lshl_add_u64 v[24:25], v[22:23], 3, s[28:29]
	v_lshl_add_u64 v[26:27], v[22:23], 2, s[26:27]
	s_mov_b64 s[58:59], 0
	v_mov_b64_e32 v[10:11], v[12:13]
.LBB103_11:                             ;   Parent Loop BB103_9 Depth=1
                                        ; =>  This Inner Loop Header: Depth=2
	global_load_dword v29, v[26:27], off
	global_load_dwordx2 v[34:35], v[24:25], off
	v_lshl_add_u64 v[22:23], v[22:23], 0, s[46:47]
	v_cmp_le_i64_e32 vcc, s[56:57], v[22:23]
	v_lshl_add_u64 v[24:25], v[24:25], 0, s[48:49]
	v_lshl_add_u64 v[26:27], v[26:27], 0, s[50:51]
	s_or_b64 s[58:59], vcc, s[58:59]
	s_waitcnt vmcnt(1)
	v_subrev_u32_e32 v30, s42, v29
	v_ashrrev_i32_e32 v31, 31, v30
	v_lshl_add_u64 v[30:31], v[30:31], 4, s[30:31]
	global_load_dwordx4 v[30:33], v[30:31], off
	s_waitcnt vmcnt(1)
	v_fma_f64 v[36:37], v[6:7], v[34:35], v[16:17]
	v_fma_f64 v[34:35], v[8:9], v[34:35], v[18:19]
	s_waitcnt vmcnt(0)
	v_fmac_f64_e32 v[10:11], v[36:37], v[30:31]
	v_fmac_f64_e32 v[12:13], v[34:35], v[30:31]
	v_fma_f64 v[10:11], -v[34:35], v[32:33], v[10:11]
	v_fmac_f64_e32 v[12:13], v[36:37], v[32:33]
	s_andn2_b64 exec, exec, s[58:59]
	s_cbranch_execnz .LBB103_11
; %bb.12:                               ;   in Loop: Header=BB103_9 Depth=1
	s_or_b64 exec, exec, s[58:59]
.LBB103_13:                             ;   in Loop: Header=BB103_9 Depth=1
	s_or_b64 exec, exec, s[54:55]
	ds_write_b128 v28, v[10:13]
	s_waitcnt lgkmcnt(0)
	s_barrier
	s_and_saveexec_b64 s[54:55], s[4:5]
	s_cbranch_execz .LBB103_15
; %bb.14:                               ;   in Loop: Header=BB103_9 Depth=1
	ds_read_b128 v[10:13], v28 offset:2048
	ds_read_b128 v[22:25], v28
	s_waitcnt lgkmcnt(0)
	v_add_f64 v[10:11], v[10:11], v[22:23]
	v_add_f64 v[12:13], v[12:13], v[24:25]
	ds_write_b128 v28, v[10:13]
.LBB103_15:                             ;   in Loop: Header=BB103_9 Depth=1
	s_or_b64 exec, exec, s[54:55]
	s_waitcnt lgkmcnt(0)
	s_barrier
	s_and_saveexec_b64 s[54:55], s[6:7]
	s_cbranch_execz .LBB103_17
; %bb.16:                               ;   in Loop: Header=BB103_9 Depth=1
	ds_read_b128 v[10:13], v28 offset:1024
	ds_read_b128 v[22:25], v28
	s_waitcnt lgkmcnt(0)
	v_add_f64 v[10:11], v[10:11], v[22:23]
	v_add_f64 v[12:13], v[12:13], v[24:25]
	ds_write_b128 v28, v[10:13]
.LBB103_17:                             ;   in Loop: Header=BB103_9 Depth=1
	s_or_b64 exec, exec, s[54:55]
	;; [unrolled: 13-line block ×6, first 2 shown]
	s_waitcnt lgkmcnt(0)
	s_barrier
	s_and_saveexec_b64 s[54:55], s[16:17]
	s_cbranch_execz .LBB103_27
; %bb.26:                               ;   in Loop: Header=BB103_9 Depth=1
	ds_read_b128 v[10:13], v28
	ds_read_b128 v[22:25], v28 offset:32
	s_waitcnt lgkmcnt(0)
	v_add_f64 v[10:11], v[22:23], v[10:11]
	v_add_f64 v[12:13], v[24:25], v[12:13]
	ds_write_b128 v28, v[10:13]
.LBB103_27:                             ;   in Loop: Header=BB103_9 Depth=1
	s_or_b64 exec, exec, s[54:55]
	s_waitcnt lgkmcnt(0)
	s_barrier
	s_and_saveexec_b64 s[54:55], s[18:19]
	s_cbranch_execz .LBB103_29
; %bb.28:                               ;   in Loop: Header=BB103_9 Depth=1
	ds_read_b128 v[10:13], v1
	ds_read_b128 v[22:25], v1 offset:16
	s_waitcnt lgkmcnt(0)
	v_add_f64 v[10:11], v[22:23], v[10:11]
	v_add_f64 v[12:13], v[24:25], v[12:13]
	ds_write_b128 v1, v[10:13]
.LBB103_29:                             ;   in Loop: Header=BB103_9 Depth=1
	s_or_b64 exec, exec, s[54:55]
	s_waitcnt lgkmcnt(0)
	s_barrier
	s_and_saveexec_b64 s[54:55], s[18:19]
	s_cbranch_execz .LBB103_8
; %bb.30:                               ;   in Loop: Header=BB103_9 Depth=1
	ds_read_b128 v[10:13], v1
	s_and_saveexec_b64 s[56:57], s[20:21]
	s_cbranch_execz .LBB103_7
; %bb.31:                               ;   in Loop: Header=BB103_9 Depth=1
	s_lshl_b64 s[58:59], s[52:53], 4
	s_add_u32 s58, s22, s58
	s_addc_u32 s59, s23, s59
	global_load_dwordx4 v[22:25], v1, s[58:59]
	s_waitcnt vmcnt(0) lgkmcnt(0)
	v_fmac_f64_e32 v[10:11], v[2:3], v[22:23]
	v_fmac_f64_e32 v[12:13], v[4:5], v[22:23]
	v_fma_f64 v[10:11], -v[4:5], v[24:25], v[10:11]
	v_fmac_f64_e32 v[12:13], v[2:3], v[24:25]
	s_branch .LBB103_7
.LBB103_32:
	s_mov_b64 s[4:5], 0
.LBB103_33:
	s_andn2_b64 vcc, exec, s[4:5]
	s_cbranch_vccnz .LBB103_70
; %bb.34:
	s_load_dwordx2 s[4:5], s[0:1], 0x18
	s_sub_i32 s6, s2, s33
	v_mov_b32_e32 v1, 0
	v_or_b32_e32 v10, s33, v0
	v_cmp_eq_u32_e32 vcc, 0, v10
	s_waitcnt lgkmcnt(0)
	s_add_u32 s2, s4, s44
	s_addc_u32 s3, s5, s45
	global_load_dword v24, v1, s[2:3]
	v_mov_b64_e32 v[10:11], 0
	v_mov_b64_e32 v[12:13], 0
	s_and_saveexec_b64 s[8:9], vcc
	s_cbranch_execz .LBB103_38
; %bb.35:
	s_lshl_b64 s[12:13], s[36:37], 4
	s_add_u32 s12, s22, s12
	s_addc_u32 s13, s23, s13
	global_load_dwordx4 v[14:17], v1, s[12:13]
	s_mov_b64 s[10:11], exec
	v_mbcnt_lo_u32_b32 v10, s10, 0
	v_add_f64 v[18:19], v[2:3], -1.0
	v_mbcnt_hi_u32_b32 v20, s11, v10
	v_cmp_eq_u32_e32 vcc, 0, v20
	s_waitcnt vmcnt(0) expcnt(0) lgkmcnt(0)
	v_mul_f64 v[10:11], v[16:17], -v[4:5]
	v_mul_f64 v[12:13], v[18:19], v[16:17]
	s_and_saveexec_b64 s[12:13], vcc
	s_cbranch_execz .LBB103_37
; %bb.36:
	s_ashr_i32 s7, s6, 31
	s_lshl_b64 s[14:15], s[6:7], 2
	s_add_u32 s14, s4, s14
	s_addc_u32 s15, s5, s15
	s_bcnt1_i32_b64 s7, s[10:11]
	s_and_b32 s7, s7, 1
	v_mov_b32_e32 v16, 0
	v_mov_b32_e32 v17, s7
	global_atomic_xor v16, v17, s[14:15]
.LBB103_37:
	s_or_b64 exec, exec, s[12:13]
	v_fmac_f64_e32 v[10:11], v[18:19], v[14:15]
	v_fmac_f64_e32 v[12:13], v[4:5], v[14:15]
.LBB103_38:
	s_or_b64 exec, exec, s[8:9]
	s_load_dwordx2 s[8:9], s[40:41], 0x8
	s_sub_u32 s11, s34, s42
	s_mul_i32 s10, s33, 0xc00
	s_subb_u32 s13, s35, 0
	s_mul_hi_i32 s7, s33, 0xc00
	s_add_u32 s12, s11, s10
	s_addc_u32 s13, s13, s7
	s_waitcnt lgkmcnt(0)
	s_sub_u32 s10, s8, s42
	s_subb_u32 s11, s9, 0
	v_lshl_add_u64 v[14:15], s[12:13], 0, v[0:1]
	v_cmp_gt_i64_e32 vcc, s[10:11], v[14:15]
	s_and_saveexec_b64 s[8:9], vcc
	s_cbranch_execz .LBB103_42
; %bb.39:
	s_add_u32 s12, s12, 0xc00
	s_addc_u32 s13, s13, 0
	v_mov_b64_e32 v[16:17], s[10:11]
	v_cmp_lt_i64_e32 vcc, s[12:13], v[16:17]
	s_and_b64 s[14:15], vcc, exec
	s_cselect_b32 s11, s13, s11
	s_cselect_b32 s10, s12, s10
	s_mov_b32 s12, 0
	s_brev_b32 s13, 1
	v_mul_f64 v[16:17], v[8:9], s[12:13]
	s_mov_b64 s[12:13], 0
	v_mul_f64 v[18:19], v[6:7], 0
	v_lshl_add_u64 v[20:21], v[14:15], 3, s[28:29]
	v_lshl_add_u64 v[22:23], v[14:15], 2, s[26:27]
	s_mov_b64 s[14:15], 0x100
	s_mov_b64 s[16:17], 0x800
	;; [unrolled: 1-line block ×3, first 2 shown]
.LBB103_40:                             ; =>This Inner Loop Header: Depth=1
	global_load_dword v1, v[22:23], off
	global_load_dwordx2 v[30:31], v[20:21], off
	v_lshl_add_u64 v[14:15], v[14:15], 0, s[14:15]
	v_cmp_le_i64_e32 vcc, s[10:11], v[14:15]
	v_lshl_add_u64 v[20:21], v[20:21], 0, s[16:17]
	v_lshl_add_u64 v[22:23], v[22:23], 0, s[18:19]
	s_or_b64 s[12:13], vcc, s[12:13]
	s_waitcnt vmcnt(1)
	v_subrev_u32_e32 v26, s42, v1
	v_ashrrev_i32_e32 v27, 31, v26
	v_lshl_add_u64 v[26:27], v[26:27], 4, s[30:31]
	global_load_dwordx4 v[26:29], v[26:27], off
	s_waitcnt vmcnt(1)
	v_fma_f64 v[32:33], v[6:7], v[30:31], v[16:17]
	v_fma_f64 v[30:31], v[8:9], v[30:31], v[18:19]
	s_waitcnt vmcnt(0)
	v_fmac_f64_e32 v[10:11], v[32:33], v[26:27]
	v_fmac_f64_e32 v[12:13], v[30:31], v[26:27]
	v_fma_f64 v[10:11], -v[30:31], v[28:29], v[10:11]
	v_fmac_f64_e32 v[12:13], v[32:33], v[28:29]
	s_andn2_b64 exec, exec, s[12:13]
	s_cbranch_execnz .LBB103_40
; %bb.41:
	s_or_b64 exec, exec, s[12:13]
.LBB103_42:
	s_or_b64 exec, exec, s[8:9]
	s_movk_i32 s7, 0x80
	v_lshlrev_b32_e32 v1, 4, v0
	v_cmp_gt_u32_e32 vcc, s7, v0
	ds_write_b128 v1, v[10:13]
	s_waitcnt lgkmcnt(0)
	s_barrier
	s_and_saveexec_b64 s[8:9], vcc
	s_cbranch_execz .LBB103_44
; %bb.43:
	ds_read_b128 v[10:13], v1 offset:2048
	ds_read_b128 v[14:17], v1
	s_waitcnt lgkmcnt(0)
	v_add_f64 v[10:11], v[10:11], v[14:15]
	v_add_f64 v[12:13], v[12:13], v[16:17]
	ds_write_b128 v1, v[10:13]
.LBB103_44:
	s_or_b64 exec, exec, s[8:9]
	v_cmp_gt_u32_e32 vcc, 64, v0
	s_waitcnt lgkmcnt(0)
	s_barrier
	s_and_saveexec_b64 s[8:9], vcc
	s_cbranch_execz .LBB103_46
; %bb.45:
	ds_read_b128 v[10:13], v1 offset:1024
	ds_read_b128 v[14:17], v1
	s_waitcnt lgkmcnt(0)
	v_add_f64 v[10:11], v[10:11], v[14:15]
	v_add_f64 v[12:13], v[12:13], v[16:17]
	ds_write_b128 v1, v[10:13]
.LBB103_46:
	s_or_b64 exec, exec, s[8:9]
	v_cmp_gt_u32_e32 vcc, 32, v0
	;; [unrolled: 14-line block ×6, first 2 shown]
	s_waitcnt lgkmcnt(0)
	s_barrier
	s_and_saveexec_b64 s[8:9], vcc
	s_cbranch_execz .LBB103_56
; %bb.55:
	ds_read_b128 v[10:13], v1
	ds_read_b128 v[14:17], v1 offset:32
	s_waitcnt lgkmcnt(0)
	v_add_f64 v[10:11], v[14:15], v[10:11]
	v_add_f64 v[12:13], v[16:17], v[12:13]
	ds_write_b128 v1, v[10:13]
.LBB103_56:
	s_or_b64 exec, exec, s[8:9]
	v_cmp_eq_u32_e32 vcc, 0, v0
	s_waitcnt lgkmcnt(0)
	s_barrier
	s_and_saveexec_b64 s[8:9], vcc
	s_cbranch_execz .LBB103_58
; %bb.57:
	v_mov_b32_e32 v1, 0
	ds_read_b128 v[10:13], v1
	ds_read_b128 v[14:17], v1 offset:16
	s_waitcnt lgkmcnt(0)
	v_add_f64 v[10:11], v[14:15], v[10:11]
	v_add_f64 v[12:13], v[16:17], v[12:13]
	ds_write_b128 v1, v[10:13]
.LBB103_58:
	s_or_b64 exec, exec, s[8:9]
	s_waitcnt lgkmcnt(0)
	s_barrier
	s_and_saveexec_b64 s[8:9], vcc
	s_cbranch_execz .LBB103_69
; %bb.59:
	s_cmp_eq_u32 s33, 0
	s_cbranch_scc1 .LBB103_65
; %bb.60:
	s_ashr_i32 s7, s6, 31
	s_lshl_b64 s[6:7], s[6:7], 2
	s_add_u32 s4, s4, s6
	s_addc_u32 s5, s5, s7
	v_mov_b32_e32 v1, 0
	s_branch .LBB103_62
.LBB103_61:                             ;   in Loop: Header=BB103_62 Depth=1
	s_or_b64 exec, exec, s[6:7]
	s_waitcnt vmcnt(0)
	v_readfirstlane_b32 s6, v10
	s_nop 1
	v_cmp_eq_u32_e32 vcc, s6, v24
	s_cbranch_vccz .LBB103_64
.LBB103_62:                             ; =>This Inner Loop Header: Depth=1
	v_mbcnt_lo_u32_b32 v10, exec_lo, 0
	v_mbcnt_hi_u32_b32 v10, exec_hi, v10
	v_cmp_eq_u32_e32 vcc, 0, v10
                                        ; implicit-def: $vgpr10
	s_and_saveexec_b64 s[6:7], vcc
	s_cbranch_execz .LBB103_61
; %bb.63:                               ;   in Loop: Header=BB103_62 Depth=1
	global_load_dword v10, v1, s[4:5] sc1
	s_branch .LBB103_61
.LBB103_64:
	v_mov_b32_e32 v1, 0
	global_load_ushort v10, v1, s[2:3]
	s_waitcnt vmcnt(0)
	v_xor_b32_e32 v10, 1, v10
	global_store_short v1, v10, s[2:3]
.LBB103_65:
	v_mov_b32_e32 v1, 0
	ds_read_b128 v[10:13], v1
	s_mov_b64 s[4:5], exec
	s_lshl_b64 s[2:3], s[36:37], 4
	v_mbcnt_lo_u32_b32 v14, s4, 0
	s_add_u32 s2, s22, s2
	v_mbcnt_hi_u32_b32 v14, s5, v14
	s_addc_u32 s3, s23, s3
	v_cmp_eq_u32_e32 vcc, 0, v14
	s_and_saveexec_b64 s[6:7], vcc
	s_cbranch_execz .LBB103_67
; %bb.66:
	s_bcnt1_i32_b64 s4, s[4:5]
	v_cvt_f64_u32_e32 v[14:15], s4
	s_waitcnt lgkmcnt(0)
	v_mul_f64 v[10:11], v[10:11], v[14:15]
	global_atomic_add_f64 v1, v[10:11], s[2:3]
.LBB103_67:
	s_or_b64 exec, exec, s[6:7]
	s_mov_b64 s[4:5], exec
	v_mbcnt_lo_u32_b32 v1, s4, 0
	v_mbcnt_hi_u32_b32 v1, s5, v1
	v_cmp_eq_u32_e32 vcc, 0, v1
	s_and_b64 s[6:7], exec, vcc
	s_mov_b64 exec, s[6:7]
	s_cbranch_execz .LBB103_69
; %bb.68:
	s_bcnt1_i32_b64 s4, s[4:5]
	s_waitcnt lgkmcnt(0)
	v_cvt_f64_u32_e32 v[10:11], s4
	v_mul_f64 v[10:11], v[12:13], v[10:11]
	v_mov_b32_e32 v1, 0
	global_atomic_add_f64 v1, v[10:11], s[2:3] offset:8
.LBB103_69:
	s_or_b64 exec, exec, s[8:9]
.LBB103_70:
	s_mov_b64 s[4:5], 0
.LBB103_71:
	s_andn2_b64 vcc, exec, s[4:5]
	s_cbranch_vccnz .LBB103_115
; %bb.72:
	s_load_dwordx2 s[0:1], s[0:1], 0x8
	s_waitcnt lgkmcnt(0)
	v_subrev_co_u32_e32 v10, vcc, s42, v0
	v_mov_b32_e32 v1, 0
	s_nop 0
	v_subb_co_u32_e64 v11, s[2:3], 0, 0, vcc
	v_lshl_add_u64 v[10:11], s[34:35], 0, v[10:11]
	s_mov_b64 s[2:3], 0x300
	v_lshl_add_u64 v[12:13], v[10:11], 0, s[2:3]
	v_cmp_le_i64_e32 vcc, s[0:1], v[12:13]
	s_and_saveexec_b64 s[0:1], vcc
	s_xor_b64 s[0:1], exec, s[0:1]
	s_cbranch_execz .LBB103_77
; %bb.73:
	s_lshl_b64 s[2:3], s[38:39], 3
	s_add_u32 s2, s24, s2
	s_addc_u32 s3, s25, s3
	s_load_dwordx2 s[2:3], s[2:3], 0x0
	s_waitcnt lgkmcnt(0)
	s_sub_u32 s2, s2, s42
	s_subb_u32 s3, s3, 0
	v_cmp_gt_i64_e32 vcc, s[2:3], v[10:11]
	s_and_saveexec_b64 s[4:5], vcc
	s_cbranch_execz .LBB103_76
; %bb.74:
	s_mov_b32 s6, 0
	s_brev_b32 s7, 1
	v_lshlrev_b32_e32 v20, 4, v0
	v_mul_f64 v[12:13], v[8:9], s[6:7]
	s_mov_b64 s[6:7], 0
	v_mul_f64 v[14:15], v[6:7], 0
	v_lshl_add_u64 v[16:17], v[10:11], 3, s[28:29]
	v_lshl_add_u64 v[18:19], v[10:11], 2, s[26:27]
	s_mov_b64 s[8:9], 0x100
	s_mov_b64 s[10:11], 0x800
	;; [unrolled: 1-line block ×3, first 2 shown]
.LBB103_75:                             ; =>This Inner Loop Header: Depth=1
	global_load_dword v21, v[18:19], off
	global_load_dwordx2 v[26:27], v[16:17], off
	v_lshl_add_u64 v[10:11], v[10:11], 0, s[8:9]
	v_cmp_le_i64_e32 vcc, s[2:3], v[10:11]
	v_lshl_add_u64 v[16:17], v[16:17], 0, s[10:11]
	v_lshl_add_u64 v[18:19], v[18:19], 0, s[12:13]
	s_or_b64 s[6:7], vcc, s[6:7]
	s_waitcnt vmcnt(1)
	v_subrev_u32_e32 v22, s42, v21
	v_ashrrev_i32_e32 v23, 31, v22
	v_lshl_add_u64 v[22:23], v[22:23], 4, s[30:31]
	global_load_dwordx4 v[22:25], v[22:23], off
	s_waitcnt vmcnt(1)
	v_fma_f64 v[30:31], v[6:7], v[26:27], v[12:13]
	v_fma_f64 v[32:33], v[8:9], v[26:27], v[14:15]
	s_waitcnt vmcnt(0)
	v_mul_f64 v[26:27], v[24:25], -v[32:33]
	v_mul_f64 v[28:29], v[30:31], v[24:25]
	v_fmac_f64_e32 v[26:27], v[30:31], v[22:23]
	v_fmac_f64_e32 v[28:29], v[32:33], v[22:23]
	ds_write_b128 v20, v[26:29]
	v_add_u32_e32 v20, 0x1000, v20
	s_andn2_b64 exec, exec, s[6:7]
	s_cbranch_execnz .LBB103_75
.LBB103_76:
	s_or_b64 exec, exec, s[4:5]
                                        ; implicit-def: $vgpr8_vgpr9
                                        ; implicit-def: $vgpr10_vgpr11
.LBB103_77:
	s_or_saveexec_b64 s[0:1], s[0:1]
	v_lshlrev_b32_e32 v16, 4, v0
	s_xor_b64 exec, exec, s[0:1]
	s_cbranch_execz .LBB103_79
; %bb.78:
	v_lshl_add_u64 v[12:13], v[10:11], 2, s[26:27]
	global_load_dword v17, v[12:13], off
	global_load_dword v18, v[12:13], off offset:1024
	global_load_dword v19, v[12:13], off offset:2048
	;; [unrolled: 1-line block ×3, first 2 shown]
	v_lshl_add_u64 v[10:11], v[10:11], 3, s[28:29]
	s_movk_i32 s2, 0x1000
	global_load_dwordx2 v[14:15], v[10:11], off
	global_load_dwordx2 v[30:31], v[10:11], off offset:2048
	v_add_co_u32_e32 v10, vcc, s2, v10
	s_mov_b32 s2, 0
	s_nop 0
	v_addc_co_u32_e32 v11, vcc, 0, v11, vcc
	global_load_dwordx2 v[32:33], v[10:11], off
	global_load_dwordx2 v[34:35], v[10:11], off offset:2048
	s_brev_b32 s3, 1
	v_mul_f64 v[38:39], v[6:7], 0
	v_mul_f64 v[40:41], v[8:9], s[2:3]
	s_waitcnt vmcnt(7)
	v_subrev_u32_e32 v10, s42, v17
	s_waitcnt vmcnt(6)
	v_subrev_u32_e32 v18, s42, v18
	;; [unrolled: 2-line block ×4, first 2 shown]
	v_ashrrev_i32_e32 v11, 31, v10
	v_ashrrev_i32_e32 v19, 31, v18
	;; [unrolled: 1-line block ×4, first 2 shown]
	v_lshl_add_u64 v[10:11], v[10:11], 4, s[30:31]
	global_load_dwordx4 v[10:13], v[10:11], off
	v_lshl_add_u64 v[18:19], v[18:19], 4, s[30:31]
	v_lshl_add_u64 v[22:23], v[22:23], 4, s[30:31]
	;; [unrolled: 1-line block ×3, first 2 shown]
	global_load_dwordx4 v[18:21], v[18:19], off
	s_waitcnt vmcnt(5)
	v_fma_f64 v[42:43], v[6:7], v[14:15], v[40:41]
	global_load_dwordx4 v[22:25], v[22:23], off
	v_fma_f64 v[44:45], v[8:9], v[14:15], v[38:39]
	global_load_dwordx4 v[26:29], v[26:27], off
	s_waitcnt vmcnt(6)
	v_fma_f64 v[46:47], v[6:7], v[30:31], v[40:41]
	v_fma_f64 v[48:49], v[8:9], v[30:31], v[38:39]
	s_waitcnt vmcnt(5)
	v_fma_f64 v[50:51], v[6:7], v[32:33], v[40:41]
	v_fma_f64 v[52:53], v[8:9], v[32:33], v[38:39]
	s_waitcnt vmcnt(4)
	v_fmac_f64_e32 v[40:41], v[6:7], v[34:35]
	v_fmac_f64_e32 v[38:39], v[8:9], v[34:35]
	s_waitcnt vmcnt(3)
	v_mul_f64 v[6:7], v[12:13], -v[44:45]
	v_mul_f64 v[8:9], v[42:43], v[12:13]
	v_fmac_f64_e32 v[6:7], v[42:43], v[10:11]
	v_fmac_f64_e32 v[8:9], v[44:45], v[10:11]
	s_waitcnt vmcnt(2)
	v_mul_f64 v[12:13], v[20:21], -v[48:49]
	v_mul_f64 v[14:15], v[46:47], v[20:21]
	s_waitcnt vmcnt(1)
	v_mul_f64 v[30:31], v[24:25], -v[52:53]
	v_mul_f64 v[32:33], v[50:51], v[24:25]
	;; [unrolled: 3-line block ×3, first 2 shown]
	v_fmac_f64_e32 v[12:13], v[46:47], v[18:19]
	v_fmac_f64_e32 v[14:15], v[48:49], v[18:19]
	;; [unrolled: 1-line block ×6, first 2 shown]
	ds_write_b128 v16, v[6:9]
	ds_write_b128 v16, v[12:15] offset:4096
	ds_write_b128 v16, v[30:33] offset:8192
	;; [unrolled: 1-line block ×3, first 2 shown]
.LBB103_79:
	s_or_b64 exec, exec, s[0:1]
	s_cmp_lt_i32 s33, 2
	s_mov_b64 s[0:1], -1
	s_waitcnt lgkmcnt(0)
	s_barrier
	s_cbranch_scc0 .LBB103_90
; %bb.80:
	v_lshl_add_u64 v[14:15], s[36:37], 0, v[0:1]
	v_cmp_gt_i64_e32 vcc, s[38:39], v[14:15]
	s_and_saveexec_b64 s[2:3], vcc
	s_cbranch_execz .LBB103_89
; %bb.81:
	v_cmp_neq_f64_e32 vcc, 0, v[2:3]
	v_cmp_neq_f64_e64 s[0:1], 0, v[4:5]
	s_lshl_b32 s6, s34, 4
	s_mov_b64 s[4:5], 0
	s_or_b64 s[0:1], vcc, s[0:1]
	s_sub_i32 s12, 0, s6
	s_mov_b64 s[6:7], 0x100
	s_branch .LBB103_83
.LBB103_82:                             ;   in Loop: Header=BB103_83 Depth=1
	s_or_b64 exec, exec, s[8:9]
	v_lshl_add_u64 v[14:15], v[14:15], 0, s[6:7]
	v_cmp_le_i64_e32 vcc, s[38:39], v[14:15]
	s_or_b64 s[4:5], vcc, s[4:5]
	global_store_dwordx4 v[10:11], v[6:9], off
	s_andn2_b64 exec, exec, s[4:5]
	s_cbranch_execz .LBB103_89
.LBB103_83:                             ; =>This Loop Header: Depth=1
                                        ;     Child Loop BB103_85 Depth 2
	v_lshl_add_u64 v[6:7], v[14:15], 3, s[24:25]
	global_load_dwordx4 v[10:13], v[6:7], off
	v_mov_b64_e32 v[8:9], 0
	v_mov_b64_e32 v[6:7], 0
	s_waitcnt vmcnt(0)
	v_subrev_u32_e32 v1, s34, v10
	v_subrev_u32_e32 v11, s34, v12
	v_cmp_lt_i32_e32 vcc, v1, v11
	s_and_saveexec_b64 s[8:9], vcc
	s_cbranch_execz .LBB103_87
; %bb.84:                               ;   in Loop: Header=BB103_83 Depth=1
	v_mov_b64_e32 v[8:9], 0
	v_lshl_add_u32 v10, v10, 4, s12
	s_mov_b64 s[10:11], 0
	v_mov_b64_e32 v[6:7], v[8:9]
.LBB103_85:                             ;   Parent Loop BB103_83 Depth=1
                                        ; =>  This Inner Loop Header: Depth=2
	ds_read_b128 v[18:21], v10
	v_add_u32_e32 v1, 1, v1
	v_cmp_ge_i32_e32 vcc, v1, v11
	v_add_u32_e32 v10, 16, v10
	s_or_b64 s[10:11], vcc, s[10:11]
	s_waitcnt lgkmcnt(0)
	v_add_f64 v[6:7], v[6:7], v[18:19]
	v_add_f64 v[8:9], v[8:9], v[20:21]
	s_andn2_b64 exec, exec, s[10:11]
	s_cbranch_execnz .LBB103_85
; %bb.86:                               ;   in Loop: Header=BB103_83 Depth=1
	s_or_b64 exec, exec, s[10:11]
.LBB103_87:                             ;   in Loop: Header=BB103_83 Depth=1
	s_or_b64 exec, exec, s[8:9]
	v_lshl_add_u64 v[10:11], v[14:15], 4, s[22:23]
	s_and_saveexec_b64 s[8:9], s[0:1]
	s_cbranch_execz .LBB103_82
; %bb.88:                               ;   in Loop: Header=BB103_83 Depth=1
	global_load_dwordx4 v[18:21], v[10:11], off
	s_waitcnt vmcnt(0)
	v_fmac_f64_e32 v[6:7], v[2:3], v[18:19]
	v_fmac_f64_e32 v[8:9], v[4:5], v[18:19]
	v_fma_f64 v[6:7], -v[4:5], v[20:21], v[6:7]
	v_fmac_f64_e32 v[8:9], v[2:3], v[20:21]
	s_branch .LBB103_82
.LBB103_89:
	s_or_b64 exec, exec, s[2:3]
	s_mov_b64 s[0:1], 0
.LBB103_90:
	s_andn2_b64 vcc, exec, s[0:1]
	s_cbranch_vccnz .LBB103_115
; %bb.91:
	s_flbit_i32_b32 s0, s33
	s_xor_b32 s0, s0, 31
	v_lshrrev_b32_e32 v12, s0, v0
	v_mov_b32_e32 v13, 0
	v_lshl_add_u64 v[10:11], s[36:37], 0, v[12:13]
	s_add_i32 s0, s33, -1
	v_mov_b64_e32 v[6:7], 0
	v_and_b32_e32 v0, s0, v0
	v_cmp_le_i64_e32 vcc, s[38:39], v[10:11]
	v_cmp_gt_i64_e64 s[0:1], s[38:39], v[10:11]
	v_mov_b64_e32 v[8:9], v[6:7]
	s_and_saveexec_b64 s[2:3], s[0:1]
	s_cbranch_execz .LBB103_97
; %bb.92:
	v_lshlrev_b32_e32 v1, 3, v12
	global_load_dword v6, v1, s[40:41] offset:8
	global_load_dword v7, v1, s[40:41]
	v_mov_b64_e32 v[8:9], 0
	s_waitcnt vmcnt(1)
	v_subrev_u32_e32 v1, s34, v6
	s_waitcnt vmcnt(0)
	v_subrev_u32_e32 v6, s34, v7
	v_add_u32_e32 v12, v0, v6
	v_cmp_lt_i32_e64 s[0:1], v12, v1
	v_mov_b64_e32 v[6:7], 0
	s_and_saveexec_b64 s[4:5], s[0:1]
	s_cbranch_execz .LBB103_96
; %bb.93:
	v_mov_b64_e32 v[8:9], 0
	v_lshlrev_b32_e32 v13, 4, v12
	s_lshl_b32 s8, s33, 4
	s_mov_b64 s[6:7], 0
	v_mov_b64_e32 v[6:7], v[8:9]
.LBB103_94:                             ; =>This Inner Loop Header: Depth=1
	ds_read_b128 v[18:21], v13
	v_add_u32_e32 v12, s33, v12
	v_cmp_ge_i32_e64 s[0:1], v12, v1
	v_add_u32_e32 v13, s8, v13
	s_or_b64 s[6:7], s[0:1], s[6:7]
	s_waitcnt lgkmcnt(0)
	v_add_f64 v[6:7], v[6:7], v[18:19]
	v_add_f64 v[8:9], v[8:9], v[20:21]
	s_andn2_b64 exec, exec, s[6:7]
	s_cbranch_execnz .LBB103_94
; %bb.95:
	s_or_b64 exec, exec, s[6:7]
.LBB103_96:
	s_or_b64 exec, exec, s[4:5]
.LBB103_97:
	s_or_b64 exec, exec, s[2:3]
	s_cmpk_lt_u32 s33, 0x81
	s_barrier
	ds_write_b128 v16, v[6:9]
	s_waitcnt lgkmcnt(0)
	s_barrier
	s_cbranch_scc1 .LBB103_99
; %bb.98:
	ds_read_b128 v[12:15], v16 offset:2048
	s_waitcnt lgkmcnt(0)
	s_barrier
	v_add_f64 v[6:7], v[6:7], v[12:13]
	v_add_f64 v[8:9], v[8:9], v[14:15]
	ds_write_b128 v16, v[6:9]
.LBB103_99:
	s_cmpk_lt_u32 s33, 0x41
	s_waitcnt lgkmcnt(0)
	s_barrier
	s_cbranch_scc1 .LBB103_101
; %bb.100:
	ds_read_b128 v[12:15], v16 offset:1024
	s_waitcnt lgkmcnt(0)
	s_barrier
	v_add_f64 v[6:7], v[6:7], v[12:13]
	v_add_f64 v[8:9], v[8:9], v[14:15]
	ds_write_b128 v16, v[6:9]
.LBB103_101:
	s_cmp_lt_u32 s33, 33
	s_waitcnt lgkmcnt(0)
	s_barrier
	s_cbranch_scc1 .LBB103_103
; %bb.102:
	ds_read_b128 v[12:15], v16 offset:512
	s_waitcnt lgkmcnt(0)
	s_barrier
	v_add_f64 v[6:7], v[6:7], v[12:13]
	v_add_f64 v[8:9], v[8:9], v[14:15]
	ds_write_b128 v16, v[6:9]
.LBB103_103:
	s_cmp_lt_u32 s33, 17
	;; [unrolled: 12-line block ×4, first 2 shown]
	s_waitcnt lgkmcnt(0)
	s_barrier
	s_cbranch_scc1 .LBB103_109
; %bb.108:
	ds_read_b128 v[12:15], v16 offset:64
	s_waitcnt lgkmcnt(0)
	s_barrier
	v_add_f64 v[6:7], v[6:7], v[12:13]
	v_add_f64 v[8:9], v[8:9], v[14:15]
	ds_write_b128 v16, v[6:9]
.LBB103_109:
	s_cmp_eq_u32 s33, 2
	s_waitcnt lgkmcnt(0)
	s_barrier
	s_cbranch_scc1 .LBB103_111
; %bb.110:
	ds_read_b128 v[12:15], v16 offset:32
	s_waitcnt lgkmcnt(0)
	s_barrier
	v_add_f64 v[6:7], v[6:7], v[12:13]
	v_add_f64 v[8:9], v[8:9], v[14:15]
	ds_write_b128 v16, v[6:9]
.LBB103_111:
	s_waitcnt lgkmcnt(0)
	s_barrier
	ds_read_b128 v[12:15], v16 offset:16
	v_cmp_eq_u32_e64 s[0:1], 0, v0
	s_xor_b64 s[2:3], vcc, -1
	s_and_b64 s[0:1], s[0:1], s[2:3]
	s_waitcnt lgkmcnt(0)
	v_add_f64 v[6:7], v[6:7], v[12:13]
	v_add_f64 v[8:9], v[8:9], v[14:15]
	s_barrier
	ds_write_b128 v16, v[6:9]
	s_and_b64 exec, exec, s[0:1]
	s_cbranch_execz .LBB103_115
; %bb.112:
	v_cmp_neq_f64_e32 vcc, 0, v[2:3]
	v_cmp_neq_f64_e64 s[0:1], 0, v[4:5]
	s_or_b64 s[2:3], vcc, s[0:1]
	v_lshl_add_u64 v[0:1], v[10:11], 4, s[22:23]
	s_and_saveexec_b64 s[0:1], s[2:3]
	s_cbranch_execz .LBB103_114
; %bb.113:
	global_load_dwordx4 v[10:13], v[0:1], off
	s_waitcnt vmcnt(0)
	v_fmac_f64_e32 v[6:7], v[2:3], v[10:11]
	v_fmac_f64_e32 v[8:9], v[4:5], v[10:11]
	v_fma_f64 v[6:7], -v[4:5], v[12:13], v[6:7]
	v_fmac_f64_e32 v[8:9], v[2:3], v[12:13]
.LBB103_114:
	s_or_b64 exec, exec, s[0:1]
	global_store_dwordx4 v[0:1], v[6:9], off
.LBB103_115:
	s_endpgm
	.section	.rodata,"a",@progbits
	.p2align	6, 0x0
	.amdhsa_kernel _ZN9rocsparseL22csrmvn_adaptive_kernelIlid21rocsparse_complex_numIdES2_S2_EEvbT_PKS3_PjPKT0_NS_24const_host_device_scalarIT4_EES5_S9_PKT1_PKT2_SC_PT3_21rocsparse_index_base_b
		.amdhsa_group_segment_fixed_size 16384
		.amdhsa_private_segment_fixed_size 0
		.amdhsa_kernarg_size 120
		.amdhsa_user_sgpr_count 2
		.amdhsa_user_sgpr_dispatch_ptr 0
		.amdhsa_user_sgpr_queue_ptr 0
		.amdhsa_user_sgpr_kernarg_segment_ptr 1
		.amdhsa_user_sgpr_dispatch_id 0
		.amdhsa_user_sgpr_kernarg_preload_length 0
		.amdhsa_user_sgpr_kernarg_preload_offset 0
		.amdhsa_user_sgpr_private_segment_size 0
		.amdhsa_uses_dynamic_stack 0
		.amdhsa_enable_private_segment 0
		.amdhsa_system_sgpr_workgroup_id_x 1
		.amdhsa_system_sgpr_workgroup_id_y 0
		.amdhsa_system_sgpr_workgroup_id_z 0
		.amdhsa_system_sgpr_workgroup_info 0
		.amdhsa_system_vgpr_workitem_id 0
		.amdhsa_next_free_vgpr 54
		.amdhsa_next_free_sgpr 64
		.amdhsa_accum_offset 56
		.amdhsa_reserve_vcc 1
		.amdhsa_float_round_mode_32 0
		.amdhsa_float_round_mode_16_64 0
		.amdhsa_float_denorm_mode_32 3
		.amdhsa_float_denorm_mode_16_64 3
		.amdhsa_dx10_clamp 1
		.amdhsa_ieee_mode 1
		.amdhsa_fp16_overflow 0
		.amdhsa_tg_split 0
		.amdhsa_exception_fp_ieee_invalid_op 0
		.amdhsa_exception_fp_denorm_src 0
		.amdhsa_exception_fp_ieee_div_zero 0
		.amdhsa_exception_fp_ieee_overflow 0
		.amdhsa_exception_fp_ieee_underflow 0
		.amdhsa_exception_fp_ieee_inexact 0
		.amdhsa_exception_int_div_zero 0
	.end_amdhsa_kernel
	.section	.text._ZN9rocsparseL22csrmvn_adaptive_kernelIlid21rocsparse_complex_numIdES2_S2_EEvbT_PKS3_PjPKT0_NS_24const_host_device_scalarIT4_EES5_S9_PKT1_PKT2_SC_PT3_21rocsparse_index_base_b,"axG",@progbits,_ZN9rocsparseL22csrmvn_adaptive_kernelIlid21rocsparse_complex_numIdES2_S2_EEvbT_PKS3_PjPKT0_NS_24const_host_device_scalarIT4_EES5_S9_PKT1_PKT2_SC_PT3_21rocsparse_index_base_b,comdat
.Lfunc_end103:
	.size	_ZN9rocsparseL22csrmvn_adaptive_kernelIlid21rocsparse_complex_numIdES2_S2_EEvbT_PKS3_PjPKT0_NS_24const_host_device_scalarIT4_EES5_S9_PKT1_PKT2_SC_PT3_21rocsparse_index_base_b, .Lfunc_end103-_ZN9rocsparseL22csrmvn_adaptive_kernelIlid21rocsparse_complex_numIdES2_S2_EEvbT_PKS3_PjPKT0_NS_24const_host_device_scalarIT4_EES5_S9_PKT1_PKT2_SC_PT3_21rocsparse_index_base_b
                                        ; -- End function
	.set _ZN9rocsparseL22csrmvn_adaptive_kernelIlid21rocsparse_complex_numIdES2_S2_EEvbT_PKS3_PjPKT0_NS_24const_host_device_scalarIT4_EES5_S9_PKT1_PKT2_SC_PT3_21rocsparse_index_base_b.num_vgpr, 54
	.set _ZN9rocsparseL22csrmvn_adaptive_kernelIlid21rocsparse_complex_numIdES2_S2_EEvbT_PKS3_PjPKT0_NS_24const_host_device_scalarIT4_EES5_S9_PKT1_PKT2_SC_PT3_21rocsparse_index_base_b.num_agpr, 0
	.set _ZN9rocsparseL22csrmvn_adaptive_kernelIlid21rocsparse_complex_numIdES2_S2_EEvbT_PKS3_PjPKT0_NS_24const_host_device_scalarIT4_EES5_S9_PKT1_PKT2_SC_PT3_21rocsparse_index_base_b.numbered_sgpr, 64
	.set _ZN9rocsparseL22csrmvn_adaptive_kernelIlid21rocsparse_complex_numIdES2_S2_EEvbT_PKS3_PjPKT0_NS_24const_host_device_scalarIT4_EES5_S9_PKT1_PKT2_SC_PT3_21rocsparse_index_base_b.num_named_barrier, 0
	.set _ZN9rocsparseL22csrmvn_adaptive_kernelIlid21rocsparse_complex_numIdES2_S2_EEvbT_PKS3_PjPKT0_NS_24const_host_device_scalarIT4_EES5_S9_PKT1_PKT2_SC_PT3_21rocsparse_index_base_b.private_seg_size, 0
	.set _ZN9rocsparseL22csrmvn_adaptive_kernelIlid21rocsparse_complex_numIdES2_S2_EEvbT_PKS3_PjPKT0_NS_24const_host_device_scalarIT4_EES5_S9_PKT1_PKT2_SC_PT3_21rocsparse_index_base_b.uses_vcc, 1
	.set _ZN9rocsparseL22csrmvn_adaptive_kernelIlid21rocsparse_complex_numIdES2_S2_EEvbT_PKS3_PjPKT0_NS_24const_host_device_scalarIT4_EES5_S9_PKT1_PKT2_SC_PT3_21rocsparse_index_base_b.uses_flat_scratch, 0
	.set _ZN9rocsparseL22csrmvn_adaptive_kernelIlid21rocsparse_complex_numIdES2_S2_EEvbT_PKS3_PjPKT0_NS_24const_host_device_scalarIT4_EES5_S9_PKT1_PKT2_SC_PT3_21rocsparse_index_base_b.has_dyn_sized_stack, 0
	.set _ZN9rocsparseL22csrmvn_adaptive_kernelIlid21rocsparse_complex_numIdES2_S2_EEvbT_PKS3_PjPKT0_NS_24const_host_device_scalarIT4_EES5_S9_PKT1_PKT2_SC_PT3_21rocsparse_index_base_b.has_recursion, 0
	.set _ZN9rocsparseL22csrmvn_adaptive_kernelIlid21rocsparse_complex_numIdES2_S2_EEvbT_PKS3_PjPKT0_NS_24const_host_device_scalarIT4_EES5_S9_PKT1_PKT2_SC_PT3_21rocsparse_index_base_b.has_indirect_call, 0
	.section	.AMDGPU.csdata,"",@progbits
; Kernel info:
; codeLenInByte = 4648
; TotalNumSgprs: 70
; NumVgprs: 54
; NumAgprs: 0
; TotalNumVgprs: 54
; ScratchSize: 0
; MemoryBound: 0
; FloatMode: 240
; IeeeMode: 1
; LDSByteSize: 16384 bytes/workgroup (compile time only)
; SGPRBlocks: 8
; VGPRBlocks: 6
; NumSGPRsForWavesPerEU: 70
; NumVGPRsForWavesPerEU: 54
; AccumOffset: 56
; Occupancy: 8
; WaveLimiterHint : 1
; COMPUTE_PGM_RSRC2:SCRATCH_EN: 0
; COMPUTE_PGM_RSRC2:USER_SGPR: 2
; COMPUTE_PGM_RSRC2:TRAP_HANDLER: 0
; COMPUTE_PGM_RSRC2:TGID_X_EN: 1
; COMPUTE_PGM_RSRC2:TGID_Y_EN: 0
; COMPUTE_PGM_RSRC2:TGID_Z_EN: 0
; COMPUTE_PGM_RSRC2:TIDIG_COMP_CNT: 0
; COMPUTE_PGM_RSRC3_GFX90A:ACCUM_OFFSET: 13
; COMPUTE_PGM_RSRC3_GFX90A:TG_SPLIT: 0
	.section	.text._ZN9rocsparseL27csrmvn_symm_adaptive_kernelIlid21rocsparse_complex_numIdES2_S2_EEvbT_S3_PKS3_NS_24const_host_device_scalarIT4_EES5_PKT0_PKT1_PKT2_S8_PT3_21rocsparse_index_base_b,"axG",@progbits,_ZN9rocsparseL27csrmvn_symm_adaptive_kernelIlid21rocsparse_complex_numIdES2_S2_EEvbT_S3_PKS3_NS_24const_host_device_scalarIT4_EES5_PKT0_PKT1_PKT2_S8_PT3_21rocsparse_index_base_b,comdat
	.globl	_ZN9rocsparseL27csrmvn_symm_adaptive_kernelIlid21rocsparse_complex_numIdES2_S2_EEvbT_S3_PKS3_NS_24const_host_device_scalarIT4_EES5_PKT0_PKT1_PKT2_S8_PT3_21rocsparse_index_base_b ; -- Begin function _ZN9rocsparseL27csrmvn_symm_adaptive_kernelIlid21rocsparse_complex_numIdES2_S2_EEvbT_S3_PKS3_NS_24const_host_device_scalarIT4_EES5_PKT0_PKT1_PKT2_S8_PT3_21rocsparse_index_base_b
	.p2align	8
	.type	_ZN9rocsparseL27csrmvn_symm_adaptive_kernelIlid21rocsparse_complex_numIdES2_S2_EEvbT_S3_PKS3_NS_24const_host_device_scalarIT4_EES5_PKT0_PKT1_PKT2_S8_PT3_21rocsparse_index_base_b,@function
_ZN9rocsparseL27csrmvn_symm_adaptive_kernelIlid21rocsparse_complex_numIdES2_S2_EEvbT_S3_PKS3_NS_24const_host_device_scalarIT4_EES5_PKT0_PKT1_PKT2_S8_PT3_21rocsparse_index_base_b: ; @_ZN9rocsparseL27csrmvn_symm_adaptive_kernelIlid21rocsparse_complex_numIdES2_S2_EEvbT_S3_PKS3_NS_24const_host_device_scalarIT4_EES5_PKT0_PKT1_PKT2_S8_PT3_21rocsparse_index_base_b
; %bb.0:
	s_load_dwordx2 s[28:29], s[0:1], 0x68
	s_load_dwordx2 s[4:5], s[0:1], 0x20
	s_add_u32 s3, s0, 32
	s_addc_u32 s10, s1, 0
	s_waitcnt lgkmcnt(0)
	s_bitcmp1_b32 s29, 0
	s_cselect_b64 s[8:9], -1, 0
	s_and_b64 s[6:7], s[8:9], exec
	s_cselect_b32 s5, s10, s5
	s_cselect_b32 s3, s3, s4
	v_mov_b32_e32 v2, s3
	v_mov_b32_e32 v3, s5
	flat_load_dwordx4 v[2:5], v[2:3]
	s_waitcnt vmcnt(0) lgkmcnt(0)
	v_cmp_eq_f64_e32 vcc, 0, v[2:3]
	v_cmp_eq_f64_e64 s[4:5], 0, v[4:5]
	s_and_b64 s[10:11], vcc, s[4:5]
	s_mov_b64 s[4:5], -1
	s_and_saveexec_b64 s[6:7], s[10:11]
	s_cbranch_execz .LBB104_2
; %bb.1:
	s_load_dwordx2 s[4:5], s[0:1], 0x50
	s_add_u32 s3, s0, 0x50
	s_addc_u32 s10, s1, 0
	s_and_b64 s[8:9], s[8:9], exec
	s_waitcnt lgkmcnt(0)
	s_cselect_b32 s5, s10, s5
	s_cselect_b32 s3, s3, s4
	v_mov_b32_e32 v6, s3
	v_mov_b32_e32 v7, s5
	flat_load_dwordx4 v[6:9], v[6:7]
	s_waitcnt vmcnt(0) lgkmcnt(0)
	v_cmp_neq_f64_e32 vcc, 1.0, v[6:7]
	v_cmp_neq_f64_e64 s[4:5], 0, v[8:9]
	s_or_b64 s[4:5], vcc, s[4:5]
	s_orn2_b64 s[4:5], s[4:5], exec
.LBB104_2:
	s_or_b64 exec, exec, s[6:7]
	s_and_saveexec_b64 s[6:7], s[4:5]
	s_cbranch_execz .LBB104_141
; %bb.3:
	s_load_dwordx2 s[8:9], s[0:1], 0x18
	s_mov_b32 s4, 0
	s_ashr_i32 s3, s2, 31
	s_mov_b32 s6, s4
	s_mov_b32 s7, s4
	s_lshl_b64 s[2:3], s[2:3], 3
	s_mov_b32 s5, s4
	v_mov_b64_e32 v[8:9], s[6:7]
	s_waitcnt lgkmcnt(0)
	s_add_u32 s2, s8, s2
	v_lshlrev_b32_e32 v20, 4, v0
	v_mov_b64_e32 v[6:7], s[4:5]
	s_addc_u32 s3, s9, s3
	ds_write_b128 v20, v[6:9]
	ds_write_b128 v20, v[6:9] offset:4096
	ds_write_b128 v20, v[6:9] offset:8192
	;; [unrolled: 1-line block ×3, first 2 shown]
	s_waitcnt lgkmcnt(0)
	s_barrier
	s_load_dwordx4 s[20:23], s[2:3], 0x0
	s_load_dwordx2 s[24:25], s[0:1], 0x60
	s_load_dwordx8 s[12:19], s[0:1], 0x30
	s_mov_b64 s[2:3], -1
	s_waitcnt lgkmcnt(0)
	s_sub_u32 s26, s22, s20
	s_subb_u32 s27, s23, s21
	v_cmp_gt_i64_e64 s[4:5], s[26:27], 2
	s_and_b64 vcc, exec, s[4:5]
	s_cbranch_vccnz .LBB104_40
; %bb.4:
	v_mov_b64_e32 v[6:7], s[20:21]
	v_cmp_le_i64_e32 vcc, s[22:23], v[6:7]
	v_subrev_co_u32_e64 v10, s[2:3], s28, v0
	v_mov_b32_e32 v1, 0
	s_nop 0
	v_subb_co_u32_e64 v11, s[2:3], 0, 0, s[2:3]
	s_cbranch_vccnz .LBB104_30
; %bb.5:
	s_movk_i32 s2, 0x100
	v_cmp_gt_u32_e64 s[2:3], s2, v0
	v_cmp_gt_u32_e64 s[4:5], 64, v0
	;; [unrolled: 1-line block ×4, first 2 shown]
	v_cmp_eq_u32_e64 s[10:11], 0, v0
	s_mov_b64 s[30:31], 0x100
	s_mov_b64 s[34:35], 0x400
	;; [unrolled: 1-line block ×3, first 2 shown]
	v_mov_b64_e32 v[12:13], s[22:23]
	s_mov_b64 s[38:39], s[20:21]
	s_branch .LBB104_7
.LBB104_6:                              ;   in Loop: Header=BB104_7 Depth=1
	s_or_b64 exec, exec, s[40:41]
	s_add_u32 s38, s38, 1
	s_addc_u32 s39, s39, 0
	v_cmp_ge_i64_e32 vcc, s[38:39], v[12:13]
	s_cbranch_vccnz .LBB104_30
.LBB104_7:                              ; =>This Loop Header: Depth=1
                                        ;     Child Loop BB104_9 Depth 2
                                        ;     Child Loop BB104_23 Depth 2
	;; [unrolled: 1-line block ×3, first 2 shown]
	s_lshl_b64 s[40:41], s[38:39], 3
	s_add_u32 s44, s12, s40
	s_addc_u32 s45, s13, s41
	s_load_dwordx4 s[40:43], s[44:45], 0x0
	v_mov_b64_e32 v[8:9], 0
	v_mov_b64_e32 v[6:7], 0
	s_waitcnt lgkmcnt(0)
	s_sub_u32 s42, s42, s28
	v_lshl_add_u64 v[14:15], s[40:41], 0, v[10:11]
	s_subb_u32 s43, s43, 0
	v_cmp_gt_i64_e32 vcc, s[42:43], v[14:15]
	s_and_saveexec_b64 s[40:41], vcc
	s_cbranch_execz .LBB104_11
; %bb.8:                                ;   in Loop: Header=BB104_7 Depth=1
	v_mov_b64_e32 v[8:9], 0
	v_lshl_add_u64 v[16:17], v[14:15], 2, s[14:15]
	v_lshl_add_u64 v[18:19], v[14:15], 3, s[16:17]
	s_mov_b64 s[44:45], 0
	v_mov_b64_e32 v[6:7], v[8:9]
.LBB104_9:                              ;   Parent Loop BB104_7 Depth=1
                                        ; =>  This Inner Loop Header: Depth=2
	global_load_dword v21, v[16:17], off
	global_load_dwordx2 v[26:27], v[18:19], off
	v_lshl_add_u64 v[14:15], v[14:15], 0, s[30:31]
	v_cmp_le_i64_e32 vcc, s[42:43], v[14:15]
	v_lshl_add_u64 v[16:17], v[16:17], 0, s[34:35]
	v_lshl_add_u64 v[18:19], v[18:19], 0, s[36:37]
	s_or_b64 s[44:45], vcc, s[44:45]
	s_waitcnt vmcnt(1)
	v_subrev_u32_e32 v22, s28, v21
	v_ashrrev_i32_e32 v23, 31, v22
	v_lshl_add_u64 v[22:23], v[22:23], 4, s[18:19]
	global_load_dwordx4 v[22:25], v[22:23], off
	s_waitcnt vmcnt(0)
	v_fmac_f64_e32 v[6:7], v[26:27], v[22:23]
	v_fmac_f64_e32 v[8:9], 0, v[22:23]
	;; [unrolled: 1-line block ×4, first 2 shown]
	s_andn2_b64 exec, exec, s[44:45]
	s_cbranch_execnz .LBB104_9
; %bb.10:                               ;   in Loop: Header=BB104_7 Depth=1
	s_or_b64 exec, exec, s[44:45]
.LBB104_11:                             ;   in Loop: Header=BB104_7 Depth=1
	s_or_b64 exec, exec, s[40:41]
	ds_write_b128 v20, v[6:9]
	s_waitcnt lgkmcnt(0)
	s_barrier
	s_and_saveexec_b64 s[40:41], s[2:3]
	s_cbranch_execz .LBB104_13
; %bb.12:                               ;   in Loop: Header=BB104_7 Depth=1
	ds_read_b128 v[6:9], v20 offset:4096
	ds_read_b128 v[14:17], v20 offset:8192
	ds_read_b128 v[22:25], v20 offset:12288
	ds_read_b128 v[26:29], v20
	s_waitcnt lgkmcnt(2)
	v_add_f64 v[6:7], v[14:15], v[6:7]
	v_add_f64 v[8:9], v[16:17], v[8:9]
	s_waitcnt lgkmcnt(1)
	v_add_f64 v[6:7], v[6:7], v[22:23]
	v_add_f64 v[8:9], v[8:9], v[24:25]
	s_waitcnt lgkmcnt(0)
	v_add_f64 v[6:7], v[6:7], v[26:27]
	v_add_f64 v[8:9], v[8:9], v[28:29]
	ds_write_b128 v20, v[6:9]
.LBB104_13:                             ;   in Loop: Header=BB104_7 Depth=1
	s_or_b64 exec, exec, s[40:41]
	s_waitcnt lgkmcnt(0)
	s_barrier
	s_and_saveexec_b64 s[40:41], s[4:5]
	s_cbranch_execz .LBB104_15
; %bb.14:                               ;   in Loop: Header=BB104_7 Depth=1
	ds_read_b128 v[6:9], v20 offset:1024
	ds_read_b128 v[14:17], v20 offset:2048
	ds_read_b128 v[22:25], v20 offset:3072
	ds_read_b128 v[26:29], v20
	s_waitcnt lgkmcnt(2)
	v_add_f64 v[6:7], v[14:15], v[6:7]
	v_add_f64 v[8:9], v[16:17], v[8:9]
	s_waitcnt lgkmcnt(1)
	v_add_f64 v[6:7], v[6:7], v[22:23]
	v_add_f64 v[8:9], v[8:9], v[24:25]
	s_waitcnt lgkmcnt(0)
	v_add_f64 v[6:7], v[6:7], v[26:27]
	v_add_f64 v[8:9], v[8:9], v[28:29]
	ds_write_b128 v20, v[6:9]
.LBB104_15:                             ;   in Loop: Header=BB104_7 Depth=1
	s_or_b64 exec, exec, s[40:41]
	;; [unrolled: 21-line block ×5, first 2 shown]
	s_waitcnt lgkmcnt(0)
	s_barrier
	s_and_saveexec_b64 s[40:41], s[10:11]
	s_cbranch_execz .LBB104_6
; %bb.22:                               ;   in Loop: Header=BB104_7 Depth=1
	ds_read_b128 v[6:9], v1
	v_mov_b32_e32 v14, 0
	s_mov_b64 s[42:43], exec
	v_bfrev_b32_e32 v15, 1
	s_waitcnt lgkmcnt(0)
	v_mul_f64 v[16:17], v[8:9], -v[4:5]
	v_fmac_f64_e32 v[16:17], v[2:3], v[6:7]
.LBB104_23:                             ;   Parent Loop BB104_7 Depth=1
                                        ; =>  This Inner Loop Header: Depth=2
	s_ff1_i32_b64 s29, s[42:43]
	s_lshl_b64 s[46:47], 1, s29
	v_readlane_b32 s45, v17, s29
	v_readlane_b32 s44, v16, s29
	s_andn2_b64 s[42:43], s[42:43], s[46:47]
	s_cmp_lg_u64 s[42:43], 0
	v_add_f64 v[14:15], v[14:15], s[44:45]
	s_cbranch_scc1 .LBB104_23
; %bb.24:                               ;   in Loop: Header=BB104_7 Depth=1
	s_lshl_b64 s[42:43], s[38:39], 4
	v_mbcnt_lo_u32_b32 v16, exec_lo, 0
	s_add_u32 s42, s24, s42
	v_mbcnt_hi_u32_b32 v16, exec_hi, v16
	s_addc_u32 s43, s25, s43
	v_cmp_eq_u32_e32 vcc, 0, v16
	s_and_saveexec_b64 s[44:45], vcc
	s_xor_b64 s[44:45], exec, s[44:45]
	s_cbranch_execz .LBB104_26
; %bb.25:                               ;   in Loop: Header=BB104_7 Depth=1
	global_atomic_add_f64 v1, v[14:15], s[42:43]
.LBB104_26:                             ;   in Loop: Header=BB104_7 Depth=1
	s_or_b64 exec, exec, s[44:45]
	v_mul_f64 v[8:9], v[2:3], v[8:9]
	v_fmac_f64_e32 v[8:9], v[4:5], v[6:7]
	v_mov_b32_e32 v6, 0
	s_mov_b64 s[44:45], exec
	v_bfrev_b32_e32 v7, 1
.LBB104_27:                             ;   Parent Loop BB104_7 Depth=1
                                        ; =>  This Inner Loop Header: Depth=2
	s_ff1_i32_b64 s29, s[44:45]
	s_lshl_b64 s[48:49], 1, s29
	v_readlane_b32 s47, v9, s29
	v_readlane_b32 s46, v8, s29
	s_andn2_b64 s[44:45], s[44:45], s[48:49]
	s_cmp_lg_u64 s[44:45], 0
	v_add_f64 v[6:7], v[6:7], s[46:47]
	s_cbranch_scc1 .LBB104_27
; %bb.28:                               ;   in Loop: Header=BB104_7 Depth=1
	v_mbcnt_lo_u32_b32 v8, exec_lo, 0
	v_mbcnt_hi_u32_b32 v8, exec_hi, v8
	v_cmp_eq_u32_e32 vcc, 0, v8
	s_and_saveexec_b64 s[44:45], vcc
	s_xor_b64 s[44:45], exec, s[44:45]
	s_cbranch_execz .LBB104_6
; %bb.29:                               ;   in Loop: Header=BB104_7 Depth=1
	global_atomic_add_f64 v1, v[6:7], s[42:43] offset:8
	s_branch .LBB104_6
.LBB104_30:
	s_lshl_b64 s[2:3], s[20:21], 3
	s_add_u32 s2, s12, s2
	s_addc_u32 s3, s13, s3
	s_lshl_b64 s[4:5], s[22:23], 3
	s_add_u32 s4, s12, s4
	s_addc_u32 s5, s13, s5
	s_load_dwordx2 s[6:7], s[4:5], 0x0
	s_load_dwordx2 s[8:9], s[2:3], 0x0
	s_waitcnt lgkmcnt(0)
	s_sub_u32 s6, s6, s28
	s_subb_u32 s7, s7, 0
	v_lshl_add_u64 v[6:7], s[8:9], 0, v[10:11]
	v_cmp_gt_i64_e32 vcc, s[6:7], v[6:7]
	s_and_saveexec_b64 s[8:9], vcc
	s_cbranch_execz .LBB104_39
; %bb.31:
	s_add_u32 s10, s22, -1
	s_addc_u32 s11, s23, -1
	s_add_u32 s2, s22, -2
	s_addc_u32 s3, s23, -1
	v_mov_b64_e32 v[8:9], s[10:11]
	s_cmp_lg_u64 s[20:21], s[2:3]
	v_cmp_lt_i64_e32 vcc, s[20:21], v[8:9]
	s_cselect_b64 s[2:3], -1, 0
	s_mov_b32 s4, 0
	s_and_b64 s[2:3], vcc, s[2:3]
	s_brev_b32 s5, 1
	v_cndmask_b32_e64 v1, 0, 1, s[2:3]
	v_mul_f64 v[8:9], v[4:5], s[4:5]
	s_mov_b64 s[30:31], 0
	v_mul_f64 v[10:11], v[2:3], 0
	v_cmp_ne_u32_e64 s[2:3], 1, v1
	v_mov_b32_e32 v13, 0
	s_mov_b64 s[34:35], 0x100
	s_branch .LBB104_33
.LBB104_32:                             ;   in Loop: Header=BB104_33 Depth=1
	s_or_b64 exec, exec, s[4:5]
	v_lshl_add_u64 v[6:7], v[6:7], 0, s[34:35]
	v_cmp_le_i64_e32 vcc, s[6:7], v[6:7]
	s_or_b64 s[30:31], vcc, s[30:31]
	s_andn2_b64 exec, exec, s[30:31]
	s_cbranch_execz .LBB104_39
.LBB104_33:                             ; =>This Loop Header: Depth=1
                                        ;     Child Loop BB104_35 Depth 2
	s_and_b64 vcc, exec, s[2:3]
	v_mov_b64_e32 v[14:15], s[20:21]
	v_mov_b64_e32 v[16:17], s[10:11]
	s_cbranch_vccnz .LBB104_37
; %bb.34:                               ;   in Loop: Header=BB104_33 Depth=1
	s_mov_b64 s[36:37], 0
	v_mov_b64_e32 v[14:15], s[20:21]
	v_mov_b64_e32 v[16:17], s[10:11]
.LBB104_35:                             ;   Parent Loop BB104_33 Depth=1
                                        ; =>  This Inner Loop Header: Depth=2
	v_lshl_add_u64 v[18:19], v[16:17], 0, v[14:15]
	v_lshrrev_b32_e32 v12, 31, v19
	v_lshl_add_u64 v[18:19], v[18:19], 0, v[12:13]
	v_ashrrev_i64 v[18:19], 1, v[18:19]
	v_lshl_add_u64 v[22:23], v[18:19], 3, s[12:13]
	global_load_dwordx2 v[22:23], v[22:23], off
	s_waitcnt vmcnt(0)
	v_subrev_co_u32_e32 v22, vcc, s28, v22
	s_nop 1
	v_subbrev_co_u32_e32 v23, vcc, 0, v23, vcc
	v_cmp_lt_i64_e32 vcc, v[6:7], v[22:23]
	s_nop 1
	v_cndmask_b32_e32 v17, v17, v19, vcc
	v_cndmask_b32_e32 v16, v16, v18, vcc
	;; [unrolled: 1-line block ×4, first 2 shown]
	v_lshl_add_u64 v[18:19], v[16:17], 0, -1
	v_cmp_ge_i64_e32 vcc, v[14:15], v[16:17]
	v_cmp_eq_u64_e64 s[4:5], v[14:15], v[18:19]
	s_or_b64 s[4:5], vcc, s[4:5]
	s_and_b64 s[4:5], exec, s[4:5]
	s_or_b64 s[36:37], s[4:5], s[36:37]
	s_andn2_b64 exec, exec, s[36:37]
	s_cbranch_execnz .LBB104_35
; %bb.36:                               ;   in Loop: Header=BB104_33 Depth=1
	s_or_b64 exec, exec, s[36:37]
.LBB104_37:                             ;   in Loop: Header=BB104_33 Depth=1
	v_lshl_add_u64 v[18:19], v[16:17], 3, s[12:13]
	global_load_dwordx2 v[18:19], v[18:19], off
	v_lshl_add_u64 v[22:23], v[6:7], 2, s[14:15]
	global_load_dword v1, v[22:23], off
	s_waitcnt vmcnt(1)
	v_subrev_co_u32_e32 v22, vcc, s28, v18
	s_nop 1
	v_subbrev_co_u32_e32 v23, vcc, 0, v19, vcc
	s_waitcnt vmcnt(0)
	v_subrev_u32_e32 v18, s28, v1
	v_cmp_lt_i64_e32 vcc, v[6:7], v[22:23]
	v_ashrrev_i32_e32 v19, 31, v18
	s_nop 0
	v_cndmask_b32_e32 v15, v17, v15, vcc
	v_cndmask_b32_e32 v14, v16, v14, vcc
	v_cmp_ne_u64_e32 vcc, v[14:15], v[18:19]
	s_and_saveexec_b64 s[4:5], vcc
	s_cbranch_execz .LBB104_32
; %bb.38:                               ;   in Loop: Header=BB104_33 Depth=1
	v_lshl_add_u64 v[16:17], v[6:7], 3, s[16:17]
	global_load_dwordx2 v[22:23], v[16:17], off
	v_lshl_add_u64 v[14:15], v[14:15], 4, s[18:19]
	global_load_dwordx4 v[14:17], v[14:15], off
	v_lshl_add_u64 v[18:19], v[18:19], 4, s[24:25]
	s_waitcnt vmcnt(1)
	v_fma_f64 v[24:25], v[2:3], v[22:23], v[8:9]
	v_fma_f64 v[22:23], v[4:5], v[22:23], v[10:11]
	s_waitcnt vmcnt(0)
	v_mul_f64 v[26:27], v[16:17], -v[22:23]
	v_mul_f64 v[16:17], v[24:25], v[16:17]
	v_fmac_f64_e32 v[26:27], v[24:25], v[14:15]
	v_fmac_f64_e32 v[16:17], v[22:23], v[14:15]
	global_atomic_add_f64 v[18:19], v[26:27], off
	global_atomic_add_f64 v[18:19], v[16:17], off offset:8
	s_branch .LBB104_32
.LBB104_39:
	s_or_b64 exec, exec, s[8:9]
	s_mov_b64 s[2:3], 0
.LBB104_40:
	s_and_b64 vcc, exec, s[2:3]
	s_cbranch_vccz .LBB104_141
; %bb.41:
	s_load_dword s2, s[0:1], 0x7c
	s_mov_b32 s31, 0
	v_mov_b64_e32 v[6:7], s[26:27]
	s_mov_b64 s[34:35], 0
	s_waitcnt lgkmcnt(0)
	s_and_b32 s30, s2, 0xffff
	v_cmp_lt_u64_e32 vcc, s[30:31], v[6:7]
	s_cbranch_vccnz .LBB104_43
; %bb.42:
	v_cvt_f32_u32_e32 v1, s26
	s_sub_i32 s2, 0, s26
	v_rcp_iflag_f32_e32 v1, v1
	s_nop 0
	v_mul_f32_e32 v1, 0x4f7ffffe, v1
	v_cvt_u32_f32_e32 v1, v1
	s_nop 0
	v_readfirstlane_b32 s3, v1
	s_mul_i32 s2, s2, s3
	s_mul_hi_u32 s2, s3, s2
	s_add_i32 s3, s3, s2
	s_mul_hi_u32 s2, s30, s3
	s_mul_i32 s4, s2, s26
	s_sub_i32 s4, s30, s4
	s_add_i32 s3, s2, 1
	s_sub_i32 s5, s4, s26
	s_cmp_ge_u32 s4, s26
	s_cselect_b32 s2, s3, s2
	s_cselect_b32 s4, s5, s4
	s_add_i32 s3, s2, 1
	s_cmp_ge_u32 s4, s26
	s_cselect_b32 s34, s3, s2
.LBB104_43:
	s_load_dwordx4 s[4:7], s[0:1], 0x8
	s_lshl_b64 s[0:1], s[20:21], 3
	s_add_u32 s10, s12, s0
	s_addc_u32 s11, s13, s1
	s_load_dwordx2 s[8:9], s[10:11], 0x0
	v_subrev_co_u32_e32 v6, vcc, s28, v0
	v_mov_b32_e32 v1, 0
	s_nop 0
	v_subb_co_u32_e64 v7, s[0:1], 0, 0, vcc
	s_waitcnt lgkmcnt(0)
	v_lshl_add_u64 v[6:7], s[8:9], 0, v[6:7]
	s_mov_b64 s[0:1], 0x300
	v_lshl_add_u64 v[8:9], v[6:7], 0, s[0:1]
	v_cmp_le_i64_e64 s[0:1], s[4:5], v[8:9]
	s_and_saveexec_b64 s[2:3], s[0:1]
	s_xor_b64 s[2:3], exec, s[2:3]
	s_cbranch_execnz .LBB104_46
; %bb.44:
	s_andn2_saveexec_b64 s[2:3], s[2:3]
	s_cbranch_execnz .LBB104_50
.LBB104_45:
	s_or_b64 exec, exec, s[2:3]
	v_cmp_gt_i64_e32 vcc, s[6:7], v[0:1]
	s_and_saveexec_b64 s[2:3], vcc
	s_cbranch_execnz .LBB104_51
	s_branch .LBB104_53
.LBB104_46:
	s_lshl_b64 s[4:5], s[22:23], 3
	s_add_u32 s4, s12, s4
	s_addc_u32 s5, s13, s5
	s_load_dwordx2 s[4:5], s[4:5], 0x0
	s_waitcnt lgkmcnt(0)
	s_sub_u32 s4, s4, s8
	s_subb_u32 s5, s5, s9
	v_cmp_gt_i64_e32 vcc, s[4:5], v[0:1]
	s_and_saveexec_b64 s[36:37], vcc
	s_cbranch_execz .LBB104_49
; %bb.47:
	s_mov_b32 s38, 0
	s_brev_b32 s39, 1
	v_lshl_add_u64 v[10:11], v[6:7], 3, s[16:17]
	v_mul_f64 v[12:13], v[4:5], s[38:39]
	s_mov_b64 s[38:39], 0
	v_mul_f64 v[14:15], v[2:3], 0
	s_mov_b64 s[40:41], 0x800
	s_mov_b64 s[42:43], 0x100
	v_mov_b32_e32 v18, v20
	v_mov_b64_e32 v[16:17], v[0:1]
.LBB104_48:                             ; =>This Inner Loop Header: Depth=1
	global_load_dwordx2 v[24:25], v[10:11], off
	v_lshl_add_u64 v[16:17], v[16:17], 0, s[42:43]
	v_cmp_le_i64_e32 vcc, s[4:5], v[16:17]
	v_lshl_add_u64 v[10:11], v[10:11], 0, s[40:41]
	s_or_b64 s[38:39], vcc, s[38:39]
	s_waitcnt vmcnt(0)
	v_fma_f64 v[22:23], v[2:3], v[24:25], v[12:13]
	v_fma_f64 v[24:25], v[4:5], v[24:25], v[14:15]
	ds_write_b128 v18, v[22:25]
	v_add_u32_e32 v18, 0x1000, v18
	s_andn2_b64 exec, exec, s[38:39]
	s_cbranch_execnz .LBB104_48
.LBB104_49:
	s_or_b64 exec, exec, s[36:37]
                                        ; implicit-def: $vgpr4_vgpr5
	s_andn2_saveexec_b64 s[2:3], s[2:3]
	s_cbranch_execz .LBB104_45
.LBB104_50:
	v_lshl_add_u64 v[10:11], v[6:7], 3, s[16:17]
	global_load_dwordx2 v[16:17], v[10:11], off
	global_load_dwordx2 v[18:19], v[10:11], off offset:2048
	v_add_co_u32_e32 v10, vcc, 0x1000, v10
	s_mov_b32 s4, 0
	s_nop 0
	v_addc_co_u32_e32 v11, vcc, 0, v11, vcc
	global_load_dwordx2 v[26:27], v[10:11], off
	global_load_dwordx2 v[28:29], v[10:11], off offset:2048
	s_brev_b32 s5, 1
	v_mul_f64 v[12:13], v[2:3], 0
	v_mul_f64 v[10:11], v[4:5], s[4:5]
	s_waitcnt vmcnt(3)
	v_fma_f64 v[14:15], v[2:3], v[16:17], v[10:11]
	v_fma_f64 v[16:17], v[4:5], v[16:17], v[12:13]
	s_waitcnt vmcnt(2)
	v_fma_f64 v[22:23], v[2:3], v[18:19], v[10:11]
	v_fma_f64 v[24:25], v[4:5], v[18:19], v[12:13]
	ds_write_b128 v20, v[14:17]
	ds_write_b128 v20, v[22:25] offset:4096
	s_waitcnt vmcnt(1)
	v_fma_f64 v[14:15], v[2:3], v[26:27], v[10:11]
	v_fma_f64 v[16:17], v[4:5], v[26:27], v[12:13]
	s_waitcnt vmcnt(0)
	v_fmac_f64_e32 v[10:11], v[2:3], v[28:29]
	v_fmac_f64_e32 v[12:13], v[4:5], v[28:29]
	ds_write_b128 v20, v[14:17] offset:8192
	ds_write_b128 v20, v[10:13] offset:12288
	s_or_b64 exec, exec, s[2:3]
	v_cmp_gt_i64_e32 vcc, s[6:7], v[0:1]
	s_and_saveexec_b64 s[2:3], vcc
	s_cbranch_execz .LBB104_53
.LBB104_51:
	s_mov_b32 s16, 0
	v_mov_b32_e32 v2, 0x4000
	s_mov_b32 s17, s16
	s_mov_b32 s36, s16
	;; [unrolled: 1-line block ×3, first 2 shown]
	v_lshl_add_u32 v12, v0, 4, v2
	s_mov_b64 s[4:5], 0
	v_mov_b64_e32 v[2:3], s[16:17]
	v_mov_b64_e32 v[4:5], s[36:37]
	s_mov_b64 s[16:17], 0x100
	v_mov_b64_e32 v[10:11], v[0:1]
.LBB104_52:                             ; =>This Inner Loop Header: Depth=1
	v_lshl_add_u64 v[10:11], v[10:11], 0, s[16:17]
	v_cmp_le_i64_e32 vcc, s[6:7], v[10:11]
	ds_write2_b64 v12, v[2:3], v[4:5] offset1:1
	s_or_b64 s[4:5], vcc, s[4:5]
	v_add_u32_e32 v12, 0x1000, v12
	s_andn2_b64 exec, exec, s[4:5]
	s_cbranch_execnz .LBB104_52
.LBB104_53:
	s_or_b64 exec, exec, s[2:3]
	s_sub_u32 s4, s22, s6
	v_mov_b64_e32 v[2:3], s[6:7]
	s_subb_u32 s5, s23, s7
	v_cmp_ge_i64_e32 vcc, s[22:23], v[2:3]
	s_and_b64 s[2:3], vcc, exec
	s_cselect_b32 s5, s5, 0
	s_cselect_b32 s4, s4, 0
	s_waitcnt lgkmcnt(0)
	s_barrier
	s_and_saveexec_b64 s[2:3], s[0:1]
	s_xor_b64 s[16:17], exec, s[2:3]
	s_cbranch_execz .LBB104_70
; %bb.54:
	s_lshl_b64 s[0:1], s[22:23], 3
	s_add_u32 s0, s12, s0
	s_addc_u32 s1, s13, s1
	s_load_dwordx2 s[0:1], s[0:1], 0x0
	s_waitcnt lgkmcnt(0)
	s_sub_u32 s36, s0, s8
	s_subb_u32 s37, s1, s9
	v_cmp_gt_i64_e32 vcc, s[36:37], v[0:1]
	s_and_saveexec_b64 s[38:39], vcc
	s_cbranch_execz .LBB104_69
; %bb.55:
	s_add_u32 s40, s22, -1
	s_addc_u32 s41, s23, -1
	s_add_u32 s2, s22, -2
	s_addc_u32 s3, s23, -1
	s_cmp_lg_u64 s[20:21], s[2:3]
	s_cselect_b64 s[2:3], -1, 0
	s_sub_u32 s42, s0, s28
	v_cndmask_b32_e64 v2, 0, 1, s[2:3]
	s_subb_u32 s43, s1, 0
	s_mov_b64 s[44:45], 0
	v_cmp_ne_u32_e64 s[0:1], 1, v2
	v_mov_b32_e32 v9, 0
	v_mov_b32_e32 v18, 0x4000
	s_mov_b64 s[46:47], 0
	s_branch .LBB104_58
.LBB104_56:                             ;   in Loop: Header=BB104_58 Depth=1
	s_or_b64 exec, exec, s[2:3]
.LBB104_57:                             ;   in Loop: Header=BB104_58 Depth=1
	s_or_b64 exec, exec, s[48:49]
	v_lshl_add_u64 v[12:13], v[12:13], 4, s[18:19]
	global_load_dwordx4 v[22:25], v[12:13], off
	s_add_u32 s46, s46, 0x100
	s_addc_u32 s47, s47, 0
	v_lshlrev_b32_e32 v8, 4, v10
	v_lshl_add_u64 v[10:11], s[46:47], 0, v[0:1]
	v_cmp_le_i64_e32 vcc, s[36:37], v[10:11]
	s_or_b64 s[44:45], vcc, s[44:45]
	s_waitcnt vmcnt(0)
	v_mul_f64 v[10:11], v[24:25], v[14:15]
	v_mul_f64 v[12:13], v[24:25], v[2:3]
	v_fmac_f64_e32 v[10:11], v[2:3], v[22:23]
	v_fmac_f64_e32 v[12:13], v[4:5], v[22:23]
	ds_write_b128 v8, v[10:13]
	s_andn2_b64 exec, exec, s[44:45]
	s_cbranch_execz .LBB104_69
.LBB104_58:                             ; =>This Loop Header: Depth=1
                                        ;     Child Loop BB104_60 Depth 2
	v_lshl_add_u64 v[2:3], s[46:47], 0, v[6:7]
	s_and_b64 vcc, exec, s[0:1]
	v_mov_b64_e32 v[4:5], s[20:21]
	v_mov_b64_e32 v[14:15], s[40:41]
	s_cbranch_vccnz .LBB104_62
; %bb.59:                               ;   in Loop: Header=BB104_58 Depth=1
	s_mov_b64 s[48:49], 0
	v_mov_b64_e32 v[4:5], s[20:21]
	v_mov_b64_e32 v[14:15], s[40:41]
.LBB104_60:                             ;   Parent Loop BB104_58 Depth=1
                                        ; =>  This Inner Loop Header: Depth=2
	v_lshl_add_u64 v[10:11], v[14:15], 0, v[4:5]
	v_lshrrev_b32_e32 v8, 31, v11
	v_lshl_add_u64 v[10:11], v[10:11], 0, v[8:9]
	v_ashrrev_i64 v[10:11], 1, v[10:11]
	v_lshl_add_u64 v[12:13], v[10:11], 3, s[12:13]
	global_load_dwordx2 v[12:13], v[12:13], off
	s_waitcnt vmcnt(0)
	v_subrev_co_u32_e32 v12, vcc, s28, v12
	s_nop 1
	v_subbrev_co_u32_e32 v13, vcc, 0, v13, vcc
	v_cmp_lt_i64_e32 vcc, v[2:3], v[12:13]
	s_nop 1
	v_cndmask_b32_e32 v15, v15, v11, vcc
	v_cndmask_b32_e32 v14, v14, v10, vcc
	;; [unrolled: 1-line block ×4, first 2 shown]
	v_lshl_add_u64 v[10:11], v[14:15], 0, -1
	v_cmp_ge_i64_e32 vcc, v[4:5], v[14:15]
	v_cmp_eq_u64_e64 s[2:3], v[4:5], v[10:11]
	s_or_b64 s[2:3], vcc, s[2:3]
	s_and_b64 s[2:3], exec, s[2:3]
	s_or_b64 s[48:49], s[2:3], s[48:49]
	s_andn2_b64 exec, exec, s[48:49]
	s_cbranch_execnz .LBB104_60
; %bb.61:                               ;   in Loop: Header=BB104_58 Depth=1
	s_or_b64 exec, exec, s[48:49]
.LBB104_62:                             ;   in Loop: Header=BB104_58 Depth=1
	v_lshl_add_u64 v[10:11], v[14:15], 3, s[12:13]
	global_load_dwordx2 v[12:13], v[10:11], off
	v_lshl_add_u64 v[10:11], v[2:3], 2, s[14:15]
	global_load_dword v8, v[10:11], off
	v_lshl_add_u64 v[10:11], s[46:47], 0, v[0:1]
	v_cmp_le_i64_e32 vcc, s[42:43], v[2:3]
	s_waitcnt vmcnt(1)
	v_subrev_co_u32_e64 v16, s[2:3], s28, v12
	s_nop 1
	v_subbrev_co_u32_e64 v17, s[2:3], 0, v13, s[2:3]
	s_waitcnt vmcnt(0)
	v_subrev_u32_e32 v12, s28, v8
	v_cmp_lt_i64_e64 s[2:3], v[2:3], v[16:17]
	v_ashrrev_i32_e32 v13, 31, v12
	v_lshlrev_b32_e32 v8, 4, v10
	v_cndmask_b32_e64 v17, v15, v5, s[2:3]
	v_cndmask_b32_e64 v16, v14, v4, s[2:3]
	v_cmp_eq_u64_e64 s[2:3], v[16:17], v[12:13]
	s_or_b64 s[2:3], s[2:3], vcc
                                        ; implicit-def: $vgpr2_vgpr3
                                        ; implicit-def: $vgpr14_vgpr15
	s_and_saveexec_b64 s[48:49], s[2:3]
	s_xor_b64 s[2:3], exec, s[48:49]
	s_cbranch_execz .LBB104_64
; %bb.63:                               ;   in Loop: Header=BB104_58 Depth=1
	ds_read_b128 v[2:5], v8
                                        ; implicit-def: $vgpr8
                                        ; implicit-def: $vgpr16_vgpr17
	s_waitcnt lgkmcnt(0)
	v_xor_b32_e32 v15, 0x80000000, v5
	v_mov_b32_e32 v14, v4
.LBB104_64:                             ;   in Loop: Header=BB104_58 Depth=1
	s_andn2_saveexec_b64 s[48:49], s[2:3]
	s_cbranch_execz .LBB104_57
; %bb.65:                               ;   in Loop: Header=BB104_58 Depth=1
	v_cmp_gt_i64_e32 vcc, s[4:5], v[12:13]
	v_cmp_le_i64_e64 s[2:3], s[22:23], v[12:13]
	s_or_b64 s[2:3], vcc, s[2:3]
	v_lshl_add_u64 v[16:17], v[16:17], 4, s[18:19]
                                        ; implicit-def: $vgpr2_vgpr3
                                        ; implicit-def: $vgpr14_vgpr15
	s_and_saveexec_b64 s[50:51], s[2:3]
	s_xor_b64 s[2:3], exec, s[50:51]
	s_cbranch_execz .LBB104_67
; %bb.66:                               ;   in Loop: Header=BB104_58 Depth=1
	global_load_dwordx4 v[14:17], v[16:17], off
	ds_read_b128 v[2:5], v8
	v_lshl_add_u64 v[22:23], v[12:13], 4, s[24:25]
                                        ; implicit-def: $vgpr8
	s_waitcnt vmcnt(0) lgkmcnt(0)
	v_mul_f64 v[24:25], v[16:17], -v[4:5]
	v_mul_f64 v[16:17], v[16:17], v[2:3]
	v_fmac_f64_e32 v[24:25], v[2:3], v[14:15]
	v_fmac_f64_e32 v[16:17], v[4:5], v[14:15]
	global_atomic_add_f64 v[22:23], v[24:25], off
	global_atomic_add_f64 v[22:23], v[16:17], off offset:8
	v_xor_b32_e32 v15, 0x80000000, v5
	v_mov_b32_e32 v14, v4
                                        ; implicit-def: $vgpr16_vgpr17
.LBB104_67:                             ;   in Loop: Header=BB104_58 Depth=1
	s_andn2_saveexec_b64 s[2:3], s[2:3]
	s_cbranch_execz .LBB104_56
; %bb.68:                               ;   in Loop: Header=BB104_58 Depth=1
	global_load_dwordx4 v[14:17], v[16:17], off
	ds_read_b128 v[2:5], v8
	v_subrev_u32_e32 v8, s4, v12
	v_lshl_add_u32 v8, v8, 4, v18
	s_waitcnt vmcnt(0) lgkmcnt(0)
	v_mul_f64 v[22:23], v[16:17], -v[4:5]
	v_mul_f64 v[16:17], v[16:17], v[2:3]
	v_fmac_f64_e32 v[22:23], v[2:3], v[14:15]
	v_fmac_f64_e32 v[16:17], v[4:5], v[14:15]
	ds_add_f64 v8, v[22:23]
	ds_add_f64 v8, v[16:17] offset:8
	v_xor_b32_e32 v15, 0x80000000, v5
	v_mov_b32_e32 v14, v4
	s_branch .LBB104_56
.LBB104_69:
	s_or_b64 exec, exec, s[38:39]
                                        ; implicit-def: $vgpr8_vgpr9
                                        ; implicit-def: $vgpr6_vgpr7
.LBB104_70:
	s_andn2_saveexec_b64 s[16:17], s[16:17]
	s_cbranch_execz .LBB104_112
; %bb.71:
	s_add_u32 s36, s22, -1
	s_addc_u32 s37, s23, -1
	s_add_u32 s0, s22, -2
	s_addc_u32 s1, s23, -1
	s_cmp_lg_u64 s[20:21], s[0:1]
	s_cselect_b64 s[2:3], -1, 0
	s_cmp_eq_u64 s[20:21], s[0:1]
	v_mov_b64_e32 v[10:11], s[20:21]
	v_mov_b64_e32 v[12:13], s[36:37]
	s_cbranch_scc1 .LBB104_75
; %bb.72:
	s_mov_b64 s[38:39], 0
	v_mov_b64_e32 v[10:11], s[20:21]
	v_mov_b64_e32 v[12:13], s[36:37]
	v_mov_b32_e32 v3, 0
.LBB104_73:                             ; =>This Inner Loop Header: Depth=1
	v_lshl_add_u64 v[4:5], v[12:13], 0, v[10:11]
	v_lshrrev_b32_e32 v2, 31, v5
	v_lshl_add_u64 v[4:5], v[4:5], 0, v[2:3]
	v_ashrrev_i64 v[4:5], 1, v[4:5]
	v_lshl_add_u64 v[14:15], v[4:5], 3, s[12:13]
	global_load_dwordx2 v[14:15], v[14:15], off
	s_waitcnt vmcnt(0)
	v_subrev_co_u32_e32 v14, vcc, s28, v14
	s_nop 1
	v_subbrev_co_u32_e32 v15, vcc, 0, v15, vcc
	v_cmp_lt_i64_e32 vcc, v[6:7], v[14:15]
	s_nop 1
	v_cndmask_b32_e32 v13, v13, v5, vcc
	v_cndmask_b32_e32 v12, v12, v4, vcc
	;; [unrolled: 1-line block ×4, first 2 shown]
	v_lshl_add_u64 v[4:5], v[12:13], 0, -1
	v_cmp_ge_i64_e32 vcc, v[10:11], v[12:13]
	v_cmp_eq_u64_e64 s[0:1], v[10:11], v[4:5]
	s_or_b64 s[0:1], vcc, s[0:1]
	s_and_b64 s[0:1], exec, s[0:1]
	s_or_b64 s[38:39], s[0:1], s[38:39]
	s_andn2_b64 exec, exec, s[38:39]
	s_cbranch_execnz .LBB104_73
; %bb.74:
	s_or_b64 exec, exec, s[38:39]
.LBB104_75:
	v_lshl_add_u64 v[2:3], v[12:13], 3, s[12:13]
	global_load_dwordx2 v[4:5], v[2:3], off
	v_lshl_add_u64 v[2:3], v[6:7], 2, s[14:15]
	global_load_dword v16, v[2:3], off
	s_lshl_b64 s[0:1], s[22:23], 3
	s_add_u32 s14, s12, s0
	s_addc_u32 s15, s13, s1
	s_waitcnt vmcnt(1)
	v_subrev_co_u32_e32 v14, vcc, s28, v4
	s_nop 1
	v_subbrev_co_u32_e32 v15, vcc, 0, v5, vcc
	s_waitcnt vmcnt(0)
	v_subrev_u32_e32 v4, s28, v16
	v_cmp_lt_i64_e32 vcc, v[6:7], v[14:15]
	v_ashrrev_i32_e32 v5, 31, v4
	s_nop 0
	v_cndmask_b32_e32 v11, v13, v11, vcc
	v_cndmask_b32_e32 v10, v12, v10, vcc
	v_cmp_ne_u64_e32 vcc, v[10:11], v[4:5]
	s_and_saveexec_b64 s[38:39], vcc
	s_cbranch_execz .LBB104_81
; %bb.76:
	s_load_dwordx2 s[0:1], s[14:15], 0x0
	s_waitcnt lgkmcnt(0)
	s_sub_u32 s0, s0, s28
	s_subb_u32 s1, s1, 0
	v_cmp_gt_i64_e32 vcc, s[0:1], v[6:7]
	s_and_b64 exec, exec, vcc
	s_cbranch_execz .LBB104_81
; %bb.77:
	v_cmp_gt_i64_e32 vcc, s[4:5], v[4:5]
	v_cmp_le_i64_e64 s[0:1], s[22:23], v[4:5]
	s_or_b64 s[0:1], vcc, s[0:1]
	v_lshl_add_u64 v[10:11], v[10:11], 4, s[18:19]
	s_and_saveexec_b64 s[40:41], s[0:1]
	s_xor_b64 s[0:1], exec, s[40:41]
	s_cbranch_execz .LBB104_79
; %bb.78:
	global_load_dwordx4 v[10:13], v[10:11], off
	ds_read_b128 v[14:17], v20
	v_lshl_add_u64 v[18:19], v[4:5], 4, s[24:25]
	s_waitcnt vmcnt(0) lgkmcnt(0)
	v_mul_f64 v[22:23], v[12:13], -v[16:17]
	v_mul_f64 v[12:13], v[12:13], v[14:15]
	v_fmac_f64_e32 v[22:23], v[14:15], v[10:11]
	v_fmac_f64_e32 v[12:13], v[16:17], v[10:11]
	global_atomic_add_f64 v[18:19], v[22:23], off
	global_atomic_add_f64 v[18:19], v[12:13], off offset:8
                                        ; implicit-def: $vgpr10_vgpr11
.LBB104_79:
	s_andn2_saveexec_b64 s[0:1], s[0:1]
	s_cbranch_execz .LBB104_81
; %bb.80:
	global_load_dwordx4 v[10:13], v[10:11], off
	ds_read_b128 v[14:17], v20
	v_subrev_u32_e32 v18, s4, v4
	v_mov_b32_e32 v19, 0x4000
	v_lshl_add_u32 v21, v18, 4, v19
	s_waitcnt vmcnt(0) lgkmcnt(0)
	v_mul_f64 v[18:19], v[12:13], -v[16:17]
	v_mul_f64 v[12:13], v[12:13], v[14:15]
	v_fmac_f64_e32 v[18:19], v[14:15], v[10:11]
	v_fmac_f64_e32 v[12:13], v[16:17], v[10:11]
	ds_add_f64 v21, v[18:19]
	ds_add_f64 v21, v[12:13] offset:8
.LBB104_81:
	s_or_b64 exec, exec, s[38:39]
	v_lshl_add_u64 v[4:5], v[4:5], 4, s[18:19]
	global_load_dwordx4 v[14:17], v[4:5], off
	ds_read_b128 v[22:25], v20
	s_mov_b64 s[0:1], 0x100
	v_cndmask_b32_e64 v10, 0, 1, s[2:3]
	v_mov_b64_e32 v[12:13], s[20:21]
	v_lshl_add_u64 v[4:5], v[6:7], 0, s[0:1]
	v_cmp_ne_u32_e64 s[0:1], 1, v10
	s_andn2_b64 vcc, exec, s[2:3]
	s_waitcnt vmcnt(0) lgkmcnt(0)
	v_mul_f64 v[26:27], v[16:17], -v[24:25]
	v_mul_f64 v[28:29], v[16:17], v[22:23]
	v_fmac_f64_e32 v[26:27], v[22:23], v[14:15]
	v_fmac_f64_e32 v[28:29], v[24:25], v[14:15]
	v_mov_b64_e32 v[14:15], s[36:37]
	ds_write_b128 v20, v[26:29]
	s_cbranch_vccnz .LBB104_85
; %bb.82:
	s_mov_b64 s[38:39], 0
	v_mov_b64_e32 v[12:13], s[20:21]
	v_mov_b64_e32 v[14:15], s[36:37]
	v_mov_b32_e32 v11, 0
.LBB104_83:                             ; =>This Inner Loop Header: Depth=1
	v_lshl_add_u64 v[16:17], v[14:15], 0, v[12:13]
	v_lshrrev_b32_e32 v10, 31, v17
	v_lshl_add_u64 v[16:17], v[16:17], 0, v[10:11]
	v_ashrrev_i64 v[16:17], 1, v[16:17]
	v_lshl_add_u64 v[18:19], v[16:17], 3, s[12:13]
	global_load_dwordx2 v[18:19], v[18:19], off
	s_waitcnt vmcnt(0)
	v_subrev_co_u32_e32 v18, vcc, s28, v18
	s_nop 1
	v_subbrev_co_u32_e32 v19, vcc, 0, v19, vcc
	v_cmp_lt_i64_e32 vcc, v[4:5], v[18:19]
	s_nop 1
	v_cndmask_b32_e32 v15, v15, v17, vcc
	v_cndmask_b32_e32 v14, v14, v16, vcc
	;; [unrolled: 1-line block ×4, first 2 shown]
	v_lshl_add_u64 v[16:17], v[14:15], 0, -1
	v_cmp_ge_i64_e32 vcc, v[12:13], v[14:15]
	v_cmp_eq_u64_e64 s[2:3], v[12:13], v[16:17]
	s_or_b64 s[2:3], vcc, s[2:3]
	s_and_b64 s[2:3], exec, s[2:3]
	s_or_b64 s[38:39], s[2:3], s[38:39]
	s_andn2_b64 exec, exec, s[38:39]
	s_cbranch_execnz .LBB104_83
; %bb.84:
	s_or_b64 exec, exec, s[38:39]
.LBB104_85:
	v_lshl_add_u64 v[10:11], v[14:15], 3, s[12:13]
	global_load_dwordx2 v[16:17], v[10:11], off
	global_load_dword v18, v[2:3], off offset:1024
	s_waitcnt vmcnt(1)
	v_subrev_co_u32_e32 v16, vcc, s28, v16
	s_nop 1
	v_subbrev_co_u32_e32 v17, vcc, 0, v17, vcc
	s_waitcnt vmcnt(0)
	v_subrev_u32_e32 v10, s28, v18
	v_cmp_lt_i64_e32 vcc, v[4:5], v[16:17]
	v_ashrrev_i32_e32 v11, 31, v10
	s_nop 0
	v_cndmask_b32_e32 v13, v15, v13, vcc
	v_cndmask_b32_e32 v12, v14, v12, vcc
	v_cmp_ne_u64_e32 vcc, v[12:13], v[10:11]
	s_and_saveexec_b64 s[38:39], vcc
	s_cbranch_execz .LBB104_91
; %bb.86:
	s_load_dwordx2 s[2:3], s[14:15], 0x0
	s_waitcnt lgkmcnt(0)
	s_sub_u32 s2, s2, s28
	s_subb_u32 s3, s3, 0
	v_cmp_gt_i64_e32 vcc, s[2:3], v[4:5]
	s_and_b64 exec, exec, vcc
	s_cbranch_execz .LBB104_91
; %bb.87:
	v_cmp_gt_i64_e32 vcc, s[4:5], v[10:11]
	v_cmp_le_i64_e64 s[2:3], s[22:23], v[10:11]
	s_or_b64 s[2:3], vcc, s[2:3]
	v_lshl_add_u64 v[4:5], v[12:13], 4, s[18:19]
	s_and_saveexec_b64 s[40:41], s[2:3]
	s_xor_b64 s[2:3], exec, s[40:41]
	s_cbranch_execz .LBB104_89
; %bb.88:
	global_load_dwordx4 v[12:15], v[4:5], off
	ds_read_b128 v[16:19], v20 offset:4096
	v_lshl_add_u64 v[4:5], v[10:11], 4, s[24:25]
	s_waitcnt vmcnt(0) lgkmcnt(0)
	v_mul_f64 v[22:23], v[14:15], -v[18:19]
	v_mul_f64 v[14:15], v[14:15], v[16:17]
	v_fmac_f64_e32 v[22:23], v[16:17], v[12:13]
	v_fmac_f64_e32 v[14:15], v[18:19], v[12:13]
	global_atomic_add_f64 v[4:5], v[22:23], off
	global_atomic_add_f64 v[4:5], v[14:15], off offset:8
                                        ; implicit-def: $vgpr4_vgpr5
.LBB104_89:
	s_andn2_saveexec_b64 s[2:3], s[2:3]
	s_cbranch_execz .LBB104_91
; %bb.90:
	global_load_dwordx4 v[12:15], v[4:5], off
	ds_read_b128 v[16:19], v20 offset:4096
	v_subrev_u32_e32 v4, s4, v10
	v_mov_b32_e32 v5, 0x4000
	v_lshl_add_u32 v21, v4, 4, v5
	s_waitcnt vmcnt(0) lgkmcnt(0)
	v_mul_f64 v[4:5], v[14:15], -v[18:19]
	v_mul_f64 v[14:15], v[14:15], v[16:17]
	v_fmac_f64_e32 v[4:5], v[16:17], v[12:13]
	v_fmac_f64_e32 v[14:15], v[18:19], v[12:13]
	ds_add_f64 v21, v[4:5]
	ds_add_f64 v21, v[14:15] offset:8
.LBB104_91:
	s_or_b64 exec, exec, s[38:39]
	v_lshl_add_u64 v[4:5], v[10:11], 4, s[18:19]
	global_load_dwordx4 v[12:15], v[4:5], off
	ds_read_b128 v[16:19], v20 offset:4096
	s_mov_b64 s[2:3], 0x200
	s_and_b64 vcc, exec, s[0:1]
	v_mov_b64_e32 v[10:11], s[20:21]
	v_lshl_add_u64 v[4:5], v[6:7], 0, s[2:3]
	s_waitcnt vmcnt(0) lgkmcnt(0)
	v_mul_f64 v[22:23], v[14:15], -v[18:19]
	v_mul_f64 v[24:25], v[14:15], v[16:17]
	v_fmac_f64_e32 v[22:23], v[16:17], v[12:13]
	v_fmac_f64_e32 v[24:25], v[18:19], v[12:13]
	v_mov_b64_e32 v[12:13], s[36:37]
	ds_write_b128 v20, v[22:25] offset:4096
	s_cbranch_vccnz .LBB104_95
; %bb.92:
	s_mov_b64 s[38:39], 0
	v_mov_b64_e32 v[10:11], s[20:21]
	v_mov_b64_e32 v[12:13], s[36:37]
	v_mov_b32_e32 v7, 0
.LBB104_93:                             ; =>This Inner Loop Header: Depth=1
	v_lshl_add_u64 v[14:15], v[12:13], 0, v[10:11]
	v_lshrrev_b32_e32 v6, 31, v15
	v_lshl_add_u64 v[14:15], v[14:15], 0, v[6:7]
	v_ashrrev_i64 v[14:15], 1, v[14:15]
	v_lshl_add_u64 v[16:17], v[14:15], 3, s[12:13]
	global_load_dwordx2 v[16:17], v[16:17], off
	s_waitcnt vmcnt(0)
	v_subrev_co_u32_e32 v16, vcc, s28, v16
	s_nop 1
	v_subbrev_co_u32_e32 v17, vcc, 0, v17, vcc
	v_cmp_lt_i64_e32 vcc, v[4:5], v[16:17]
	s_nop 1
	v_cndmask_b32_e32 v13, v13, v15, vcc
	v_cndmask_b32_e32 v12, v12, v14, vcc
	;; [unrolled: 1-line block ×4, first 2 shown]
	v_lshl_add_u64 v[14:15], v[12:13], 0, -1
	v_cmp_ge_i64_e32 vcc, v[10:11], v[12:13]
	v_cmp_eq_u64_e64 s[2:3], v[10:11], v[14:15]
	s_or_b64 s[2:3], vcc, s[2:3]
	s_and_b64 s[2:3], exec, s[2:3]
	s_or_b64 s[38:39], s[2:3], s[38:39]
	s_andn2_b64 exec, exec, s[38:39]
	s_cbranch_execnz .LBB104_93
; %bb.94:
	s_or_b64 exec, exec, s[38:39]
.LBB104_95:
	v_lshl_add_u64 v[6:7], v[12:13], 3, s[12:13]
	global_load_dwordx2 v[14:15], v[6:7], off
	global_load_dword v16, v[2:3], off offset:2048
	s_waitcnt vmcnt(1)
	v_subrev_co_u32_e32 v14, vcc, s28, v14
	s_nop 1
	v_subbrev_co_u32_e32 v15, vcc, 0, v15, vcc
	s_waitcnt vmcnt(0)
	v_subrev_u32_e32 v6, s28, v16
	v_cmp_lt_i64_e32 vcc, v[4:5], v[14:15]
	v_ashrrev_i32_e32 v7, 31, v6
	s_nop 0
	v_cndmask_b32_e32 v11, v13, v11, vcc
	v_cndmask_b32_e32 v10, v12, v10, vcc
	v_cmp_ne_u64_e32 vcc, v[10:11], v[6:7]
	s_and_saveexec_b64 s[38:39], vcc
	s_cbranch_execz .LBB104_101
; %bb.96:
	s_load_dwordx2 s[2:3], s[14:15], 0x0
	s_waitcnt lgkmcnt(0)
	s_sub_u32 s2, s2, s28
	s_subb_u32 s3, s3, 0
	v_cmp_gt_i64_e32 vcc, s[2:3], v[4:5]
	s_and_b64 exec, exec, vcc
	s_cbranch_execz .LBB104_101
; %bb.97:
	v_cmp_gt_i64_e32 vcc, s[4:5], v[6:7]
	v_cmp_le_i64_e64 s[2:3], s[22:23], v[6:7]
	s_or_b64 s[2:3], vcc, s[2:3]
	v_lshl_add_u64 v[4:5], v[10:11], 4, s[18:19]
	s_and_saveexec_b64 s[40:41], s[2:3]
	s_xor_b64 s[2:3], exec, s[40:41]
	s_cbranch_execz .LBB104_99
; %bb.98:
	global_load_dwordx4 v[10:13], v[4:5], off
	ds_read_b128 v[14:17], v20 offset:8192
	v_lshl_add_u64 v[4:5], v[6:7], 4, s[24:25]
	s_waitcnt vmcnt(0) lgkmcnt(0)
	v_mul_f64 v[18:19], v[12:13], -v[16:17]
	v_mul_f64 v[12:13], v[12:13], v[14:15]
	v_fmac_f64_e32 v[18:19], v[14:15], v[10:11]
	v_fmac_f64_e32 v[12:13], v[16:17], v[10:11]
	global_atomic_add_f64 v[4:5], v[18:19], off
	global_atomic_add_f64 v[4:5], v[12:13], off offset:8
                                        ; implicit-def: $vgpr4_vgpr5
.LBB104_99:
	s_andn2_saveexec_b64 s[2:3], s[2:3]
	s_cbranch_execz .LBB104_101
; %bb.100:
	global_load_dwordx4 v[10:13], v[4:5], off
	ds_read_b128 v[14:17], v20 offset:8192
	v_subrev_u32_e32 v4, s4, v6
	v_mov_b32_e32 v5, 0x4000
	v_lshl_add_u32 v18, v4, 4, v5
	s_waitcnt vmcnt(0) lgkmcnt(0)
	v_mul_f64 v[4:5], v[12:13], -v[16:17]
	v_mul_f64 v[12:13], v[12:13], v[14:15]
	v_fmac_f64_e32 v[4:5], v[14:15], v[10:11]
	v_fmac_f64_e32 v[12:13], v[16:17], v[10:11]
	ds_add_f64 v18, v[4:5]
	ds_add_f64 v18, v[12:13] offset:8
.LBB104_101:
	s_or_b64 exec, exec, s[38:39]
	v_lshl_add_u64 v[4:5], v[6:7], 4, s[18:19]
	global_load_dwordx4 v[10:13], v[4:5], off
	ds_read_b128 v[14:17], v20 offset:8192
	s_and_b64 vcc, exec, s[0:1]
	v_mov_b64_e32 v[4:5], s[20:21]
	v_mov_b64_e32 v[6:7], s[36:37]
	s_waitcnt vmcnt(0) lgkmcnt(0)
	v_mul_f64 v[22:23], v[12:13], -v[16:17]
	v_mul_f64 v[24:25], v[12:13], v[14:15]
	v_fmac_f64_e32 v[22:23], v[14:15], v[10:11]
	v_fmac_f64_e32 v[24:25], v[16:17], v[10:11]
	ds_write_b128 v20, v[22:25] offset:8192
	s_cbranch_vccnz .LBB104_105
; %bb.102:
	s_mov_b64 s[2:3], 0
	v_mov_b64_e32 v[4:5], s[20:21]
	v_mov_b64_e32 v[6:7], s[36:37]
	v_mov_b32_e32 v11, 0
.LBB104_103:                            ; =>This Inner Loop Header: Depth=1
	v_lshl_add_u64 v[12:13], v[6:7], 0, v[4:5]
	v_lshrrev_b32_e32 v10, 31, v13
	v_lshl_add_u64 v[12:13], v[12:13], 0, v[10:11]
	v_ashrrev_i64 v[12:13], 1, v[12:13]
	v_lshl_add_u64 v[14:15], v[12:13], 3, s[12:13]
	global_load_dwordx2 v[14:15], v[14:15], off
	s_waitcnt vmcnt(0)
	v_subrev_co_u32_e32 v14, vcc, s28, v14
	s_nop 1
	v_subbrev_co_u32_e32 v15, vcc, 0, v15, vcc
	v_cmp_lt_i64_e32 vcc, v[8:9], v[14:15]
	s_nop 1
	v_cndmask_b32_e32 v7, v7, v13, vcc
	v_cndmask_b32_e32 v6, v6, v12, vcc
	;; [unrolled: 1-line block ×4, first 2 shown]
	v_lshl_add_u64 v[12:13], v[6:7], 0, -1
	v_cmp_ge_i64_e32 vcc, v[4:5], v[6:7]
	v_cmp_eq_u64_e64 s[0:1], v[4:5], v[12:13]
	s_or_b64 s[0:1], vcc, s[0:1]
	s_and_b64 s[0:1], exec, s[0:1]
	s_or_b64 s[2:3], s[0:1], s[2:3]
	s_andn2_b64 exec, exec, s[2:3]
	s_cbranch_execnz .LBB104_103
; %bb.104:
	s_or_b64 exec, exec, s[2:3]
.LBB104_105:
	global_load_dword v12, v[2:3], off offset:3072
	v_lshl_add_u64 v[2:3], v[6:7], 3, s[12:13]
	global_load_dwordx2 v[10:11], v[2:3], off
	s_waitcnt vmcnt(1)
	v_subrev_u32_e32 v2, s28, v12
	v_ashrrev_i32_e32 v3, 31, v2
	s_waitcnt vmcnt(0)
	v_subrev_co_u32_e32 v10, vcc, s28, v10
	s_nop 1
	v_subbrev_co_u32_e32 v11, vcc, 0, v11, vcc
	v_cmp_lt_i64_e32 vcc, v[8:9], v[10:11]
	s_nop 1
	v_cndmask_b32_e32 v5, v7, v5, vcc
	v_cndmask_b32_e32 v4, v6, v4, vcc
	v_cmp_ne_u64_e32 vcc, v[4:5], v[2:3]
	s_and_saveexec_b64 s[2:3], vcc
	s_cbranch_execz .LBB104_111
; %bb.106:
	s_load_dwordx2 s[0:1], s[14:15], 0x0
	s_waitcnt lgkmcnt(0)
	s_sub_u32 s0, s0, s28
	s_subb_u32 s1, s1, 0
	v_cmp_gt_i64_e32 vcc, s[0:1], v[8:9]
	s_and_b64 exec, exec, vcc
	s_cbranch_execz .LBB104_111
; %bb.107:
	v_cmp_gt_i64_e32 vcc, s[4:5], v[2:3]
	v_cmp_le_i64_e64 s[0:1], s[22:23], v[2:3]
	s_or_b64 s[0:1], vcc, s[0:1]
	v_lshl_add_u64 v[4:5], v[4:5], 4, s[18:19]
	s_and_saveexec_b64 s[14:15], s[0:1]
	s_xor_b64 s[0:1], exec, s[14:15]
	s_cbranch_execz .LBB104_109
; %bb.108:
	global_load_dwordx4 v[4:7], v[4:5], off
	ds_read_b128 v[8:11], v20 offset:12288
	v_lshl_add_u64 v[12:13], v[2:3], 4, s[24:25]
	s_waitcnt vmcnt(0) lgkmcnt(0)
	v_mul_f64 v[14:15], v[6:7], -v[10:11]
	v_mul_f64 v[6:7], v[6:7], v[8:9]
	v_fmac_f64_e32 v[14:15], v[8:9], v[4:5]
	v_fmac_f64_e32 v[6:7], v[10:11], v[4:5]
	global_atomic_add_f64 v[12:13], v[14:15], off
	global_atomic_add_f64 v[12:13], v[6:7], off offset:8
                                        ; implicit-def: $vgpr4_vgpr5
.LBB104_109:
	s_andn2_saveexec_b64 s[0:1], s[0:1]
	s_cbranch_execz .LBB104_111
; %bb.110:
	global_load_dwordx4 v[4:7], v[4:5], off
	ds_read_b128 v[8:11], v20 offset:12288
	v_subrev_u32_e32 v12, s4, v2
	v_mov_b32_e32 v13, 0x4000
	v_lshl_add_u32 v14, v12, 4, v13
	s_waitcnt vmcnt(0) lgkmcnt(0)
	v_mul_f64 v[12:13], v[6:7], -v[10:11]
	v_mul_f64 v[6:7], v[6:7], v[8:9]
	v_fmac_f64_e32 v[12:13], v[8:9], v[4:5]
	v_fmac_f64_e32 v[6:7], v[10:11], v[4:5]
	ds_add_f64 v14, v[12:13]
	ds_add_f64 v14, v[6:7] offset:8
.LBB104_111:
	s_or_b64 exec, exec, s[2:3]
	v_lshl_add_u64 v[2:3], v[2:3], 4, s[18:19]
	global_load_dwordx4 v[2:5], v[2:3], off
	ds_read_b128 v[6:9], v20 offset:12288
	s_waitcnt vmcnt(0) lgkmcnt(0)
	v_mul_f64 v[10:11], v[4:5], -v[8:9]
	v_mul_f64 v[12:13], v[4:5], v[6:7]
	v_fmac_f64_e32 v[10:11], v[6:7], v[2:3]
	v_fmac_f64_e32 v[12:13], v[8:9], v[2:3]
	ds_write_b128 v20, v[10:13] offset:12288
.LBB104_112:
	s_or_b64 exec, exec, s[16:17]
	v_mov_b64_e32 v[2:3], s[6:7]
	v_cmp_lt_i64_e32 vcc, s[22:23], v[2:3]
	s_and_b64 s[0:1], vcc, exec
	s_cselect_b32 s16, s22, s6
	s_cselect_b32 s0, s23, s7
	s_sub_u32 s2, s16, s26
	s_subb_u32 s3, s0, s27
	v_cmp_gt_i64_e32 vcc, s[2:3], v[0:1]
	s_waitcnt lgkmcnt(0)
	s_barrier
	s_and_saveexec_b64 s[0:1], vcc
	s_cbranch_execz .LBB104_115
; %bb.113:
	v_mov_b64_e32 v[2:3], s[6:7]
	v_cmp_gt_i64_e32 vcc, s[22:23], v[2:3]
	s_and_b64 s[4:5], vcc, exec
	s_cselect_b32 s5, s23, s7
	s_cselect_b32 s4, s22, s6
	v_lshlrev_b32_e32 v2, 4, v0
	v_mov_b32_e32 v3, 0
	v_lshl_add_u64 v[2:3], s[4:5], 4, v[2:3]
	s_lshl_b64 s[4:5], s[6:7], 4
	v_mov_b32_e32 v4, s5
	v_subrev_co_u32_e32 v2, vcc, s4, v2
	v_or_b32_e32 v2, 8, v2
	s_nop 0
	v_subb_co_u32_e32 v3, vcc, v3, v4, vcc
	v_mov_b32_e32 v4, 0x4000
	v_lshl_add_u64 v[2:3], s[24:25], 0, v[2:3]
	v_lshl_add_u32 v6, v0, 4, v4
	s_mov_b64 s[4:5], 0
	s_mov_b64 s[6:7], 0x100
	;; [unrolled: 1-line block ×3, first 2 shown]
	v_mov_b64_e32 v[4:5], v[0:1]
.LBB104_114:                            ; =>This Inner Loop Header: Depth=1
	ds_read2_b64 v[8:11], v6 offset1:1
	v_lshl_add_u64 v[4:5], v[4:5], 0, s[6:7]
	v_cmp_le_i64_e32 vcc, s[2:3], v[4:5]
	v_add_u32_e32 v6, 0x1000, v6
	s_or_b64 s[4:5], vcc, s[4:5]
	s_waitcnt lgkmcnt(0)
	global_atomic_add_f64 v[2:3], v[8:9], off offset:-8
	global_atomic_add_f64 v[2:3], v[10:11], off
	v_lshl_add_u64 v[2:3], v[2:3], 0, s[14:15]
	s_andn2_b64 exec, exec, s[4:5]
	s_cbranch_execnz .LBB104_114
.LBB104_115:
	s_or_b64 exec, exec, s[0:1]
	s_add_i32 s0, s34, -1
	s_ashr_i32 s1, s0, 1
	s_or_b32 s0, s1, s0
	s_ashr_i32 s1, s0, 2
	s_or_b32 s0, s1, s0
	;; [unrolled: 2-line block ×5, first 2 shown]
	s_add_i32 s0, s0, 1
	s_ashr_i32 s3, s0, 1
	v_lshl_add_u64 v[6:7], s[20:21], 0, v[0:1]
	s_cmp_gt_i32 s3, 1
	s_mov_b64 s[0:1], -1
	s_barrier
	s_cbranch_scc1 .LBB104_124
; %bb.116:
	v_cmp_gt_i64_e32 vcc, s[22:23], v[6:7]
	s_and_saveexec_b64 s[0:1], vcc
	s_cbranch_execz .LBB104_123
; %bb.117:
	s_sub_i32 s4, s16, s22
	s_lshl_b32 s4, s4, 4
	s_add_i32 s16, s4, 0x4000
	s_lshl_b32 s4, s8, 4
	s_sub_i32 s17, 0, s4
	s_mov_b64 s[4:5], 0
	v_mov_b64_e32 v[8:9], v[6:7]
	s_branch .LBB104_119
.LBB104_118:                            ;   in Loop: Header=BB104_119 Depth=1
	s_or_b64 exec, exec, s[6:7]
	v_lshl_add_u32 v2, v8, 4, s16
	ds_read2_b64 v[2:5], v2 offset1:1
	s_waitcnt lgkmcnt(0)
	v_add_f64 v[2:3], v[12:13], v[2:3]
	v_add_f64 v[4:5], v[10:11], v[4:5]
	v_lshl_add_u64 v[10:11], v[8:9], 4, s[24:25]
	global_atomic_add_f64 v[10:11], v[2:3], off
	global_atomic_add_f64 v[10:11], v[4:5], off offset:8
	v_lshl_add_u64 v[8:9], v[8:9], 0, s[30:31]
	v_cmp_le_i64_e32 vcc, s[22:23], v[8:9]
	s_or_b64 s[4:5], vcc, s[4:5]
	s_andn2_b64 exec, exec, s[4:5]
	s_cbranch_execz .LBB104_123
.LBB104_119:                            ; =>This Loop Header: Depth=1
                                        ;     Child Loop BB104_121 Depth 2
	v_lshl_add_u64 v[2:3], v[8:9], 3, s[12:13]
	global_load_dwordx4 v[2:5], v[2:3], off
	v_mov_b64_e32 v[10:11], 0
	v_mov_b64_e32 v[12:13], 0
	s_waitcnt vmcnt(0)
	v_cmp_lt_i64_e32 vcc, v[2:3], v[4:5]
	s_and_saveexec_b64 s[6:7], vcc
	s_cbranch_execz .LBB104_118
; %bb.120:                              ;   in Loop: Header=BB104_119 Depth=1
	v_mov_b32_e32 v10, s9
	v_subrev_co_u32_e32 v4, vcc, s8, v4
	s_mov_b64 s[14:15], 0
	s_nop 0
	v_subb_co_u32_e32 v5, vcc, v5, v10, vcc
	v_subrev_co_u32_e32 v14, vcc, s8, v2
	v_lshl_add_u32 v2, v2, 4, s17
	s_nop 0
	v_subb_co_u32_e32 v15, vcc, v3, v10, vcc
	v_mov_b64_e32 v[10:11], 0
	v_mov_b64_e32 v[12:13], 0
.LBB104_121:                            ;   Parent Loop BB104_119 Depth=1
                                        ; =>  This Inner Loop Header: Depth=2
	ds_read_b128 v[16:19], v2
	v_lshl_add_u64 v[14:15], v[14:15], 0, 1
	v_cmp_ge_i64_e32 vcc, v[14:15], v[4:5]
	v_add_u32_e32 v2, 16, v2
	s_or_b64 s[14:15], vcc, s[14:15]
	s_waitcnt lgkmcnt(0)
	v_add_f64 v[12:13], v[12:13], v[16:17]
	v_add_f64 v[10:11], v[10:11], v[18:19]
	s_andn2_b64 exec, exec, s[14:15]
	s_cbranch_execnz .LBB104_121
; %bb.122:                              ;   in Loop: Header=BB104_119 Depth=1
	s_or_b64 exec, exec, s[14:15]
	s_branch .LBB104_118
.LBB104_123:
	s_or_b64 exec, exec, s[0:1]
	s_mov_b64 s[0:1], 0
.LBB104_124:
	s_andn2_b64 vcc, exec, s[0:1]
	s_cbranch_vccnz .LBB104_141
; %bb.125:
	v_cvt_f32_u32_e32 v2, s3
	s_sub_i32 s12, 0, s3
	v_mov_b32_e32 v3, 0
	v_rcp_iflag_f32_e32 v2, v2
	s_nop 0
	v_mul_f32_e32 v2, 0x4f7ffffe, v2
	v_cvt_u32_f32_e32 v2, v2
	v_mul_lo_u32 v4, s12, v2
	v_mul_hi_u32 v4, v2, v4
	v_add_u32_e32 v2, v2, v4
	v_mul_hi_u32 v2, v0, v2
	v_mul_lo_u32 v4, v2, s3
	v_sub_u32_e32 v4, v0, v4
	v_add_u32_e32 v5, 1, v2
	v_cmp_le_u32_e32 vcc, s3, v4
	s_nop 1
	v_cndmask_b32_e32 v2, v2, v5, vcc
	v_subrev_u32_e32 v5, s3, v4
	v_cndmask_b32_e32 v4, v4, v5, vcc
	v_add_u32_e32 v5, 1, v2
	v_cmp_le_u32_e32 vcc, s3, v4
	s_nop 1
	v_cndmask_b32_e32 v2, v2, v5, vcc
	v_lshl_add_u64 v[4:5], v[2:3], 3, s[10:11]
	global_load_dwordx4 v[8:11], v[4:5], off
	v_mov_b32_e32 v4, s9
	v_mov_b32_e32 v5, s9
	s_waitcnt vmcnt(0)
	v_subrev_co_u32_e32 v8, vcc, s8, v8
	s_nop 1
	v_subb_co_u32_e32 v9, vcc, v9, v4, vcc
	v_subrev_co_u32_e32 v16, vcc, s8, v10
	v_mov_b32_e32 v10, v3
	s_nop 0
	v_subb_co_u32_e32 v17, vcc, v11, v5, vcc
	v_sub_co_u32_e32 v4, vcc, v16, v8
	s_nop 1
	v_subb_co_u32_e32 v5, vcc, v17, v9, vcc
	v_mov_b32_e32 v11, v5
	v_cmp_ne_u64_e32 vcc, 0, v[10:11]
                                        ; implicit-def: $vgpr10_vgpr11
	s_and_saveexec_b64 s[0:1], vcc
	s_xor_b64 s[4:5], exec, s[0:1]
	s_cbranch_execz .LBB104_127
; %bb.126:
	s_add_u32 s0, s3, 0
	s_addc_u32 s1, 0, 0
	s_xor_b64 s[6:7], s[0:1], 0
	v_cvt_f32_u32_e32 v10, s6
	v_cvt_f32_u32_e32 v11, s7
	s_sub_u32 s8, 0, s6
	s_subb_u32 s9, 0, s7
	v_ashrrev_i32_e32 v12, 31, v5
	v_fmamk_f32 v10, v11, 0x4f800000, v10
	v_rcp_f32_e32 v10, v10
	v_mov_b32_e32 v13, v12
	v_lshl_add_u64 v[4:5], v[4:5], 0, v[12:13]
	v_xor_b32_e32 v18, v4, v12
	v_mul_f32_e32 v10, 0x5f7ffffc, v10
	v_mul_f32_e32 v11, 0x2f800000, v10
	v_trunc_f32_e32 v11, v11
	v_fmamk_f32 v10, v11, 0xcf800000, v10
	v_cvt_u32_f32_e32 v11, v11
	v_cvt_u32_f32_e32 v10, v10
	v_xor_b32_e32 v13, v5, v12
	v_readfirstlane_b32 s10, v11
	v_readfirstlane_b32 s0, v10
	s_mul_i32 s1, s8, s10
	s_mul_hi_u32 s13, s8, s0
	s_mul_i32 s11, s9, s0
	s_add_i32 s1, s13, s1
	s_mul_i32 s14, s8, s0
	s_add_i32 s1, s1, s11
	s_mul_i32 s13, s0, s1
	s_mul_hi_u32 s15, s0, s14
	s_mul_hi_u32 s11, s0, s1
	s_add_u32 s13, s15, s13
	s_addc_u32 s11, 0, s11
	s_mul_hi_u32 s16, s10, s14
	s_mul_i32 s14, s10, s14
	s_add_u32 s13, s13, s14
	s_mul_hi_u32 s15, s10, s1
	s_addc_u32 s11, s11, s16
	s_addc_u32 s13, s15, 0
	s_mul_i32 s1, s10, s1
	s_add_u32 s1, s11, s1
	s_addc_u32 s11, 0, s13
	s_add_u32 s13, s0, s1
	s_cselect_b64 s[0:1], -1, 0
	s_cmp_lg_u64 s[0:1], 0
	s_addc_u32 s10, s10, s11
	s_mul_i32 s0, s8, s10
	s_mul_hi_u32 s1, s8, s13
	s_add_i32 s0, s1, s0
	s_mul_i32 s9, s9, s13
	s_add_i32 s0, s0, s9
	s_mul_i32 s8, s8, s13
	s_mul_hi_u32 s9, s10, s8
	s_mul_i32 s11, s10, s8
	s_mul_i32 s15, s13, s0
	s_mul_hi_u32 s8, s13, s8
	s_mul_hi_u32 s14, s13, s0
	s_add_u32 s8, s8, s15
	s_addc_u32 s14, 0, s14
	s_add_u32 s8, s8, s11
	s_mul_hi_u32 s1, s10, s0
	s_addc_u32 s8, s14, s9
	s_addc_u32 s1, s1, 0
	s_mul_i32 s0, s10, s0
	s_add_u32 s0, s8, s0
	s_addc_u32 s8, 0, s1
	s_add_u32 s9, s13, s0
	s_cselect_b64 s[0:1], -1, 0
	s_cmp_lg_u64 s[0:1], 0
	s_addc_u32 s8, s10, s8
	v_mad_u64_u32 v[4:5], s[0:1], v18, s8, 0
	v_mul_hi_u32 v10, v18, s9
	v_mov_b32_e32 v11, v3
	v_lshl_add_u64 v[4:5], v[10:11], 0, v[4:5]
	v_mad_u64_u32 v[14:15], s[0:1], v13, s9, 0
	v_add_co_u32_e32 v4, vcc, v4, v14
	v_mad_u64_u32 v[10:11], s[0:1], v13, s8, 0
	s_nop 0
	v_addc_co_u32_e32 v4, vcc, v5, v15, vcc
	v_mov_b32_e32 v5, v3
	s_nop 0
	v_addc_co_u32_e32 v11, vcc, 0, v11, vcc
	v_lshl_add_u64 v[4:5], v[4:5], 0, v[10:11]
	v_mul_lo_u32 v14, s7, v4
	v_mul_lo_u32 v15, s6, v5
	v_mad_u64_u32 v[10:11], s[0:1], s6, v4, 0
	v_add3_u32 v19, v11, v15, v14
	v_sub_u32_e32 v11, v13, v19
	v_mov_b32_e32 v14, s7
	v_sub_co_u32_e32 v18, vcc, v18, v10
	s_nop 1
	v_subb_co_u32_e64 v10, s[0:1], v11, v14, vcc
	v_subrev_co_u32_e64 v11, s[0:1], s6, v18
	v_subb_co_u32_e32 v13, vcc, v13, v19, vcc
	s_nop 0
	v_subbrev_co_u32_e64 v10, s[0:1], 0, v10, s[0:1]
	v_cmp_le_u32_e64 s[0:1], s7, v10
	v_cmp_le_u32_e32 vcc, s7, v13
	s_nop 0
	v_cndmask_b32_e64 v14, 0, -1, s[0:1]
	v_cmp_le_u32_e64 s[0:1], s6, v11
	s_nop 1
	v_cndmask_b32_e64 v11, 0, -1, s[0:1]
	v_cmp_eq_u32_e64 s[0:1], s7, v10
	s_nop 1
	v_cndmask_b32_e64 v21, v14, v11, s[0:1]
	v_lshl_add_u64 v[10:11], v[4:5], 0, 2
	v_lshl_add_u64 v[14:15], v[4:5], 0, 1
	v_cmp_ne_u32_e64 s[0:1], 0, v21
	s_nop 1
	v_cndmask_b32_e64 v11, v15, v11, s[0:1]
	v_cndmask_b32_e64 v15, 0, -1, vcc
	v_cmp_le_u32_e32 vcc, s6, v18
	v_cndmask_b32_e64 v10, v14, v10, s[0:1]
	s_nop 0
	v_cndmask_b32_e64 v18, 0, -1, vcc
	v_cmp_eq_u32_e32 vcc, s7, v13
	s_nop 1
	v_cndmask_b32_e32 v13, v15, v18, vcc
	v_cmp_ne_u32_e32 vcc, 0, v13
	s_nop 1
	v_cndmask_b32_e32 v4, v4, v10, vcc
	v_cndmask_b32_e32 v5, v5, v11, vcc
	v_xor_b32_e32 v4, v4, v12
	v_xor_b32_e32 v5, v5, v12
	v_sub_co_u32_e32 v10, vcc, v4, v12
                                        ; implicit-def: $vgpr4
	s_nop 1
	v_subb_co_u32_e32 v11, vcc, v5, v12, vcc
.LBB104_127:
	s_andn2_saveexec_b64 s[0:1], s[4:5]
	s_cbranch_execz .LBB104_129
; %bb.128:
	v_cvt_f32_u32_e32 v5, s3
	v_rcp_iflag_f32_e32 v5, v5
	s_nop 0
	v_mul_f32_e32 v5, 0x4f7ffffe, v5
	v_cvt_u32_f32_e32 v5, v5
	v_mul_lo_u32 v10, s12, v5
	v_mul_hi_u32 v10, v5, v10
	v_add_u32_e32 v5, v5, v10
	v_mul_hi_u32 v5, v4, v5
	v_mul_lo_u32 v10, v5, s3
	v_sub_u32_e32 v4, v4, v10
	v_add_u32_e32 v11, 1, v5
	v_subrev_u32_e32 v10, s3, v4
	v_cmp_le_u32_e32 vcc, s3, v4
	s_nop 1
	v_cndmask_b32_e32 v4, v4, v10, vcc
	v_cndmask_b32_e32 v5, v5, v11, vcc
	v_add_u32_e32 v10, 1, v5
	v_cmp_le_u32_e32 vcc, s3, v4
	v_mov_b32_e32 v11, 0
	s_nop 0
	v_cndmask_b32_e32 v10, v5, v10, vcc
.LBB104_129:
	s_or_b64 exec, exec, s[0:1]
	v_cmp_gt_i64_e32 vcc, s[26:27], v[2:3]
	v_mov_b64_e32 v[4:5], 0
	v_mov_b64_e32 v[2:3], 0
	s_and_saveexec_b64 s[0:1], vcc
	s_cbranch_execz .LBB104_137
; %bb.130:
	s_add_i32 s4, s3, -1
	v_and_b32_e32 v12, s4, v0
	s_mov_b64 s[4:5], 0
	v_cmp_lt_i64_e32 vcc, 0, v[10:11]
	v_mov_b64_e32 v[4:5], 0
	v_lshlrev_b32_e32 v18, 4, v12
	v_mov_b64_e32 v[2:3], 0
	s_and_saveexec_b64 s[6:7], vcc
	s_cbranch_execz .LBB104_134
; %bb.131:
	v_mov_b64_e32 v[4:5], 0
	v_lshl_add_u32 v13, v8, 4, v18
	s_lshl_b32 s8, s3, 4
	v_mov_b64_e32 v[14:15], v[10:11]
	v_mov_b64_e32 v[2:3], v[4:5]
.LBB104_132:                            ; =>This Inner Loop Header: Depth=1
	ds_read_b128 v[22:25], v13
	v_lshl_add_u64 v[14:15], v[14:15], 0, -1
	v_cmp_eq_u64_e32 vcc, 0, v[14:15]
	v_add_u32_e32 v13, s8, v13
	s_or_b64 s[4:5], vcc, s[4:5]
	s_waitcnt lgkmcnt(0)
	v_add_f64 v[2:3], v[2:3], v[22:23]
	v_add_f64 v[4:5], v[4:5], v[24:25]
	s_andn2_b64 exec, exec, s[4:5]
	s_cbranch_execnz .LBB104_132
; %bb.133:
	s_or_b64 exec, exec, s[4:5]
.LBB104_134:
	s_or_b64 exec, exec, s[6:7]
	v_mad_u64_u32 v[8:9], s[4:5], v10, s3, v[8:9]
	v_mov_b32_e32 v10, v9
	v_mad_u64_u32 v[10:11], s[4:5], v11, s3, v[10:11]
	v_sub_co_u32_e32 v14, vcc, v16, v8
	v_mov_b32_e32 v13, 0
	s_nop 0
	v_subb_co_u32_e32 v15, vcc, v17, v10, vcc
	v_cmp_gt_i64_e32 vcc, v[14:15], v[12:13]
	s_and_saveexec_b64 s[4:5], vcc
	s_cbranch_execz .LBB104_136
; %bb.135:
	v_lshl_add_u32 v8, v8, 4, v18
	ds_read_b128 v[8:11], v8
	s_waitcnt lgkmcnt(0)
	v_add_f64 v[2:3], v[2:3], v[8:9]
	v_add_f64 v[4:5], v[4:5], v[10:11]
.LBB104_136:
	s_or_b64 exec, exec, s[4:5]
.LBB104_137:
	s_or_b64 exec, exec, s[0:1]
	v_cmp_gt_i64_e32 vcc, s[26:27], v[0:1]
	s_barrier
	ds_write_b128 v20, v[2:5]
	s_waitcnt lgkmcnt(0)
	s_barrier
	s_and_b64 exec, exec, vcc
	s_cbranch_execz .LBB104_141
; %bb.138:
	v_mul_lo_u32 v1, s3, v0
	v_lshlrev_b32_e32 v1, 4, v1
	v_mov_b64_e32 v[2:3], 0
	v_mov_b64_e32 v[4:5], 0
.LBB104_139:                            ; =>This Inner Loop Header: Depth=1
	ds_read_b128 v[8:11], v1
	s_add_i32 s3, s3, -1
	v_add_u32_e32 v1, 16, v1
	s_cmp_eq_u32 s3, 0
	s_waitcnt lgkmcnt(0)
	v_add_f64 v[4:5], v[4:5], v[8:9]
	v_add_f64 v[2:3], v[2:3], v[10:11]
	s_cbranch_scc0 .LBB104_139
; %bb.140:
	s_lshl_b32 s0, s2, 4
	s_addk_i32 s0, 0x4000
	v_lshl_add_u32 v0, v0, 4, s0
	ds_read2_b64 v[8:11], v0 offset1:1
	s_waitcnt lgkmcnt(0)
	v_add_f64 v[0:1], v[4:5], v[8:9]
	v_lshl_add_u64 v[4:5], v[6:7], 4, s[24:25]
	v_add_f64 v[2:3], v[2:3], v[10:11]
	global_atomic_add_f64 v[4:5], v[0:1], off
	global_atomic_add_f64 v[4:5], v[2:3], off offset:8
.LBB104_141:
	s_endpgm
	.section	.rodata,"a",@progbits
	.p2align	6, 0x0
	.amdhsa_kernel _ZN9rocsparseL27csrmvn_symm_adaptive_kernelIlid21rocsparse_complex_numIdES2_S2_EEvbT_S3_PKS3_NS_24const_host_device_scalarIT4_EES5_PKT0_PKT1_PKT2_S8_PT3_21rocsparse_index_base_b
		.amdhsa_group_segment_fixed_size 16384
		.amdhsa_private_segment_fixed_size 0
		.amdhsa_kernarg_size 368
		.amdhsa_user_sgpr_count 2
		.amdhsa_user_sgpr_dispatch_ptr 0
		.amdhsa_user_sgpr_queue_ptr 0
		.amdhsa_user_sgpr_kernarg_segment_ptr 1
		.amdhsa_user_sgpr_dispatch_id 0
		.amdhsa_user_sgpr_kernarg_preload_length 0
		.amdhsa_user_sgpr_kernarg_preload_offset 0
		.amdhsa_user_sgpr_private_segment_size 0
		.amdhsa_uses_dynamic_stack 0
		.amdhsa_enable_private_segment 0
		.amdhsa_system_sgpr_workgroup_id_x 1
		.amdhsa_system_sgpr_workgroup_id_y 0
		.amdhsa_system_sgpr_workgroup_id_z 0
		.amdhsa_system_sgpr_workgroup_info 0
		.amdhsa_system_vgpr_workitem_id 0
		.amdhsa_next_free_vgpr 30
		.amdhsa_next_free_sgpr 52
		.amdhsa_accum_offset 32
		.amdhsa_reserve_vcc 1
		.amdhsa_float_round_mode_32 0
		.amdhsa_float_round_mode_16_64 0
		.amdhsa_float_denorm_mode_32 3
		.amdhsa_float_denorm_mode_16_64 3
		.amdhsa_dx10_clamp 1
		.amdhsa_ieee_mode 1
		.amdhsa_fp16_overflow 0
		.amdhsa_tg_split 0
		.amdhsa_exception_fp_ieee_invalid_op 0
		.amdhsa_exception_fp_denorm_src 0
		.amdhsa_exception_fp_ieee_div_zero 0
		.amdhsa_exception_fp_ieee_overflow 0
		.amdhsa_exception_fp_ieee_underflow 0
		.amdhsa_exception_fp_ieee_inexact 0
		.amdhsa_exception_int_div_zero 0
	.end_amdhsa_kernel
	.section	.text._ZN9rocsparseL27csrmvn_symm_adaptive_kernelIlid21rocsparse_complex_numIdES2_S2_EEvbT_S3_PKS3_NS_24const_host_device_scalarIT4_EES5_PKT0_PKT1_PKT2_S8_PT3_21rocsparse_index_base_b,"axG",@progbits,_ZN9rocsparseL27csrmvn_symm_adaptive_kernelIlid21rocsparse_complex_numIdES2_S2_EEvbT_S3_PKS3_NS_24const_host_device_scalarIT4_EES5_PKT0_PKT1_PKT2_S8_PT3_21rocsparse_index_base_b,comdat
.Lfunc_end104:
	.size	_ZN9rocsparseL27csrmvn_symm_adaptive_kernelIlid21rocsparse_complex_numIdES2_S2_EEvbT_S3_PKS3_NS_24const_host_device_scalarIT4_EES5_PKT0_PKT1_PKT2_S8_PT3_21rocsparse_index_base_b, .Lfunc_end104-_ZN9rocsparseL27csrmvn_symm_adaptive_kernelIlid21rocsparse_complex_numIdES2_S2_EEvbT_S3_PKS3_NS_24const_host_device_scalarIT4_EES5_PKT0_PKT1_PKT2_S8_PT3_21rocsparse_index_base_b
                                        ; -- End function
	.set _ZN9rocsparseL27csrmvn_symm_adaptive_kernelIlid21rocsparse_complex_numIdES2_S2_EEvbT_S3_PKS3_NS_24const_host_device_scalarIT4_EES5_PKT0_PKT1_PKT2_S8_PT3_21rocsparse_index_base_b.num_vgpr, 30
	.set _ZN9rocsparseL27csrmvn_symm_adaptive_kernelIlid21rocsparse_complex_numIdES2_S2_EEvbT_S3_PKS3_NS_24const_host_device_scalarIT4_EES5_PKT0_PKT1_PKT2_S8_PT3_21rocsparse_index_base_b.num_agpr, 0
	.set _ZN9rocsparseL27csrmvn_symm_adaptive_kernelIlid21rocsparse_complex_numIdES2_S2_EEvbT_S3_PKS3_NS_24const_host_device_scalarIT4_EES5_PKT0_PKT1_PKT2_S8_PT3_21rocsparse_index_base_b.numbered_sgpr, 52
	.set _ZN9rocsparseL27csrmvn_symm_adaptive_kernelIlid21rocsparse_complex_numIdES2_S2_EEvbT_S3_PKS3_NS_24const_host_device_scalarIT4_EES5_PKT0_PKT1_PKT2_S8_PT3_21rocsparse_index_base_b.num_named_barrier, 0
	.set _ZN9rocsparseL27csrmvn_symm_adaptive_kernelIlid21rocsparse_complex_numIdES2_S2_EEvbT_S3_PKS3_NS_24const_host_device_scalarIT4_EES5_PKT0_PKT1_PKT2_S8_PT3_21rocsparse_index_base_b.private_seg_size, 0
	.set _ZN9rocsparseL27csrmvn_symm_adaptive_kernelIlid21rocsparse_complex_numIdES2_S2_EEvbT_S3_PKS3_NS_24const_host_device_scalarIT4_EES5_PKT0_PKT1_PKT2_S8_PT3_21rocsparse_index_base_b.uses_vcc, 1
	.set _ZN9rocsparseL27csrmvn_symm_adaptive_kernelIlid21rocsparse_complex_numIdES2_S2_EEvbT_S3_PKS3_NS_24const_host_device_scalarIT4_EES5_PKT0_PKT1_PKT2_S8_PT3_21rocsparse_index_base_b.uses_flat_scratch, 0
	.set _ZN9rocsparseL27csrmvn_symm_adaptive_kernelIlid21rocsparse_complex_numIdES2_S2_EEvbT_S3_PKS3_NS_24const_host_device_scalarIT4_EES5_PKT0_PKT1_PKT2_S8_PT3_21rocsparse_index_base_b.has_dyn_sized_stack, 0
	.set _ZN9rocsparseL27csrmvn_symm_adaptive_kernelIlid21rocsparse_complex_numIdES2_S2_EEvbT_S3_PKS3_NS_24const_host_device_scalarIT4_EES5_PKT0_PKT1_PKT2_S8_PT3_21rocsparse_index_base_b.has_recursion, 0
	.set _ZN9rocsparseL27csrmvn_symm_adaptive_kernelIlid21rocsparse_complex_numIdES2_S2_EEvbT_S3_PKS3_NS_24const_host_device_scalarIT4_EES5_PKT0_PKT1_PKT2_S8_PT3_21rocsparse_index_base_b.has_indirect_call, 0
	.section	.AMDGPU.csdata,"",@progbits
; Kernel info:
; codeLenInByte = 7852
; TotalNumSgprs: 58
; NumVgprs: 30
; NumAgprs: 0
; TotalNumVgprs: 30
; ScratchSize: 0
; MemoryBound: 0
; FloatMode: 240
; IeeeMode: 1
; LDSByteSize: 16384 bytes/workgroup (compile time only)
; SGPRBlocks: 7
; VGPRBlocks: 3
; NumSGPRsForWavesPerEU: 58
; NumVGPRsForWavesPerEU: 30
; AccumOffset: 32
; Occupancy: 8
; WaveLimiterHint : 1
; COMPUTE_PGM_RSRC2:SCRATCH_EN: 0
; COMPUTE_PGM_RSRC2:USER_SGPR: 2
; COMPUTE_PGM_RSRC2:TRAP_HANDLER: 0
; COMPUTE_PGM_RSRC2:TGID_X_EN: 1
; COMPUTE_PGM_RSRC2:TGID_Y_EN: 0
; COMPUTE_PGM_RSRC2:TGID_Z_EN: 0
; COMPUTE_PGM_RSRC2:TIDIG_COMP_CNT: 0
; COMPUTE_PGM_RSRC3_GFX90A:ACCUM_OFFSET: 7
; COMPUTE_PGM_RSRC3_GFX90A:TG_SPLIT: 0
	.section	.text._ZL33csrmvn_symm_large_adaptive_kernelIlid21rocsparse_complex_numIdES1_S1_EvbT_PKS2_N9rocsparse24const_host_device_scalarIT4_EES4_PKT0_PKT1_PKT2_S8_PT3_21rocsparse_index_base_b,"axG",@progbits,_ZL33csrmvn_symm_large_adaptive_kernelIlid21rocsparse_complex_numIdES1_S1_EvbT_PKS2_N9rocsparse24const_host_device_scalarIT4_EES4_PKT0_PKT1_PKT2_S8_PT3_21rocsparse_index_base_b,comdat
	.globl	_ZL33csrmvn_symm_large_adaptive_kernelIlid21rocsparse_complex_numIdES1_S1_EvbT_PKS2_N9rocsparse24const_host_device_scalarIT4_EES4_PKT0_PKT1_PKT2_S8_PT3_21rocsparse_index_base_b ; -- Begin function _ZL33csrmvn_symm_large_adaptive_kernelIlid21rocsparse_complex_numIdES1_S1_EvbT_PKS2_N9rocsparse24const_host_device_scalarIT4_EES4_PKT0_PKT1_PKT2_S8_PT3_21rocsparse_index_base_b
	.p2align	8
	.type	_ZL33csrmvn_symm_large_adaptive_kernelIlid21rocsparse_complex_numIdES1_S1_EvbT_PKS2_N9rocsparse24const_host_device_scalarIT4_EES4_PKT0_PKT1_PKT2_S8_PT3_21rocsparse_index_base_b,@function
_ZL33csrmvn_symm_large_adaptive_kernelIlid21rocsparse_complex_numIdES1_S1_EvbT_PKS2_N9rocsparse24const_host_device_scalarIT4_EES4_PKT0_PKT1_PKT2_S8_PT3_21rocsparse_index_base_b: ; @_ZL33csrmvn_symm_large_adaptive_kernelIlid21rocsparse_complex_numIdES1_S1_EvbT_PKS2_N9rocsparse24const_host_device_scalarIT4_EES4_PKT0_PKT1_PKT2_S8_PT3_21rocsparse_index_base_b
; %bb.0:
	s_load_dwordx2 s[20:21], s[0:1], 0x60
	s_load_dwordx2 s[4:5], s[0:1], 0x18
	s_add_u32 s3, s0, 24
	s_addc_u32 s10, s1, 0
	s_waitcnt lgkmcnt(0)
	s_bitcmp1_b32 s21, 0
	s_cselect_b64 s[8:9], -1, 0
	s_and_b64 s[6:7], s[8:9], exec
	s_cselect_b32 s5, s10, s5
	s_cselect_b32 s3, s3, s4
	v_mov_b32_e32 v2, s3
	v_mov_b32_e32 v3, s5
	flat_load_dwordx4 v[2:5], v[2:3]
	s_waitcnt vmcnt(0) lgkmcnt(0)
	v_cmp_eq_f64_e32 vcc, 0, v[2:3]
	v_cmp_eq_f64_e64 s[4:5], 0, v[4:5]
	s_and_b64 s[10:11], vcc, s[4:5]
	s_mov_b64 s[4:5], -1
	s_and_saveexec_b64 s[6:7], s[10:11]
	s_cbranch_execz .LBB105_2
; %bb.1:
	s_load_dwordx2 s[4:5], s[0:1], 0x48
	s_add_u32 s3, s0, 0x48
	s_addc_u32 s10, s1, 0
	s_and_b64 s[8:9], s[8:9], exec
	s_waitcnt lgkmcnt(0)
	s_cselect_b32 s5, s10, s5
	s_cselect_b32 s3, s3, s4
	v_mov_b32_e32 v6, s3
	v_mov_b32_e32 v7, s5
	flat_load_dwordx4 v[6:9], v[6:7]
	s_waitcnt vmcnt(0) lgkmcnt(0)
	v_cmp_neq_f64_e32 vcc, 1.0, v[6:7]
	v_cmp_neq_f64_e64 s[4:5], 0, v[8:9]
	s_or_b64 s[4:5], vcc, s[4:5]
	s_orn2_b64 s[4:5], s[4:5], exec
.LBB105_2:
	s_or_b64 exec, exec, s[6:7]
	s_and_saveexec_b64 s[6:7], s[4:5]
	s_cbranch_execz .LBB105_36
; %bb.3:
	s_load_dwordx2 s[8:9], s[0:1], 0x10
	s_mov_b32 s4, 0
	s_ashr_i32 s3, s2, 31
	s_mov_b32 s6, s4
	s_mov_b32 s7, s4
	s_lshl_b64 s[2:3], s[2:3], 3
	s_mov_b32 s5, s4
	v_mov_b64_e32 v[8:9], s[6:7]
	s_waitcnt lgkmcnt(0)
	s_add_u32 s2, s8, s2
	v_lshlrev_b32_e32 v18, 4, v0
	v_mov_b64_e32 v[6:7], s[4:5]
	s_addc_u32 s3, s9, s3
	ds_write_b128 v18, v[6:9]
	ds_write_b128 v18, v[6:9] offset:4096
	ds_write_b128 v18, v[6:9] offset:8192
	ds_write_b128 v18, v[6:9] offset:12288
	s_waitcnt lgkmcnt(0)
	s_barrier
	s_load_dwordx4 s[16:19], s[2:3], 0x0
	s_load_dwordx2 s[22:23], s[0:1], 0x58
	s_load_dwordx8 s[8:15], s[0:1], 0x28
	v_subrev_co_u32_e64 v10, s[0:1], s20, v0
	s_waitcnt lgkmcnt(0)
	v_mov_b64_e32 v[6:7], s[18:19]
	v_cmp_ge_i64_e32 vcc, s[16:17], v[6:7]
	v_mov_b32_e32 v19, 0
	v_subb_co_u32_e64 v11, s[0:1], 0, 0, s[0:1]
	s_cbranch_vccnz .LBB105_27
; %bb.4:
	v_cmp_gt_u32_e64 s[0:1], 64, v0
	v_cmp_gt_u32_e64 s[2:3], 16, v0
	;; [unrolled: 1-line block ×3, first 2 shown]
	v_cmp_eq_u32_e64 s[6:7], 0, v0
	s_mov_b64 s[24:25], 0x100
	s_mov_b64 s[26:27], 0x400
	;; [unrolled: 1-line block ×3, first 2 shown]
	v_mov_b64_e32 v[0:1], s[18:19]
	s_mov_b64 s[30:31], s[16:17]
	s_branch .LBB105_6
.LBB105_5:                              ;   in Loop: Header=BB105_6 Depth=1
	s_or_b64 exec, exec, s[34:35]
	s_add_u32 s30, s30, 1
	s_addc_u32 s31, s31, 0
	v_cmp_ge_i64_e32 vcc, s[30:31], v[0:1]
	s_cbranch_vccnz .LBB105_27
.LBB105_6:                              ; =>This Loop Header: Depth=1
                                        ;     Child Loop BB105_8 Depth 2
                                        ;     Child Loop BB105_20 Depth 2
	;; [unrolled: 1-line block ×3, first 2 shown]
	s_lshl_b64 s[34:35], s[30:31], 3
	s_add_u32 s34, s8, s34
	s_addc_u32 s35, s9, s35
	s_load_dwordx4 s[40:43], s[34:35], 0x0
	v_mov_b64_e32 v[8:9], 0
	v_mov_b64_e32 v[6:7], 0
	s_waitcnt lgkmcnt(0)
	s_sub_u32 s36, s42, s20
	v_lshl_add_u64 v[12:13], s[40:41], 0, v[10:11]
	s_subb_u32 s37, s43, 0
	v_cmp_gt_i64_e32 vcc, s[36:37], v[12:13]
	s_and_saveexec_b64 s[34:35], vcc
	s_cbranch_execz .LBB105_10
; %bb.7:                                ;   in Loop: Header=BB105_6 Depth=1
	v_mov_b64_e32 v[8:9], 0
	v_lshl_add_u64 v[14:15], v[12:13], 2, s[10:11]
	v_lshl_add_u64 v[16:17], v[12:13], 3, s[12:13]
	s_mov_b64 s[38:39], 0
	v_mov_b64_e32 v[6:7], v[8:9]
.LBB105_8:                              ;   Parent Loop BB105_6 Depth=1
                                        ; =>  This Inner Loop Header: Depth=2
	global_load_dword v20, v[14:15], off
	global_load_dwordx2 v[24:25], v[16:17], off
	v_lshl_add_u64 v[12:13], v[12:13], 0, s[24:25]
	v_cmp_le_i64_e32 vcc, s[36:37], v[12:13]
	v_lshl_add_u64 v[14:15], v[14:15], 0, s[26:27]
	v_lshl_add_u64 v[16:17], v[16:17], 0, s[28:29]
	s_or_b64 s[38:39], vcc, s[38:39]
	s_waitcnt vmcnt(1)
	v_subrev_u32_e32 v20, s20, v20
	v_ashrrev_i32_e32 v21, 31, v20
	v_lshl_add_u64 v[20:21], v[20:21], 4, s[14:15]
	global_load_dwordx4 v[20:23], v[20:21], off
	s_waitcnt vmcnt(0)
	v_fmac_f64_e32 v[6:7], v[24:25], v[20:21]
	v_fmac_f64_e32 v[8:9], 0, v[20:21]
	;; [unrolled: 1-line block ×4, first 2 shown]
	s_andn2_b64 exec, exec, s[38:39]
	s_cbranch_execnz .LBB105_8
; %bb.9:                                ;   in Loop: Header=BB105_6 Depth=1
	s_or_b64 exec, exec, s[38:39]
.LBB105_10:                             ;   in Loop: Header=BB105_6 Depth=1
	s_or_b64 exec, exec, s[34:35]
	ds_write_b128 v18, v[6:9]
	s_waitcnt lgkmcnt(0)
	s_barrier
	ds_read_b128 v[6:9], v18 offset:4096
	ds_read_b128 v[12:15], v18 offset:8192
	ds_read_b128 v[20:23], v18 offset:12288
	ds_read_b128 v[24:27], v18
	s_waitcnt lgkmcnt(2)
	v_add_f64 v[6:7], v[12:13], v[6:7]
	v_add_f64 v[8:9], v[14:15], v[8:9]
	s_waitcnt lgkmcnt(1)
	v_add_f64 v[6:7], v[6:7], v[20:21]
	v_add_f64 v[8:9], v[8:9], v[22:23]
	;; [unrolled: 3-line block ×3, first 2 shown]
	ds_write_b128 v18, v[6:9]
	s_waitcnt lgkmcnt(0)
	s_barrier
	s_and_saveexec_b64 s[34:35], s[0:1]
	s_cbranch_execz .LBB105_12
; %bb.11:                               ;   in Loop: Header=BB105_6 Depth=1
	ds_read_b128 v[6:9], v18 offset:1024
	ds_read_b128 v[12:15], v18 offset:2048
	ds_read_b128 v[20:23], v18 offset:3072
	ds_read_b128 v[24:27], v18
	s_waitcnt lgkmcnt(2)
	v_add_f64 v[6:7], v[12:13], v[6:7]
	v_add_f64 v[8:9], v[14:15], v[8:9]
	s_waitcnt lgkmcnt(1)
	v_add_f64 v[6:7], v[6:7], v[20:21]
	v_add_f64 v[8:9], v[8:9], v[22:23]
	s_waitcnt lgkmcnt(0)
	v_add_f64 v[6:7], v[6:7], v[24:25]
	v_add_f64 v[8:9], v[8:9], v[26:27]
	ds_write_b128 v18, v[6:9]
.LBB105_12:                             ;   in Loop: Header=BB105_6 Depth=1
	s_or_b64 exec, exec, s[34:35]
	s_waitcnt lgkmcnt(0)
	s_barrier
	s_and_saveexec_b64 s[34:35], s[2:3]
	s_cbranch_execz .LBB105_14
; %bb.13:                               ;   in Loop: Header=BB105_6 Depth=1
	ds_read_b128 v[6:9], v18 offset:256
	ds_read_b128 v[12:15], v18 offset:512
	ds_read_b128 v[20:23], v18 offset:768
	ds_read_b128 v[24:27], v18
	s_waitcnt lgkmcnt(2)
	v_add_f64 v[6:7], v[12:13], v[6:7]
	v_add_f64 v[8:9], v[14:15], v[8:9]
	s_waitcnt lgkmcnt(1)
	v_add_f64 v[6:7], v[6:7], v[20:21]
	v_add_f64 v[8:9], v[8:9], v[22:23]
	s_waitcnt lgkmcnt(0)
	v_add_f64 v[6:7], v[6:7], v[24:25]
	v_add_f64 v[8:9], v[8:9], v[26:27]
	ds_write_b128 v18, v[6:9]
.LBB105_14:                             ;   in Loop: Header=BB105_6 Depth=1
	s_or_b64 exec, exec, s[34:35]
	;; [unrolled: 21-line block ×4, first 2 shown]
	s_waitcnt lgkmcnt(0)
	s_barrier
	s_and_saveexec_b64 s[34:35], s[6:7]
	s_cbranch_execz .LBB105_5
; %bb.19:                               ;   in Loop: Header=BB105_6 Depth=1
	ds_read_b128 v[6:9], v19
	v_mov_b32_e32 v12, 0
	s_mov_b64 s[36:37], exec
	v_bfrev_b32_e32 v13, 1
	s_waitcnt lgkmcnt(0)
	v_mul_f64 v[14:15], v[8:9], -v[4:5]
	v_fmac_f64_e32 v[14:15], v[2:3], v[6:7]
.LBB105_20:                             ;   Parent Loop BB105_6 Depth=1
                                        ; =>  This Inner Loop Header: Depth=2
	s_ff1_i32_b64 s21, s[36:37]
	s_lshl_b64 s[40:41], 1, s21
	v_readlane_b32 s39, v15, s21
	v_readlane_b32 s38, v14, s21
	s_andn2_b64 s[36:37], s[36:37], s[40:41]
	s_cmp_lg_u64 s[36:37], 0
	v_add_f64 v[12:13], v[12:13], s[38:39]
	s_cbranch_scc1 .LBB105_20
; %bb.21:                               ;   in Loop: Header=BB105_6 Depth=1
	s_lshl_b64 s[36:37], s[30:31], 4
	v_mbcnt_lo_u32_b32 v14, exec_lo, 0
	s_add_u32 s36, s22, s36
	v_mbcnt_hi_u32_b32 v14, exec_hi, v14
	s_addc_u32 s37, s23, s37
	v_cmp_eq_u32_e32 vcc, 0, v14
	s_and_saveexec_b64 s[38:39], vcc
	s_xor_b64 s[38:39], exec, s[38:39]
	s_cbranch_execz .LBB105_23
; %bb.22:                               ;   in Loop: Header=BB105_6 Depth=1
	global_atomic_add_f64 v19, v[12:13], s[36:37]
.LBB105_23:                             ;   in Loop: Header=BB105_6 Depth=1
	s_or_b64 exec, exec, s[38:39]
	v_mul_f64 v[8:9], v[2:3], v[8:9]
	v_fmac_f64_e32 v[8:9], v[4:5], v[6:7]
	v_mov_b32_e32 v6, 0
	s_mov_b64 s[38:39], exec
	v_bfrev_b32_e32 v7, 1
.LBB105_24:                             ;   Parent Loop BB105_6 Depth=1
                                        ; =>  This Inner Loop Header: Depth=2
	s_ff1_i32_b64 s21, s[38:39]
	s_lshl_b64 s[42:43], 1, s21
	v_readlane_b32 s41, v9, s21
	v_readlane_b32 s40, v8, s21
	s_andn2_b64 s[38:39], s[38:39], s[42:43]
	s_cmp_lg_u64 s[38:39], 0
	v_add_f64 v[6:7], v[6:7], s[40:41]
	s_cbranch_scc1 .LBB105_24
; %bb.25:                               ;   in Loop: Header=BB105_6 Depth=1
	v_mbcnt_lo_u32_b32 v8, exec_lo, 0
	v_mbcnt_hi_u32_b32 v8, exec_hi, v8
	v_cmp_eq_u32_e32 vcc, 0, v8
	s_and_saveexec_b64 s[38:39], vcc
	s_xor_b64 s[38:39], exec, s[38:39]
	s_cbranch_execz .LBB105_5
; %bb.26:                               ;   in Loop: Header=BB105_6 Depth=1
	global_atomic_add_f64 v19, v[6:7], s[36:37] offset:8
	s_branch .LBB105_5
.LBB105_27:
	s_lshl_b64 s[0:1], s[16:17], 3
	s_add_u32 s0, s8, s0
	s_addc_u32 s1, s9, s1
	s_lshl_b64 s[2:3], s[18:19], 3
	s_add_u32 s2, s8, s2
	s_addc_u32 s3, s9, s3
	s_load_dwordx2 s[4:5], s[2:3], 0x0
	s_load_dwordx2 s[6:7], s[0:1], 0x0
	s_waitcnt lgkmcnt(0)
	s_sub_u32 s4, s4, s20
	s_subb_u32 s5, s5, 0
	v_lshl_add_u64 v[0:1], s[6:7], 0, v[10:11]
	v_cmp_gt_i64_e32 vcc, s[4:5], v[0:1]
	s_and_b64 exec, exec, vcc
	s_cbranch_execz .LBB105_36
; %bb.28:
	s_add_u32 s6, s18, -1
	s_addc_u32 s7, s19, -1
	s_add_u32 s0, s18, -2
	s_addc_u32 s1, s19, -1
	v_mov_b64_e32 v[6:7], s[6:7]
	s_cmp_lg_u64 s[16:17], s[0:1]
	v_cmp_lt_i64_e32 vcc, s[16:17], v[6:7]
	s_cselect_b64 s[0:1], -1, 0
	s_mov_b32 s2, 0
	s_and_b64 s[0:1], vcc, s[0:1]
	s_brev_b32 s3, 1
	v_cndmask_b32_e64 v10, 0, 1, s[0:1]
	v_mul_f64 v[6:7], v[4:5], s[2:3]
	s_mov_b64 s[18:19], 0
	v_mul_f64 v[8:9], v[2:3], 0
	v_cmp_ne_u32_e64 s[0:1], 1, v10
	v_mov_b32_e32 v11, 0
	s_mov_b64 s[24:25], 0x100
	s_branch .LBB105_30
.LBB105_29:                             ;   in Loop: Header=BB105_30 Depth=1
	s_or_b64 exec, exec, s[2:3]
	v_lshl_add_u64 v[0:1], v[0:1], 0, s[24:25]
	v_cmp_le_i64_e32 vcc, s[4:5], v[0:1]
	s_or_b64 s[18:19], vcc, s[18:19]
	s_andn2_b64 exec, exec, s[18:19]
	s_cbranch_execz .LBB105_36
.LBB105_30:                             ; =>This Loop Header: Depth=1
                                        ;     Child Loop BB105_32 Depth 2
	s_and_b64 vcc, exec, s[0:1]
	v_mov_b64_e32 v[12:13], s[16:17]
	v_mov_b64_e32 v[14:15], s[6:7]
	s_cbranch_vccnz .LBB105_34
; %bb.31:                               ;   in Loop: Header=BB105_30 Depth=1
	s_mov_b64 s[26:27], 0
	v_mov_b64_e32 v[12:13], s[16:17]
	v_mov_b64_e32 v[14:15], s[6:7]
.LBB105_32:                             ;   Parent Loop BB105_30 Depth=1
                                        ; =>  This Inner Loop Header: Depth=2
	v_lshl_add_u64 v[16:17], v[14:15], 0, v[12:13]
	v_lshrrev_b32_e32 v10, 31, v17
	v_lshl_add_u64 v[16:17], v[16:17], 0, v[10:11]
	v_ashrrev_i64 v[16:17], 1, v[16:17]
	v_lshl_add_u64 v[18:19], v[16:17], 3, s[8:9]
	global_load_dwordx2 v[18:19], v[18:19], off
	s_waitcnt vmcnt(0)
	v_subrev_co_u32_e32 v18, vcc, s20, v18
	s_nop 1
	v_subbrev_co_u32_e32 v19, vcc, 0, v19, vcc
	v_cmp_lt_i64_e32 vcc, v[0:1], v[18:19]
	s_nop 1
	v_cndmask_b32_e32 v15, v15, v17, vcc
	v_cndmask_b32_e32 v14, v14, v16, vcc
	;; [unrolled: 1-line block ×4, first 2 shown]
	v_lshl_add_u64 v[16:17], v[14:15], 0, -1
	v_cmp_ge_i64_e32 vcc, v[12:13], v[14:15]
	v_cmp_eq_u64_e64 s[2:3], v[12:13], v[16:17]
	s_or_b64 s[2:3], vcc, s[2:3]
	s_and_b64 s[2:3], exec, s[2:3]
	s_or_b64 s[26:27], s[2:3], s[26:27]
	s_andn2_b64 exec, exec, s[26:27]
	s_cbranch_execnz .LBB105_32
; %bb.33:                               ;   in Loop: Header=BB105_30 Depth=1
	s_or_b64 exec, exec, s[26:27]
.LBB105_34:                             ;   in Loop: Header=BB105_30 Depth=1
	v_lshl_add_u64 v[16:17], v[14:15], 3, s[8:9]
	global_load_dwordx2 v[16:17], v[16:17], off
	v_lshl_add_u64 v[18:19], v[0:1], 2, s[10:11]
	global_load_dword v10, v[18:19], off
	s_waitcnt vmcnt(1)
	v_subrev_co_u32_e32 v18, vcc, s20, v16
	s_nop 1
	v_subbrev_co_u32_e32 v19, vcc, 0, v17, vcc
	s_waitcnt vmcnt(0)
	v_subrev_u32_e32 v16, s20, v10
	v_cmp_lt_i64_e32 vcc, v[0:1], v[18:19]
	v_ashrrev_i32_e32 v17, 31, v16
	s_nop 0
	v_cndmask_b32_e32 v13, v15, v13, vcc
	v_cndmask_b32_e32 v12, v14, v12, vcc
	v_cmp_ne_u64_e32 vcc, v[12:13], v[16:17]
	s_and_saveexec_b64 s[2:3], vcc
	s_cbranch_execz .LBB105_29
; %bb.35:                               ;   in Loop: Header=BB105_30 Depth=1
	v_lshl_add_u64 v[14:15], v[0:1], 3, s[12:13]
	global_load_dwordx2 v[18:19], v[14:15], off
	v_lshl_add_u64 v[12:13], v[12:13], 4, s[14:15]
	global_load_dwordx4 v[12:15], v[12:13], off
	v_lshl_add_u64 v[16:17], v[16:17], 4, s[22:23]
	s_waitcnt vmcnt(1)
	v_fma_f64 v[20:21], v[2:3], v[18:19], v[6:7]
	v_fma_f64 v[18:19], v[4:5], v[18:19], v[8:9]
	s_waitcnt vmcnt(0)
	v_mul_f64 v[22:23], v[14:15], -v[18:19]
	v_mul_f64 v[14:15], v[20:21], v[14:15]
	v_fmac_f64_e32 v[22:23], v[20:21], v[12:13]
	v_fmac_f64_e32 v[14:15], v[18:19], v[12:13]
	global_atomic_add_f64 v[16:17], v[22:23], off
	global_atomic_add_f64 v[16:17], v[14:15], off offset:8
	s_branch .LBB105_29
.LBB105_36:
	s_endpgm
	.section	.rodata,"a",@progbits
	.p2align	6, 0x0
	.amdhsa_kernel _ZL33csrmvn_symm_large_adaptive_kernelIlid21rocsparse_complex_numIdES1_S1_EvbT_PKS2_N9rocsparse24const_host_device_scalarIT4_EES4_PKT0_PKT1_PKT2_S8_PT3_21rocsparse_index_base_b
		.amdhsa_group_segment_fixed_size 16384
		.amdhsa_private_segment_fixed_size 0
		.amdhsa_kernarg_size 104
		.amdhsa_user_sgpr_count 2
		.amdhsa_user_sgpr_dispatch_ptr 0
		.amdhsa_user_sgpr_queue_ptr 0
		.amdhsa_user_sgpr_kernarg_segment_ptr 1
		.amdhsa_user_sgpr_dispatch_id 0
		.amdhsa_user_sgpr_kernarg_preload_length 0
		.amdhsa_user_sgpr_kernarg_preload_offset 0
		.amdhsa_user_sgpr_private_segment_size 0
		.amdhsa_uses_dynamic_stack 0
		.amdhsa_enable_private_segment 0
		.amdhsa_system_sgpr_workgroup_id_x 1
		.amdhsa_system_sgpr_workgroup_id_y 0
		.amdhsa_system_sgpr_workgroup_id_z 0
		.amdhsa_system_sgpr_workgroup_info 0
		.amdhsa_system_vgpr_workitem_id 0
		.amdhsa_next_free_vgpr 28
		.amdhsa_next_free_sgpr 44
		.amdhsa_accum_offset 28
		.amdhsa_reserve_vcc 1
		.amdhsa_float_round_mode_32 0
		.amdhsa_float_round_mode_16_64 0
		.amdhsa_float_denorm_mode_32 3
		.amdhsa_float_denorm_mode_16_64 3
		.amdhsa_dx10_clamp 1
		.amdhsa_ieee_mode 1
		.amdhsa_fp16_overflow 0
		.amdhsa_tg_split 0
		.amdhsa_exception_fp_ieee_invalid_op 0
		.amdhsa_exception_fp_denorm_src 0
		.amdhsa_exception_fp_ieee_div_zero 0
		.amdhsa_exception_fp_ieee_overflow 0
		.amdhsa_exception_fp_ieee_underflow 0
		.amdhsa_exception_fp_ieee_inexact 0
		.amdhsa_exception_int_div_zero 0
	.end_amdhsa_kernel
	.section	.text._ZL33csrmvn_symm_large_adaptive_kernelIlid21rocsparse_complex_numIdES1_S1_EvbT_PKS2_N9rocsparse24const_host_device_scalarIT4_EES4_PKT0_PKT1_PKT2_S8_PT3_21rocsparse_index_base_b,"axG",@progbits,_ZL33csrmvn_symm_large_adaptive_kernelIlid21rocsparse_complex_numIdES1_S1_EvbT_PKS2_N9rocsparse24const_host_device_scalarIT4_EES4_PKT0_PKT1_PKT2_S8_PT3_21rocsparse_index_base_b,comdat
.Lfunc_end105:
	.size	_ZL33csrmvn_symm_large_adaptive_kernelIlid21rocsparse_complex_numIdES1_S1_EvbT_PKS2_N9rocsparse24const_host_device_scalarIT4_EES4_PKT0_PKT1_PKT2_S8_PT3_21rocsparse_index_base_b, .Lfunc_end105-_ZL33csrmvn_symm_large_adaptive_kernelIlid21rocsparse_complex_numIdES1_S1_EvbT_PKS2_N9rocsparse24const_host_device_scalarIT4_EES4_PKT0_PKT1_PKT2_S8_PT3_21rocsparse_index_base_b
                                        ; -- End function
	.set _ZL33csrmvn_symm_large_adaptive_kernelIlid21rocsparse_complex_numIdES1_S1_EvbT_PKS2_N9rocsparse24const_host_device_scalarIT4_EES4_PKT0_PKT1_PKT2_S8_PT3_21rocsparse_index_base_b.num_vgpr, 28
	.set _ZL33csrmvn_symm_large_adaptive_kernelIlid21rocsparse_complex_numIdES1_S1_EvbT_PKS2_N9rocsparse24const_host_device_scalarIT4_EES4_PKT0_PKT1_PKT2_S8_PT3_21rocsparse_index_base_b.num_agpr, 0
	.set _ZL33csrmvn_symm_large_adaptive_kernelIlid21rocsparse_complex_numIdES1_S1_EvbT_PKS2_N9rocsparse24const_host_device_scalarIT4_EES4_PKT0_PKT1_PKT2_S8_PT3_21rocsparse_index_base_b.numbered_sgpr, 44
	.set _ZL33csrmvn_symm_large_adaptive_kernelIlid21rocsparse_complex_numIdES1_S1_EvbT_PKS2_N9rocsparse24const_host_device_scalarIT4_EES4_PKT0_PKT1_PKT2_S8_PT3_21rocsparse_index_base_b.num_named_barrier, 0
	.set _ZL33csrmvn_symm_large_adaptive_kernelIlid21rocsparse_complex_numIdES1_S1_EvbT_PKS2_N9rocsparse24const_host_device_scalarIT4_EES4_PKT0_PKT1_PKT2_S8_PT3_21rocsparse_index_base_b.private_seg_size, 0
	.set _ZL33csrmvn_symm_large_adaptive_kernelIlid21rocsparse_complex_numIdES1_S1_EvbT_PKS2_N9rocsparse24const_host_device_scalarIT4_EES4_PKT0_PKT1_PKT2_S8_PT3_21rocsparse_index_base_b.uses_vcc, 1
	.set _ZL33csrmvn_symm_large_adaptive_kernelIlid21rocsparse_complex_numIdES1_S1_EvbT_PKS2_N9rocsparse24const_host_device_scalarIT4_EES4_PKT0_PKT1_PKT2_S8_PT3_21rocsparse_index_base_b.uses_flat_scratch, 0
	.set _ZL33csrmvn_symm_large_adaptive_kernelIlid21rocsparse_complex_numIdES1_S1_EvbT_PKS2_N9rocsparse24const_host_device_scalarIT4_EES4_PKT0_PKT1_PKT2_S8_PT3_21rocsparse_index_base_b.has_dyn_sized_stack, 0
	.set _ZL33csrmvn_symm_large_adaptive_kernelIlid21rocsparse_complex_numIdES1_S1_EvbT_PKS2_N9rocsparse24const_host_device_scalarIT4_EES4_PKT0_PKT1_PKT2_S8_PT3_21rocsparse_index_base_b.has_recursion, 0
	.set _ZL33csrmvn_symm_large_adaptive_kernelIlid21rocsparse_complex_numIdES1_S1_EvbT_PKS2_N9rocsparse24const_host_device_scalarIT4_EES4_PKT0_PKT1_PKT2_S8_PT3_21rocsparse_index_base_b.has_indirect_call, 0
	.section	.AMDGPU.csdata,"",@progbits
; Kernel info:
; codeLenInByte = 2044
; TotalNumSgprs: 50
; NumVgprs: 28
; NumAgprs: 0
; TotalNumVgprs: 28
; ScratchSize: 0
; MemoryBound: 0
; FloatMode: 240
; IeeeMode: 1
; LDSByteSize: 16384 bytes/workgroup (compile time only)
; SGPRBlocks: 6
; VGPRBlocks: 3
; NumSGPRsForWavesPerEU: 50
; NumVGPRsForWavesPerEU: 28
; AccumOffset: 28
; Occupancy: 8
; WaveLimiterHint : 1
; COMPUTE_PGM_RSRC2:SCRATCH_EN: 0
; COMPUTE_PGM_RSRC2:USER_SGPR: 2
; COMPUTE_PGM_RSRC2:TRAP_HANDLER: 0
; COMPUTE_PGM_RSRC2:TGID_X_EN: 1
; COMPUTE_PGM_RSRC2:TGID_Y_EN: 0
; COMPUTE_PGM_RSRC2:TGID_Z_EN: 0
; COMPUTE_PGM_RSRC2:TIDIG_COMP_CNT: 0
; COMPUTE_PGM_RSRC3_GFX90A:ACCUM_OFFSET: 6
; COMPUTE_PGM_RSRC3_GFX90A:TG_SPLIT: 0
	.section	.text._ZN9rocsparseL22csrmvn_adaptive_kernelIlld21rocsparse_complex_numIdES2_S2_EEvbT_PKS3_PjPKT0_NS_24const_host_device_scalarIT4_EES5_S9_PKT1_PKT2_SC_PT3_21rocsparse_index_base_b,"axG",@progbits,_ZN9rocsparseL22csrmvn_adaptive_kernelIlld21rocsparse_complex_numIdES2_S2_EEvbT_PKS3_PjPKT0_NS_24const_host_device_scalarIT4_EES5_S9_PKT1_PKT2_SC_PT3_21rocsparse_index_base_b,comdat
	.globl	_ZN9rocsparseL22csrmvn_adaptive_kernelIlld21rocsparse_complex_numIdES2_S2_EEvbT_PKS3_PjPKT0_NS_24const_host_device_scalarIT4_EES5_S9_PKT1_PKT2_SC_PT3_21rocsparse_index_base_b ; -- Begin function _ZN9rocsparseL22csrmvn_adaptive_kernelIlld21rocsparse_complex_numIdES2_S2_EEvbT_PKS3_PjPKT0_NS_24const_host_device_scalarIT4_EES5_S9_PKT1_PKT2_SC_PT3_21rocsparse_index_base_b
	.p2align	8
	.type	_ZN9rocsparseL22csrmvn_adaptive_kernelIlld21rocsparse_complex_numIdES2_S2_EEvbT_PKS3_PjPKT0_NS_24const_host_device_scalarIT4_EES5_S9_PKT1_PKT2_SC_PT3_21rocsparse_index_base_b,@function
_ZN9rocsparseL22csrmvn_adaptive_kernelIlld21rocsparse_complex_numIdES2_S2_EEvbT_PKS3_PjPKT0_NS_24const_host_device_scalarIT4_EES5_S9_PKT1_PKT2_SC_PT3_21rocsparse_index_base_b: ; @_ZN9rocsparseL22csrmvn_adaptive_kernelIlld21rocsparse_complex_numIdES2_S2_EEvbT_PKS3_PjPKT0_NS_24const_host_device_scalarIT4_EES5_S9_PKT1_PKT2_SC_PT3_21rocsparse_index_base_b
; %bb.0:
	s_load_dwordx2 s[4:5], s[0:1], 0x28
	s_load_dwordx2 s[44:45], s[0:1], 0x70
	s_add_u32 s3, s0, 40
	s_addc_u32 s8, s1, 0
	s_add_u32 s9, s0, 0x58
	s_load_dwordx2 s[6:7], s[0:1], 0x58
	s_addc_u32 s10, s1, 0
	s_waitcnt lgkmcnt(0)
	s_bitcmp1_b32 s45, 0
	s_cselect_b32 s5, s8, s5
	s_cselect_b32 s3, s3, s4
	v_mov_b32_e32 v2, s3
	v_mov_b32_e32 v3, s5
	flat_load_dwordx4 v[6:9], v[2:3]
	s_cselect_b32 s3, s10, s7
	s_cselect_b32 s4, s9, s6
	v_mov_b32_e32 v2, s4
	v_mov_b32_e32 v3, s3
	flat_load_dwordx4 v[2:5], v[2:3]
	s_waitcnt vmcnt(0) lgkmcnt(0)
	v_cmp_eq_f64_e32 vcc, 0, v[6:7]
	v_cmp_eq_f64_e64 s[4:5], 0, v[8:9]
	s_and_b64 s[8:9], vcc, s[4:5]
	s_mov_b64 s[4:5], -1
	s_and_saveexec_b64 s[6:7], s[8:9]
; %bb.1:
	v_cmp_neq_f64_e32 vcc, 1.0, v[2:3]
	v_cmp_neq_f64_e64 s[4:5], 0, v[4:5]
	s_or_b64 s[4:5], vcc, s[4:5]
	s_orn2_b64 s[4:5], s[4:5], exec
; %bb.2:
	s_or_b64 exec, exec, s[6:7]
	s_and_saveexec_b64 s[6:7], s[4:5]
	s_cbranch_execz .LBB106_114
; %bb.3:
	s_load_dwordx2 s[4:5], s[0:1], 0x10
	s_load_dwordx2 s[6:7], s[0:1], 0x20
	s_ashr_i32 s3, s2, 31
	s_lshl_b64 s[8:9], s[2:3], 3
	s_waitcnt lgkmcnt(0)
	s_add_u32 s4, s4, s8
	s_addc_u32 s5, s5, s9
	s_load_dwordx4 s[36:39], s[4:5], 0x0
	s_load_dwordx2 s[22:23], s[0:1], 0x68
	s_load_dwordx8 s[24:31], s[0:1], 0x38
	s_waitcnt lgkmcnt(0)
	s_sub_u32 s4, s38, s36
	s_subb_u32 s5, s39, s37
	s_add_u32 s6, s6, s8
	s_addc_u32 s7, s7, s9
	s_lshl_b64 s[8:9], s[36:37], 3
	s_add_u32 s42, s24, s8
	s_addc_u32 s43, s25, s9
	s_load_dwordx2 s[34:35], s[6:7], 0x0
	s_load_dwordx2 s[40:41], s[42:43], 0x0
	v_cmp_lt_i64_e64 s[8:9], s[4:5], 2
	s_mov_b64 s[6:7], -1
	s_and_b64 vcc, exec, s[8:9]
	s_cbranch_vccz .LBB106_70
; %bb.4:
	s_cmp_lg_u64 s[4:5], 1
	s_cselect_b64 s[4:5], -1, 0
	s_waitcnt lgkmcnt(0)
	s_cmp_lg_u64 s[34:35], 0
	s_cselect_b64 s[6:7], -1, 0
	s_or_b64 s[4:5], s[4:5], s[6:7]
	s_mov_b64 s[18:19], -1
	s_and_b64 vcc, exec, s[4:5]
	v_cmp_gt_u32_e64 s[4:5], 64, v0
	v_cmp_gt_u32_e64 s[6:7], 32, v0
	;; [unrolled: 1-line block ×6, first 2 shown]
	v_cmp_eq_u32_e64 s[16:17], 0, v0
	s_cbranch_vccnz .LBB106_32
; %bb.5:
	v_subrev_co_u32_e32 v14, vcc, s44, v0
	v_cmp_neq_f64_e64 s[20:21], 0, v[4:5]
	s_nop 0
	v_subb_co_u32_e64 v15, s[18:19], 0, 0, vcc
	s_mov_b32 s18, 0
	s_brev_b32 s19, 1
	v_mul_f64 v[16:17], v[8:9], s[18:19]
	s_movk_i32 s18, 0x80
	v_cmp_neq_f64_e32 vcc, 0, v[2:3]
	v_mov_b32_e32 v1, 0
	v_mul_f64 v[18:19], v[6:7], 0
	v_lshlrev_b32_e32 v28, 4, v0
	v_cmp_gt_u32_e64 s[18:19], s18, v0
	s_or_b64 s[20:21], vcc, s[20:21]
	s_mov_b64 s[46:47], 0x100
	s_mov_b64 s[48:49], 0x800
	v_mov_b64_e32 v[20:21], s[38:39]
	s_mov_b64 s[50:51], s[36:37]
	s_branch .LBB106_8
.LBB106_6:                              ;   in Loop: Header=BB106_8 Depth=1
	s_or_b64 exec, exec, s[54:55]
	s_lshl_b64 s[54:55], s[50:51], 4
	s_add_u32 s54, s22, s54
	s_addc_u32 s55, s23, s55
	s_waitcnt lgkmcnt(0)
	global_store_dwordx4 v1, v[10:13], s[54:55]
.LBB106_7:                              ;   in Loop: Header=BB106_8 Depth=1
	s_or_b64 exec, exec, s[52:53]
	s_add_u32 s50, s50, 1
	s_addc_u32 s51, s51, 0
	v_cmp_ge_i64_e32 vcc, s[50:51], v[20:21]
	s_cbranch_vccnz .LBB106_31
.LBB106_8:                              ; =>This Loop Header: Depth=1
                                        ;     Child Loop BB106_10 Depth 2
	s_lshl_b64 s[52:53], s[50:51], 3
	s_add_u32 s56, s24, s52
	s_addc_u32 s57, s25, s53
	s_load_dwordx4 s[52:55], s[56:57], 0x0
	v_mov_b64_e32 v[12:13], 0
	v_mov_b64_e32 v[10:11], 0
	s_waitcnt lgkmcnt(0)
	s_sub_u32 s54, s54, s44
	v_lshl_add_u64 v[22:23], s[52:53], 0, v[14:15]
	s_subb_u32 s55, s55, 0
	v_cmp_gt_i64_e32 vcc, s[54:55], v[22:23]
	s_and_saveexec_b64 s[52:53], vcc
	s_cbranch_execz .LBB106_12
; %bb.9:                                ;   in Loop: Header=BB106_8 Depth=1
	v_lshlrev_b64 v[10:11], 3, v[22:23]
	v_mov_b64_e32 v[12:13], 0
	v_lshl_add_u64 v[24:25], s[28:29], 0, v[10:11]
	v_lshl_add_u64 v[26:27], s[26:27], 0, v[10:11]
	s_mov_b64 s[56:57], 0
	v_mov_b64_e32 v[10:11], v[12:13]
.LBB106_10:                             ;   Parent Loop BB106_8 Depth=1
                                        ; =>  This Inner Loop Header: Depth=2
	global_load_dwordx2 v[30:31], v[26:27], off
	global_load_dwordx2 v[34:35], v[24:25], off
	v_lshl_add_u64 v[22:23], v[22:23], 0, s[46:47]
	v_lshl_add_u64 v[24:25], v[24:25], 0, s[48:49]
	v_lshl_add_u64 v[26:27], v[26:27], 0, s[48:49]
	s_waitcnt vmcnt(1)
	v_subrev_co_u32_e32 v30, vcc, s44, v30
	s_nop 1
	v_subbrev_co_u32_e32 v31, vcc, 0, v31, vcc
	v_lshl_add_u64 v[30:31], v[30:31], 4, s[30:31]
	global_load_dwordx4 v[30:33], v[30:31], off
	s_waitcnt vmcnt(1)
	v_fma_f64 v[36:37], v[6:7], v[34:35], v[16:17]
	v_fma_f64 v[34:35], v[8:9], v[34:35], v[18:19]
	v_cmp_le_i64_e32 vcc, s[54:55], v[22:23]
	s_or_b64 s[56:57], vcc, s[56:57]
	s_waitcnt vmcnt(0)
	v_fmac_f64_e32 v[10:11], v[36:37], v[30:31]
	v_fmac_f64_e32 v[12:13], v[34:35], v[30:31]
	v_fma_f64 v[10:11], -v[34:35], v[32:33], v[10:11]
	v_fmac_f64_e32 v[12:13], v[36:37], v[32:33]
	s_andn2_b64 exec, exec, s[56:57]
	s_cbranch_execnz .LBB106_10
; %bb.11:                               ;   in Loop: Header=BB106_8 Depth=1
	s_or_b64 exec, exec, s[56:57]
.LBB106_12:                             ;   in Loop: Header=BB106_8 Depth=1
	s_or_b64 exec, exec, s[52:53]
	ds_write_b128 v28, v[10:13]
	s_waitcnt lgkmcnt(0)
	s_barrier
	s_and_saveexec_b64 s[52:53], s[18:19]
	s_cbranch_execz .LBB106_14
; %bb.13:                               ;   in Loop: Header=BB106_8 Depth=1
	ds_read_b128 v[10:13], v28 offset:2048
	ds_read_b128 v[22:25], v28
	s_waitcnt lgkmcnt(0)
	v_add_f64 v[10:11], v[10:11], v[22:23]
	v_add_f64 v[12:13], v[12:13], v[24:25]
	ds_write_b128 v28, v[10:13]
.LBB106_14:                             ;   in Loop: Header=BB106_8 Depth=1
	s_or_b64 exec, exec, s[52:53]
	s_waitcnt lgkmcnt(0)
	s_barrier
	s_and_saveexec_b64 s[52:53], s[4:5]
	s_cbranch_execz .LBB106_16
; %bb.15:                               ;   in Loop: Header=BB106_8 Depth=1
	ds_read_b128 v[10:13], v28 offset:1024
	ds_read_b128 v[22:25], v28
	s_waitcnt lgkmcnt(0)
	v_add_f64 v[10:11], v[10:11], v[22:23]
	v_add_f64 v[12:13], v[12:13], v[24:25]
	ds_write_b128 v28, v[10:13]
.LBB106_16:                             ;   in Loop: Header=BB106_8 Depth=1
	s_or_b64 exec, exec, s[52:53]
	;; [unrolled: 13-line block ×6, first 2 shown]
	s_waitcnt lgkmcnt(0)
	s_barrier
	s_and_saveexec_b64 s[52:53], s[14:15]
	s_cbranch_execz .LBB106_26
; %bb.25:                               ;   in Loop: Header=BB106_8 Depth=1
	ds_read_b128 v[10:13], v28
	ds_read_b128 v[22:25], v28 offset:32
	s_waitcnt lgkmcnt(0)
	v_add_f64 v[10:11], v[22:23], v[10:11]
	v_add_f64 v[12:13], v[24:25], v[12:13]
	ds_write_b128 v28, v[10:13]
.LBB106_26:                             ;   in Loop: Header=BB106_8 Depth=1
	s_or_b64 exec, exec, s[52:53]
	s_waitcnt lgkmcnt(0)
	s_barrier
	s_and_saveexec_b64 s[52:53], s[16:17]
	s_cbranch_execz .LBB106_28
; %bb.27:                               ;   in Loop: Header=BB106_8 Depth=1
	ds_read_b128 v[10:13], v1
	ds_read_b128 v[22:25], v1 offset:16
	s_waitcnt lgkmcnt(0)
	v_add_f64 v[10:11], v[22:23], v[10:11]
	v_add_f64 v[12:13], v[24:25], v[12:13]
	ds_write_b128 v1, v[10:13]
.LBB106_28:                             ;   in Loop: Header=BB106_8 Depth=1
	s_or_b64 exec, exec, s[52:53]
	s_waitcnt lgkmcnt(0)
	s_barrier
	s_and_saveexec_b64 s[52:53], s[16:17]
	s_cbranch_execz .LBB106_7
; %bb.29:                               ;   in Loop: Header=BB106_8 Depth=1
	ds_read_b128 v[10:13], v1
	s_and_saveexec_b64 s[54:55], s[20:21]
	s_cbranch_execz .LBB106_6
; %bb.30:                               ;   in Loop: Header=BB106_8 Depth=1
	s_lshl_b64 s[56:57], s[50:51], 4
	s_add_u32 s56, s22, s56
	s_addc_u32 s57, s23, s57
	global_load_dwordx4 v[22:25], v1, s[56:57]
	s_waitcnt vmcnt(0) lgkmcnt(0)
	v_fmac_f64_e32 v[10:11], v[2:3], v[22:23]
	v_fmac_f64_e32 v[12:13], v[4:5], v[22:23]
	v_fma_f64 v[10:11], -v[4:5], v[24:25], v[10:11]
	v_fmac_f64_e32 v[12:13], v[2:3], v[24:25]
	s_branch .LBB106_6
.LBB106_31:
	s_mov_b64 s[18:19], 0
.LBB106_32:
	s_and_b64 vcc, exec, s[18:19]
	s_cbranch_vccz .LBB106_69
; %bb.33:
	s_load_dwordx2 s[6:7], s[0:1], 0x18
	s_sub_u32 s8, s2, s34
	s_subb_u32 s9, s3, s35
	s_lshl_b64 s[2:3], s[2:3], 2
	v_mov_b32_e32 v1, 0
	s_waitcnt lgkmcnt(0)
	s_add_u32 s4, s6, s2
	s_addc_u32 s5, s7, s3
	global_load_dword v24, v1, s[4:5]
	s_cmp_lg_u64 s[34:35], 0
	s_cselect_b64 s[10:11], -1, 0
	s_cmp_eq_u64 s[34:35], 0
	s_cselect_b64 s[2:3], -1, 0
	v_cmp_eq_u32_e32 vcc, 0, v0
	s_and_b64 s[2:3], vcc, s[2:3]
	v_mov_b64_e32 v[10:11], 0
	v_mov_b64_e32 v[12:13], 0
	s_and_saveexec_b64 s[12:13], s[2:3]
	s_cbranch_execz .LBB106_37
; %bb.34:
	s_lshl_b64 s[2:3], s[36:37], 4
	s_add_u32 s2, s22, s2
	s_addc_u32 s3, s23, s3
	global_load_dwordx4 v[14:17], v1, s[2:3]
	s_mov_b64 s[14:15], exec
	v_mbcnt_lo_u32_b32 v10, s14, 0
	v_add_f64 v[18:19], v[2:3], -1.0
	v_mbcnt_hi_u32_b32 v20, s15, v10
	v_cmp_eq_u32_e64 s[2:3], 0, v20
	s_waitcnt vmcnt(0) expcnt(0) lgkmcnt(0)
	v_mul_f64 v[10:11], v[16:17], -v[4:5]
	v_mul_f64 v[12:13], v[18:19], v[16:17]
	s_and_saveexec_b64 s[16:17], s[2:3]
	s_cbranch_execz .LBB106_36
; %bb.35:
	s_lshl_b64 s[2:3], s[8:9], 2
	s_add_u32 s2, s6, s2
	s_addc_u32 s3, s7, s3
	s_bcnt1_i32_b64 s14, s[14:15]
	s_and_b32 s14, s14, 1
	v_mov_b32_e32 v16, 0
	v_mov_b32_e32 v17, s14
	global_atomic_xor v16, v17, s[2:3]
.LBB106_36:
	s_or_b64 exec, exec, s[16:17]
	v_fmac_f64_e32 v[10:11], v[18:19], v[14:15]
	v_fmac_f64_e32 v[12:13], v[4:5], v[14:15]
.LBB106_37:
	s_or_b64 exec, exec, s[12:13]
	s_mul_i32 s2, s35, 0xc00
	s_mul_hi_u32 s3, s34, 0xc00
	s_add_i32 s12, s3, s2
	s_load_dwordx2 s[2:3], s[42:43], 0x8
	s_sub_u32 s14, s40, s44
	s_mul_i32 s13, s34, 0xc00
	s_subb_u32 s15, s41, 0
	s_add_u32 s16, s14, s13
	s_addc_u32 s17, s15, s12
	s_waitcnt lgkmcnt(0)
	s_sub_u32 s14, s2, s44
	s_subb_u32 s15, s3, 0
	v_lshl_add_u64 v[14:15], s[16:17], 0, v[0:1]
	v_cmp_gt_i64_e64 s[2:3], s[14:15], v[14:15]
	s_and_saveexec_b64 s[12:13], s[2:3]
	s_cbranch_execz .LBB106_41
; %bb.38:
	s_add_u32 s16, s16, 0xc00
	s_addc_u32 s17, s17, 0
	v_mov_b64_e32 v[16:17], s[14:15]
	v_cmp_lt_i64_e64 s[2:3], s[16:17], v[16:17]
	s_and_b64 s[2:3], s[2:3], exec
	s_mov_b32 s2, 0
	s_brev_b32 s3, 1
	v_lshlrev_b64 v[22:23], 3, v[14:15]
	s_cselect_b32 s15, s17, s15
	s_cselect_b32 s14, s16, s14
	v_mul_f64 v[16:17], v[8:9], s[2:3]
	s_mov_b64 s[16:17], 0
	v_mul_f64 v[18:19], v[6:7], 0
	v_lshl_add_u64 v[20:21], s[28:29], 0, v[22:23]
	v_lshl_add_u64 v[22:23], s[26:27], 0, v[22:23]
	s_mov_b64 s[18:19], 0x100
	s_mov_b64 s[20:21], 0x800
.LBB106_39:                             ; =>This Inner Loop Header: Depth=1
	global_load_dwordx2 v[26:27], v[22:23], off
	global_load_dwordx2 v[30:31], v[20:21], off
	v_lshl_add_u64 v[14:15], v[14:15], 0, s[18:19]
	v_lshl_add_u64 v[20:21], v[20:21], 0, s[20:21]
	;; [unrolled: 1-line block ×3, first 2 shown]
	s_waitcnt vmcnt(1)
	v_subrev_co_u32_e64 v26, s[2:3], s44, v26
	s_nop 1
	v_subbrev_co_u32_e64 v27, s[2:3], 0, v27, s[2:3]
	v_lshl_add_u64 v[26:27], v[26:27], 4, s[30:31]
	global_load_dwordx4 v[26:29], v[26:27], off
	s_waitcnt vmcnt(1)
	v_fma_f64 v[32:33], v[6:7], v[30:31], v[16:17]
	v_fma_f64 v[30:31], v[8:9], v[30:31], v[18:19]
	v_cmp_le_i64_e64 s[2:3], s[14:15], v[14:15]
	s_or_b64 s[16:17], s[2:3], s[16:17]
	s_waitcnt vmcnt(0)
	v_fmac_f64_e32 v[10:11], v[32:33], v[26:27]
	v_fmac_f64_e32 v[12:13], v[30:31], v[26:27]
	v_fma_f64 v[10:11], -v[30:31], v[28:29], v[10:11]
	v_fmac_f64_e32 v[12:13], v[32:33], v[28:29]
	s_andn2_b64 exec, exec, s[16:17]
	s_cbranch_execnz .LBB106_39
; %bb.40:
	s_or_b64 exec, exec, s[16:17]
.LBB106_41:
	s_or_b64 exec, exec, s[12:13]
	s_movk_i32 s2, 0x80
	v_lshlrev_b32_e32 v1, 4, v0
	v_cmp_gt_u32_e64 s[2:3], s2, v0
	ds_write_b128 v1, v[10:13]
	s_waitcnt lgkmcnt(0)
	s_barrier
	s_and_saveexec_b64 s[12:13], s[2:3]
	s_cbranch_execz .LBB106_43
; %bb.42:
	ds_read_b128 v[10:13], v1 offset:2048
	ds_read_b128 v[14:17], v1
	s_waitcnt lgkmcnt(0)
	v_add_f64 v[10:11], v[10:11], v[14:15]
	v_add_f64 v[12:13], v[12:13], v[16:17]
	ds_write_b128 v1, v[10:13]
.LBB106_43:
	s_or_b64 exec, exec, s[12:13]
	v_cmp_gt_u32_e64 s[2:3], 64, v0
	s_waitcnt lgkmcnt(0)
	s_barrier
	s_and_saveexec_b64 s[12:13], s[2:3]
	s_cbranch_execz .LBB106_45
; %bb.44:
	ds_read_b128 v[10:13], v1 offset:1024
	ds_read_b128 v[14:17], v1
	s_waitcnt lgkmcnt(0)
	v_add_f64 v[10:11], v[10:11], v[14:15]
	v_add_f64 v[12:13], v[12:13], v[16:17]
	ds_write_b128 v1, v[10:13]
.LBB106_45:
	s_or_b64 exec, exec, s[12:13]
	v_cmp_gt_u32_e64 s[2:3], 32, v0
	;; [unrolled: 14-line block ×6, first 2 shown]
	s_waitcnt lgkmcnt(0)
	s_barrier
	s_and_saveexec_b64 s[12:13], s[2:3]
	s_cbranch_execz .LBB106_55
; %bb.54:
	ds_read_b128 v[10:13], v1
	ds_read_b128 v[14:17], v1 offset:32
	s_waitcnt lgkmcnt(0)
	v_add_f64 v[10:11], v[14:15], v[10:11]
	v_add_f64 v[12:13], v[16:17], v[12:13]
	ds_write_b128 v1, v[10:13]
.LBB106_55:
	s_or_b64 exec, exec, s[12:13]
	s_waitcnt lgkmcnt(0)
	s_barrier
	s_and_saveexec_b64 s[2:3], vcc
	s_cbranch_execz .LBB106_57
; %bb.56:
	v_mov_b32_e32 v1, 0
	ds_read_b128 v[10:13], v1
	ds_read_b128 v[14:17], v1 offset:16
	s_waitcnt lgkmcnt(0)
	v_add_f64 v[10:11], v[14:15], v[10:11]
	v_add_f64 v[12:13], v[16:17], v[12:13]
	ds_write_b128 v1, v[10:13]
.LBB106_57:
	s_or_b64 exec, exec, s[2:3]
	s_waitcnt lgkmcnt(0)
	s_barrier
	s_and_saveexec_b64 s[2:3], vcc
	s_cbranch_execz .LBB106_68
; %bb.58:
	s_andn2_b64 vcc, exec, s[10:11]
	s_cbranch_vccnz .LBB106_64
; %bb.59:
	s_lshl_b64 s[8:9], s[8:9], 2
	s_add_u32 s6, s6, s8
	s_addc_u32 s7, s7, s9
	v_mov_b32_e32 v1, 0
	s_branch .LBB106_61
.LBB106_60:                             ;   in Loop: Header=BB106_61 Depth=1
	s_or_b64 exec, exec, s[8:9]
	s_waitcnt vmcnt(0)
	v_readfirstlane_b32 s8, v10
	s_nop 1
	v_cmp_eq_u32_e32 vcc, s8, v24
	s_cbranch_vccz .LBB106_63
.LBB106_61:                             ; =>This Inner Loop Header: Depth=1
	v_mbcnt_lo_u32_b32 v10, exec_lo, 0
	v_mbcnt_hi_u32_b32 v10, exec_hi, v10
	v_cmp_eq_u32_e32 vcc, 0, v10
                                        ; implicit-def: $vgpr10
	s_and_saveexec_b64 s[8:9], vcc
	s_cbranch_execz .LBB106_60
; %bb.62:                               ;   in Loop: Header=BB106_61 Depth=1
	global_load_dword v10, v1, s[6:7] sc1
	s_branch .LBB106_60
.LBB106_63:
	v_mov_b32_e32 v1, 0
	global_load_ushort v10, v1, s[4:5]
	s_waitcnt vmcnt(0)
	v_xor_b32_e32 v10, 1, v10
	global_store_short v1, v10, s[4:5]
.LBB106_64:
	v_mov_b32_e32 v1, 0
	ds_read_b128 v[10:13], v1
	s_mov_b64 s[6:7], exec
	s_lshl_b64 s[4:5], s[36:37], 4
	v_mbcnt_lo_u32_b32 v14, s6, 0
	s_add_u32 s4, s22, s4
	v_mbcnt_hi_u32_b32 v14, s7, v14
	s_addc_u32 s5, s23, s5
	v_cmp_eq_u32_e32 vcc, 0, v14
	s_and_saveexec_b64 s[8:9], vcc
	s_cbranch_execz .LBB106_66
; %bb.65:
	s_bcnt1_i32_b64 s6, s[6:7]
	v_cvt_f64_u32_e32 v[14:15], s6
	s_waitcnt lgkmcnt(0)
	v_mul_f64 v[10:11], v[10:11], v[14:15]
	global_atomic_add_f64 v1, v[10:11], s[4:5]
.LBB106_66:
	s_or_b64 exec, exec, s[8:9]
	s_mov_b64 s[6:7], exec
	v_mbcnt_lo_u32_b32 v1, s6, 0
	v_mbcnt_hi_u32_b32 v1, s7, v1
	v_cmp_eq_u32_e32 vcc, 0, v1
	s_and_b64 s[8:9], exec, vcc
	s_mov_b64 exec, s[8:9]
	s_cbranch_execz .LBB106_68
; %bb.67:
	s_bcnt1_i32_b64 s6, s[6:7]
	s_waitcnt lgkmcnt(0)
	v_cvt_f64_u32_e32 v[10:11], s6
	v_mul_f64 v[10:11], v[12:13], v[10:11]
	v_mov_b32_e32 v1, 0
	global_atomic_add_f64 v1, v[10:11], s[4:5] offset:8
.LBB106_68:
	s_or_b64 exec, exec, s[2:3]
.LBB106_69:
	s_mov_b64 s[6:7], 0
.LBB106_70:
	s_andn2_b64 vcc, exec, s[6:7]
	s_cbranch_vccnz .LBB106_114
; %bb.71:
	s_load_dwordx2 s[0:1], s[0:1], 0x8
	s_waitcnt lgkmcnt(0)
	v_subrev_co_u32_e32 v10, vcc, s44, v0
	v_mov_b32_e32 v1, 0
	s_nop 0
	v_subb_co_u32_e64 v11, s[2:3], 0, 0, vcc
	v_lshl_add_u64 v[10:11], s[40:41], 0, v[10:11]
	s_mov_b64 s[2:3], 0x300
	v_lshl_add_u64 v[12:13], v[10:11], 0, s[2:3]
	v_cmp_le_i64_e32 vcc, s[0:1], v[12:13]
	s_and_saveexec_b64 s[0:1], vcc
	s_xor_b64 s[0:1], exec, s[0:1]
	s_cbranch_execz .LBB106_76
; %bb.72:
	s_lshl_b64 s[2:3], s[38:39], 3
	s_add_u32 s2, s24, s2
	s_addc_u32 s3, s25, s3
	s_load_dwordx2 s[2:3], s[2:3], 0x0
	s_waitcnt lgkmcnt(0)
	s_sub_u32 s2, s2, s44
	s_subb_u32 s3, s3, 0
	v_cmp_gt_i64_e32 vcc, s[2:3], v[10:11]
	s_and_saveexec_b64 s[4:5], vcc
	s_cbranch_execz .LBB106_75
; %bb.73:
	s_mov_b32 s6, 0
	s_brev_b32 s7, 1
	v_lshlrev_b64 v[18:19], 3, v[10:11]
	v_lshlrev_b32_e32 v20, 4, v0
	v_mul_f64 v[12:13], v[8:9], s[6:7]
	s_mov_b64 s[6:7], 0
	v_mul_f64 v[14:15], v[6:7], 0
	v_lshl_add_u64 v[16:17], s[28:29], 0, v[18:19]
	v_lshl_add_u64 v[18:19], s[26:27], 0, v[18:19]
	s_mov_b64 s[8:9], 0x100
	s_mov_b64 s[10:11], 0x800
.LBB106_74:                             ; =>This Inner Loop Header: Depth=1
	global_load_dwordx2 v[22:23], v[18:19], off
	global_load_dwordx2 v[26:27], v[16:17], off
	v_lshl_add_u64 v[10:11], v[10:11], 0, s[8:9]
	v_lshl_add_u64 v[16:17], v[16:17], 0, s[10:11]
	;; [unrolled: 1-line block ×3, first 2 shown]
	s_waitcnt vmcnt(1)
	v_subrev_co_u32_e32 v22, vcc, s44, v22
	s_nop 1
	v_subbrev_co_u32_e32 v23, vcc, 0, v23, vcc
	v_lshl_add_u64 v[22:23], v[22:23], 4, s[30:31]
	global_load_dwordx4 v[22:25], v[22:23], off
	s_waitcnt vmcnt(1)
	v_fma_f64 v[30:31], v[6:7], v[26:27], v[12:13]
	v_fma_f64 v[32:33], v[8:9], v[26:27], v[14:15]
	v_cmp_le_i64_e32 vcc, s[2:3], v[10:11]
	s_or_b64 s[6:7], vcc, s[6:7]
	s_waitcnt vmcnt(0)
	v_mul_f64 v[26:27], v[24:25], -v[32:33]
	v_mul_f64 v[28:29], v[30:31], v[24:25]
	v_fmac_f64_e32 v[26:27], v[30:31], v[22:23]
	v_fmac_f64_e32 v[28:29], v[32:33], v[22:23]
	ds_write_b128 v20, v[26:29]
	v_add_u32_e32 v20, 0x1000, v20
	s_andn2_b64 exec, exec, s[6:7]
	s_cbranch_execnz .LBB106_74
.LBB106_75:
	s_or_b64 exec, exec, s[4:5]
                                        ; implicit-def: $vgpr8_vgpr9
                                        ; implicit-def: $vgpr10_vgpr11
.LBB106_76:
	s_or_saveexec_b64 s[0:1], s[0:1]
	v_lshlrev_b32_e32 v18, 4, v0
	s_xor_b64 exec, exec, s[0:1]
	s_cbranch_execz .LBB106_78
; %bb.77:
	v_lshlrev_b64 v[10:11], 3, v[10:11]
	v_lshl_add_u64 v[12:13], s[26:27], 0, v[10:11]
	global_load_dwordx2 v[14:15], v[12:13], off
	global_load_dwordx2 v[16:17], v[12:13], off offset:2048
	s_movk_i32 s2, 0x1000
	v_add_co_u32_e32 v12, vcc, s2, v12
	v_lshl_add_u64 v[10:11], s[28:29], 0, v[10:11]
	s_nop 0
	v_addc_co_u32_e32 v13, vcc, 0, v13, vcc
	global_load_dwordx2 v[20:21], v[12:13], off
	global_load_dwordx2 v[22:23], v[12:13], off offset:2048
	global_load_dwordx2 v[28:29], v[10:11], off
	global_load_dwordx2 v[30:31], v[10:11], off offset:2048
	v_add_co_u32_e32 v10, vcc, s2, v10
	s_mov_b32 s2, 0
	s_nop 0
	v_addc_co_u32_e32 v11, vcc, 0, v11, vcc
	global_load_dwordx2 v[32:33], v[10:11], off
	global_load_dwordx2 v[34:35], v[10:11], off offset:2048
	s_brev_b32 s3, 1
	v_mul_f64 v[36:37], v[6:7], 0
	v_mul_f64 v[38:39], v[8:9], s[2:3]
	s_waitcnt vmcnt(7)
	v_subrev_co_u32_e32 v10, vcc, s44, v14
	s_nop 1
	v_subbrev_co_u32_e32 v11, vcc, 0, v15, vcc
	s_waitcnt vmcnt(6)
	v_subrev_co_u32_e32 v12, vcc, s44, v16
	v_lshl_add_u64 v[10:11], v[10:11], 4, s[30:31]
	s_nop 0
	v_subbrev_co_u32_e32 v13, vcc, 0, v17, vcc
	s_waitcnt vmcnt(5)
	v_subrev_co_u32_e32 v20, vcc, s44, v20
	v_lshl_add_u64 v[14:15], v[12:13], 4, s[30:31]
	s_nop 0
	v_subbrev_co_u32_e32 v21, vcc, 0, v21, vcc
	s_waitcnt vmcnt(4)
	v_subrev_co_u32_e32 v24, vcc, s44, v22
	global_load_dwordx4 v[10:13], v[10:11], off
	s_nop 0
	v_subbrev_co_u32_e32 v25, vcc, 0, v23, vcc
	v_lshl_add_u64 v[20:21], v[20:21], 4, s[30:31]
	global_load_dwordx4 v[14:17], v[14:15], off
	v_lshl_add_u64 v[24:25], v[24:25], 4, s[30:31]
	global_load_dwordx4 v[20:23], v[20:21], off
	s_waitcnt vmcnt(6)
	v_fma_f64 v[40:41], v[6:7], v[28:29], v[38:39]
	global_load_dwordx4 v[24:27], v[24:25], off
	v_fma_f64 v[42:43], v[8:9], v[28:29], v[36:37]
	s_waitcnt vmcnt(6)
	v_fma_f64 v[44:45], v[6:7], v[30:31], v[38:39]
	v_fma_f64 v[46:47], v[8:9], v[30:31], v[36:37]
	s_waitcnt vmcnt(5)
	v_fma_f64 v[48:49], v[6:7], v[32:33], v[38:39]
	v_fma_f64 v[32:33], v[8:9], v[32:33], v[36:37]
	s_waitcnt vmcnt(4)
	v_fmac_f64_e32 v[38:39], v[6:7], v[34:35]
	v_fmac_f64_e32 v[36:37], v[8:9], v[34:35]
	s_waitcnt vmcnt(3)
	v_mul_f64 v[6:7], v[12:13], -v[42:43]
	v_mul_f64 v[8:9], v[40:41], v[12:13]
	v_fmac_f64_e32 v[6:7], v[40:41], v[10:11]
	v_fmac_f64_e32 v[8:9], v[42:43], v[10:11]
	s_waitcnt vmcnt(2)
	v_mul_f64 v[28:29], v[16:17], -v[46:47]
	v_mul_f64 v[30:31], v[44:45], v[16:17]
	s_waitcnt vmcnt(1)
	v_mul_f64 v[10:11], v[22:23], -v[32:33]
	v_mul_f64 v[12:13], v[48:49], v[22:23]
	v_fmac_f64_e32 v[28:29], v[44:45], v[14:15]
	v_fmac_f64_e32 v[30:31], v[46:47], v[14:15]
	s_waitcnt vmcnt(0)
	v_mul_f64 v[14:15], v[26:27], -v[36:37]
	v_mul_f64 v[16:17], v[38:39], v[26:27]
	v_fmac_f64_e32 v[10:11], v[48:49], v[20:21]
	v_fmac_f64_e32 v[12:13], v[32:33], v[20:21]
	ds_write_b128 v18, v[6:9]
	ds_write_b128 v18, v[28:31] offset:4096
	v_fmac_f64_e32 v[14:15], v[38:39], v[24:25]
	v_fmac_f64_e32 v[16:17], v[36:37], v[24:25]
	ds_write_b128 v18, v[10:13] offset:8192
	ds_write_b128 v18, v[14:17] offset:12288
.LBB106_78:
	s_or_b64 exec, exec, s[0:1]
	v_cmp_lt_i64_e64 s[2:3], s[34:35], 2
	s_mov_b64 s[0:1], -1
	s_and_b64 vcc, exec, s[2:3]
	s_waitcnt lgkmcnt(0)
	s_barrier
	s_cbranch_vccz .LBB106_89
; %bb.79:
	v_lshl_add_u64 v[14:15], s[36:37], 0, v[0:1]
	v_cmp_gt_i64_e32 vcc, s[38:39], v[14:15]
	s_and_saveexec_b64 s[2:3], vcc
	s_cbranch_execz .LBB106_88
; %bb.80:
	v_cmp_neq_f64_e32 vcc, 0, v[2:3]
	v_cmp_neq_f64_e64 s[0:1], 0, v[4:5]
	s_lshl_b32 s6, s40, 4
	s_mov_b64 s[4:5], 0
	s_or_b64 s[0:1], vcc, s[0:1]
	s_sub_i32 s12, 0, s6
	s_mov_b64 s[6:7], 0x100
	s_branch .LBB106_82
.LBB106_81:                             ;   in Loop: Header=BB106_82 Depth=1
	s_or_b64 exec, exec, s[8:9]
	v_lshl_add_u64 v[14:15], v[14:15], 0, s[6:7]
	v_cmp_le_i64_e32 vcc, s[38:39], v[14:15]
	s_or_b64 s[4:5], vcc, s[4:5]
	global_store_dwordx4 v[10:11], v[6:9], off
	s_andn2_b64 exec, exec, s[4:5]
	s_cbranch_execz .LBB106_88
.LBB106_82:                             ; =>This Loop Header: Depth=1
                                        ;     Child Loop BB106_84 Depth 2
	v_lshl_add_u64 v[6:7], v[14:15], 3, s[24:25]
	global_load_dwordx4 v[10:13], v[6:7], off
	v_mov_b64_e32 v[8:9], 0
	v_mov_b64_e32 v[6:7], 0
	s_waitcnt vmcnt(0)
	v_cmp_lt_i64_e32 vcc, v[10:11], v[12:13]
	s_and_saveexec_b64 s[8:9], vcc
	s_cbranch_execz .LBB106_86
; %bb.83:                               ;   in Loop: Header=BB106_82 Depth=1
	v_mov_b32_e32 v1, s41
	v_subrev_co_u32_e32 v12, vcc, s40, v12
	v_mov_b64_e32 v[8:9], 0
	s_nop 0
	v_subb_co_u32_e32 v13, vcc, v13, v1, vcc
	v_subrev_co_u32_e32 v16, vcc, s40, v10
	s_mov_b64 s[10:11], 0
	s_nop 0
	v_subb_co_u32_e32 v17, vcc, v11, v1, vcc
	v_lshl_add_u32 v1, v10, 4, s12
	v_mov_b64_e32 v[6:7], v[8:9]
.LBB106_84:                             ;   Parent Loop BB106_82 Depth=1
                                        ; =>  This Inner Loop Header: Depth=2
	ds_read_b128 v[20:23], v1
	v_lshl_add_u64 v[16:17], v[16:17], 0, 1
	v_cmp_ge_i64_e32 vcc, v[16:17], v[12:13]
	v_add_u32_e32 v1, 16, v1
	s_or_b64 s[10:11], vcc, s[10:11]
	s_waitcnt lgkmcnt(0)
	v_add_f64 v[6:7], v[6:7], v[20:21]
	v_add_f64 v[8:9], v[8:9], v[22:23]
	s_andn2_b64 exec, exec, s[10:11]
	s_cbranch_execnz .LBB106_84
; %bb.85:                               ;   in Loop: Header=BB106_82 Depth=1
	s_or_b64 exec, exec, s[10:11]
.LBB106_86:                             ;   in Loop: Header=BB106_82 Depth=1
	s_or_b64 exec, exec, s[8:9]
	v_lshl_add_u64 v[10:11], v[14:15], 4, s[22:23]
	s_and_saveexec_b64 s[8:9], s[0:1]
	s_cbranch_execz .LBB106_81
; %bb.87:                               ;   in Loop: Header=BB106_82 Depth=1
	global_load_dwordx4 v[20:23], v[10:11], off
	s_waitcnt vmcnt(0)
	v_fmac_f64_e32 v[6:7], v[2:3], v[20:21]
	v_fmac_f64_e32 v[8:9], v[4:5], v[20:21]
	v_fma_f64 v[6:7], -v[4:5], v[22:23], v[6:7]
	v_fmac_f64_e32 v[8:9], v[2:3], v[22:23]
	s_branch .LBB106_81
.LBB106_88:
	s_or_b64 exec, exec, s[2:3]
	s_mov_b64 s[0:1], 0
.LBB106_89:
	s_andn2_b64 vcc, exec, s[0:1]
	s_cbranch_vccnz .LBB106_114
; %bb.90:
	s_flbit_i32_b32 s0, s34
	s_min_u32 s0, s0, 32
	s_sub_i32 s0, 31, s0
	v_lshrrev_b32_e32 v12, s0, v0
	v_mov_b32_e32 v13, 0
	v_lshl_add_u64 v[10:11], s[36:37], 0, v[12:13]
	s_add_i32 s0, s34, -1
	v_mov_b64_e32 v[6:7], 0
	v_and_b32_e32 v0, s0, v0
	v_mov_b32_e32 v1, v13
	v_cmp_le_i64_e64 s[0:1], s[38:39], v[10:11]
	v_cmp_gt_i64_e32 vcc, s[38:39], v[10:11]
	v_mov_b64_e32 v[8:9], v[6:7]
	s_and_saveexec_b64 s[2:3], vcc
	s_cbranch_execz .LBB106_96
; %bb.91:
	v_lshlrev_b32_e32 v6, 3, v12
	global_load_dwordx4 v[14:17], v6, s[42:43]
	v_mov_b32_e32 v7, s41
	v_subrev_co_u32_e32 v6, vcc, s40, v0
	v_mov_b32_e32 v13, s41
	s_nop 0
	v_subb_co_u32_e32 v7, vcc, 0, v7, vcc
	v_mov_b64_e32 v[8:9], 0
	s_waitcnt vmcnt(0)
	v_subrev_co_u32_e32 v12, vcc, s40, v16
	s_nop 1
	v_subb_co_u32_e32 v13, vcc, v17, v13, vcc
	v_lshl_add_u64 v[14:15], v[14:15], 0, v[6:7]
	v_cmp_lt_i64_e32 vcc, v[14:15], v[12:13]
	v_mov_b64_e32 v[6:7], 0
	s_and_saveexec_b64 s[4:5], vcc
	s_cbranch_execz .LBB106_95
; %bb.92:
	v_mov_b64_e32 v[8:9], 0
	v_lshlrev_b32_e32 v16, 4, v14
	s_lshl_b32 s8, s34, 4
	s_mov_b64 s[6:7], 0
	v_mov_b64_e32 v[6:7], v[8:9]
.LBB106_93:                             ; =>This Inner Loop Header: Depth=1
	ds_read_b128 v[20:23], v16
	v_lshl_add_u64 v[14:15], v[14:15], 0, s[34:35]
	v_cmp_ge_i64_e32 vcc, v[14:15], v[12:13]
	v_add_u32_e32 v16, s8, v16
	s_or_b64 s[6:7], vcc, s[6:7]
	s_waitcnt lgkmcnt(0)
	v_add_f64 v[6:7], v[6:7], v[20:21]
	v_add_f64 v[8:9], v[8:9], v[22:23]
	s_andn2_b64 exec, exec, s[6:7]
	s_cbranch_execnz .LBB106_93
; %bb.94:
	s_or_b64 exec, exec, s[6:7]
.LBB106_95:
	s_or_b64 exec, exec, s[4:5]
.LBB106_96:
	s_or_b64 exec, exec, s[2:3]
	v_mov_b64_e32 v[12:13], 0x81
	v_cmp_lt_u64_e32 vcc, s[34:35], v[12:13]
	s_and_b64 vcc, exec, vcc
	s_barrier
	ds_write_b128 v18, v[6:9]
	s_waitcnt lgkmcnt(0)
	s_barrier
	s_cbranch_vccnz .LBB106_98
; %bb.97:
	ds_read_b128 v[12:15], v18 offset:2048
	s_waitcnt lgkmcnt(0)
	s_barrier
	v_add_f64 v[6:7], v[6:7], v[12:13]
	v_add_f64 v[8:9], v[8:9], v[14:15]
	ds_write_b128 v18, v[6:9]
.LBB106_98:
	v_mov_b64_e32 v[12:13], 0x41
	v_cmp_lt_u64_e32 vcc, s[34:35], v[12:13]
	s_waitcnt lgkmcnt(0)
	s_barrier
	s_cbranch_vccnz .LBB106_100
; %bb.99:
	ds_read_b128 v[12:15], v18 offset:1024
	s_waitcnt lgkmcnt(0)
	s_barrier
	v_add_f64 v[6:7], v[6:7], v[12:13]
	v_add_f64 v[8:9], v[8:9], v[14:15]
	ds_write_b128 v18, v[6:9]
.LBB106_100:
	v_cmp_lt_u64_e64 s[2:3], s[34:35], 33
	s_and_b64 vcc, exec, s[2:3]
	s_waitcnt lgkmcnt(0)
	s_barrier
	s_cbranch_vccnz .LBB106_102
; %bb.101:
	ds_read_b128 v[12:15], v18 offset:512
	s_waitcnt lgkmcnt(0)
	s_barrier
	v_add_f64 v[6:7], v[6:7], v[12:13]
	v_add_f64 v[8:9], v[8:9], v[14:15]
	ds_write_b128 v18, v[6:9]
.LBB106_102:
	v_cmp_lt_u64_e64 s[2:3], s[34:35], 17
	s_and_b64 vcc, exec, s[2:3]
	;; [unrolled: 13-line block ×4, first 2 shown]
	s_waitcnt lgkmcnt(0)
	s_barrier
	s_cbranch_vccnz .LBB106_108
; %bb.107:
	ds_read_b128 v[12:15], v18 offset:64
	s_waitcnt lgkmcnt(0)
	s_barrier
	v_add_f64 v[6:7], v[6:7], v[12:13]
	v_add_f64 v[8:9], v[8:9], v[14:15]
	ds_write_b128 v18, v[6:9]
.LBB106_108:
	s_cmp_eq_u64 s[34:35], 2
	s_waitcnt lgkmcnt(0)
	s_barrier
	s_cbranch_scc1 .LBB106_110
; %bb.109:
	ds_read_b128 v[12:15], v18 offset:32
	s_waitcnt lgkmcnt(0)
	s_barrier
	v_add_f64 v[6:7], v[6:7], v[12:13]
	v_add_f64 v[8:9], v[8:9], v[14:15]
	ds_write_b128 v18, v[6:9]
.LBB106_110:
	s_waitcnt lgkmcnt(0)
	s_barrier
	ds_read_b128 v[12:15], v18 offset:16
	v_cmp_eq_u64_e32 vcc, 0, v[0:1]
	s_xor_b64 s[0:1], s[0:1], -1
	s_and_b64 s[0:1], vcc, s[0:1]
	s_waitcnt lgkmcnt(0)
	v_add_f64 v[6:7], v[6:7], v[12:13]
	v_add_f64 v[8:9], v[8:9], v[14:15]
	s_barrier
	ds_write_b128 v18, v[6:9]
	s_and_b64 exec, exec, s[0:1]
	s_cbranch_execz .LBB106_114
; %bb.111:
	v_cmp_neq_f64_e32 vcc, 0, v[2:3]
	v_cmp_neq_f64_e64 s[0:1], 0, v[4:5]
	s_or_b64 s[2:3], vcc, s[0:1]
	v_lshl_add_u64 v[0:1], v[10:11], 4, s[22:23]
	s_and_saveexec_b64 s[0:1], s[2:3]
	s_cbranch_execz .LBB106_113
; %bb.112:
	global_load_dwordx4 v[10:13], v[0:1], off
	s_waitcnt vmcnt(0)
	v_fmac_f64_e32 v[6:7], v[2:3], v[10:11]
	v_fmac_f64_e32 v[8:9], v[4:5], v[10:11]
	v_fma_f64 v[6:7], -v[4:5], v[12:13], v[6:7]
	v_fmac_f64_e32 v[8:9], v[2:3], v[12:13]
.LBB106_113:
	s_or_b64 exec, exec, s[0:1]
	global_store_dwordx4 v[0:1], v[6:9], off
.LBB106_114:
	s_endpgm
	.section	.rodata,"a",@progbits
	.p2align	6, 0x0
	.amdhsa_kernel _ZN9rocsparseL22csrmvn_adaptive_kernelIlld21rocsparse_complex_numIdES2_S2_EEvbT_PKS3_PjPKT0_NS_24const_host_device_scalarIT4_EES5_S9_PKT1_PKT2_SC_PT3_21rocsparse_index_base_b
		.amdhsa_group_segment_fixed_size 16384
		.amdhsa_private_segment_fixed_size 0
		.amdhsa_kernarg_size 120
		.amdhsa_user_sgpr_count 2
		.amdhsa_user_sgpr_dispatch_ptr 0
		.amdhsa_user_sgpr_queue_ptr 0
		.amdhsa_user_sgpr_kernarg_segment_ptr 1
		.amdhsa_user_sgpr_dispatch_id 0
		.amdhsa_user_sgpr_kernarg_preload_length 0
		.amdhsa_user_sgpr_kernarg_preload_offset 0
		.amdhsa_user_sgpr_private_segment_size 0
		.amdhsa_uses_dynamic_stack 0
		.amdhsa_enable_private_segment 0
		.amdhsa_system_sgpr_workgroup_id_x 1
		.amdhsa_system_sgpr_workgroup_id_y 0
		.amdhsa_system_sgpr_workgroup_id_z 0
		.amdhsa_system_sgpr_workgroup_info 0
		.amdhsa_system_vgpr_workitem_id 0
		.amdhsa_next_free_vgpr 50
		.amdhsa_next_free_sgpr 58
		.amdhsa_accum_offset 52
		.amdhsa_reserve_vcc 1
		.amdhsa_float_round_mode_32 0
		.amdhsa_float_round_mode_16_64 0
		.amdhsa_float_denorm_mode_32 3
		.amdhsa_float_denorm_mode_16_64 3
		.amdhsa_dx10_clamp 1
		.amdhsa_ieee_mode 1
		.amdhsa_fp16_overflow 0
		.amdhsa_tg_split 0
		.amdhsa_exception_fp_ieee_invalid_op 0
		.amdhsa_exception_fp_denorm_src 0
		.amdhsa_exception_fp_ieee_div_zero 0
		.amdhsa_exception_fp_ieee_overflow 0
		.amdhsa_exception_fp_ieee_underflow 0
		.amdhsa_exception_fp_ieee_inexact 0
		.amdhsa_exception_int_div_zero 0
	.end_amdhsa_kernel
	.section	.text._ZN9rocsparseL22csrmvn_adaptive_kernelIlld21rocsparse_complex_numIdES2_S2_EEvbT_PKS3_PjPKT0_NS_24const_host_device_scalarIT4_EES5_S9_PKT1_PKT2_SC_PT3_21rocsparse_index_base_b,"axG",@progbits,_ZN9rocsparseL22csrmvn_adaptive_kernelIlld21rocsparse_complex_numIdES2_S2_EEvbT_PKS3_PjPKT0_NS_24const_host_device_scalarIT4_EES5_S9_PKT1_PKT2_SC_PT3_21rocsparse_index_base_b,comdat
.Lfunc_end106:
	.size	_ZN9rocsparseL22csrmvn_adaptive_kernelIlld21rocsparse_complex_numIdES2_S2_EEvbT_PKS3_PjPKT0_NS_24const_host_device_scalarIT4_EES5_S9_PKT1_PKT2_SC_PT3_21rocsparse_index_base_b, .Lfunc_end106-_ZN9rocsparseL22csrmvn_adaptive_kernelIlld21rocsparse_complex_numIdES2_S2_EEvbT_PKS3_PjPKT0_NS_24const_host_device_scalarIT4_EES5_S9_PKT1_PKT2_SC_PT3_21rocsparse_index_base_b
                                        ; -- End function
	.set _ZN9rocsparseL22csrmvn_adaptive_kernelIlld21rocsparse_complex_numIdES2_S2_EEvbT_PKS3_PjPKT0_NS_24const_host_device_scalarIT4_EES5_S9_PKT1_PKT2_SC_PT3_21rocsparse_index_base_b.num_vgpr, 50
	.set _ZN9rocsparseL22csrmvn_adaptive_kernelIlld21rocsparse_complex_numIdES2_S2_EEvbT_PKS3_PjPKT0_NS_24const_host_device_scalarIT4_EES5_S9_PKT1_PKT2_SC_PT3_21rocsparse_index_base_b.num_agpr, 0
	.set _ZN9rocsparseL22csrmvn_adaptive_kernelIlld21rocsparse_complex_numIdES2_S2_EEvbT_PKS3_PjPKT0_NS_24const_host_device_scalarIT4_EES5_S9_PKT1_PKT2_SC_PT3_21rocsparse_index_base_b.numbered_sgpr, 58
	.set _ZN9rocsparseL22csrmvn_adaptive_kernelIlld21rocsparse_complex_numIdES2_S2_EEvbT_PKS3_PjPKT0_NS_24const_host_device_scalarIT4_EES5_S9_PKT1_PKT2_SC_PT3_21rocsparse_index_base_b.num_named_barrier, 0
	.set _ZN9rocsparseL22csrmvn_adaptive_kernelIlld21rocsparse_complex_numIdES2_S2_EEvbT_PKS3_PjPKT0_NS_24const_host_device_scalarIT4_EES5_S9_PKT1_PKT2_SC_PT3_21rocsparse_index_base_b.private_seg_size, 0
	.set _ZN9rocsparseL22csrmvn_adaptive_kernelIlld21rocsparse_complex_numIdES2_S2_EEvbT_PKS3_PjPKT0_NS_24const_host_device_scalarIT4_EES5_S9_PKT1_PKT2_SC_PT3_21rocsparse_index_base_b.uses_vcc, 1
	.set _ZN9rocsparseL22csrmvn_adaptive_kernelIlld21rocsparse_complex_numIdES2_S2_EEvbT_PKS3_PjPKT0_NS_24const_host_device_scalarIT4_EES5_S9_PKT1_PKT2_SC_PT3_21rocsparse_index_base_b.uses_flat_scratch, 0
	.set _ZN9rocsparseL22csrmvn_adaptive_kernelIlld21rocsparse_complex_numIdES2_S2_EEvbT_PKS3_PjPKT0_NS_24const_host_device_scalarIT4_EES5_S9_PKT1_PKT2_SC_PT3_21rocsparse_index_base_b.has_dyn_sized_stack, 0
	.set _ZN9rocsparseL22csrmvn_adaptive_kernelIlld21rocsparse_complex_numIdES2_S2_EEvbT_PKS3_PjPKT0_NS_24const_host_device_scalarIT4_EES5_S9_PKT1_PKT2_SC_PT3_21rocsparse_index_base_b.has_recursion, 0
	.set _ZN9rocsparseL22csrmvn_adaptive_kernelIlld21rocsparse_complex_numIdES2_S2_EEvbT_PKS3_PjPKT0_NS_24const_host_device_scalarIT4_EES5_S9_PKT1_PKT2_SC_PT3_21rocsparse_index_base_b.has_indirect_call, 0
	.section	.AMDGPU.csdata,"",@progbits
; Kernel info:
; codeLenInByte = 4868
; TotalNumSgprs: 64
; NumVgprs: 50
; NumAgprs: 0
; TotalNumVgprs: 50
; ScratchSize: 0
; MemoryBound: 0
; FloatMode: 240
; IeeeMode: 1
; LDSByteSize: 16384 bytes/workgroup (compile time only)
; SGPRBlocks: 7
; VGPRBlocks: 6
; NumSGPRsForWavesPerEU: 64
; NumVGPRsForWavesPerEU: 50
; AccumOffset: 52
; Occupancy: 8
; WaveLimiterHint : 1
; COMPUTE_PGM_RSRC2:SCRATCH_EN: 0
; COMPUTE_PGM_RSRC2:USER_SGPR: 2
; COMPUTE_PGM_RSRC2:TRAP_HANDLER: 0
; COMPUTE_PGM_RSRC2:TGID_X_EN: 1
; COMPUTE_PGM_RSRC2:TGID_Y_EN: 0
; COMPUTE_PGM_RSRC2:TGID_Z_EN: 0
; COMPUTE_PGM_RSRC2:TIDIG_COMP_CNT: 0
; COMPUTE_PGM_RSRC3_GFX90A:ACCUM_OFFSET: 12
; COMPUTE_PGM_RSRC3_GFX90A:TG_SPLIT: 0
	.section	.text._ZN9rocsparseL27csrmvn_symm_adaptive_kernelIlld21rocsparse_complex_numIdES2_S2_EEvbT_S3_PKS3_NS_24const_host_device_scalarIT4_EES5_PKT0_PKT1_PKT2_S8_PT3_21rocsparse_index_base_b,"axG",@progbits,_ZN9rocsparseL27csrmvn_symm_adaptive_kernelIlld21rocsparse_complex_numIdES2_S2_EEvbT_S3_PKS3_NS_24const_host_device_scalarIT4_EES5_PKT0_PKT1_PKT2_S8_PT3_21rocsparse_index_base_b,comdat
	.globl	_ZN9rocsparseL27csrmvn_symm_adaptive_kernelIlld21rocsparse_complex_numIdES2_S2_EEvbT_S3_PKS3_NS_24const_host_device_scalarIT4_EES5_PKT0_PKT1_PKT2_S8_PT3_21rocsparse_index_base_b ; -- Begin function _ZN9rocsparseL27csrmvn_symm_adaptive_kernelIlld21rocsparse_complex_numIdES2_S2_EEvbT_S3_PKS3_NS_24const_host_device_scalarIT4_EES5_PKT0_PKT1_PKT2_S8_PT3_21rocsparse_index_base_b
	.p2align	8
	.type	_ZN9rocsparseL27csrmvn_symm_adaptive_kernelIlld21rocsparse_complex_numIdES2_S2_EEvbT_S3_PKS3_NS_24const_host_device_scalarIT4_EES5_PKT0_PKT1_PKT2_S8_PT3_21rocsparse_index_base_b,@function
_ZN9rocsparseL27csrmvn_symm_adaptive_kernelIlld21rocsparse_complex_numIdES2_S2_EEvbT_S3_PKS3_NS_24const_host_device_scalarIT4_EES5_PKT0_PKT1_PKT2_S8_PT3_21rocsparse_index_base_b: ; @_ZN9rocsparseL27csrmvn_symm_adaptive_kernelIlld21rocsparse_complex_numIdES2_S2_EEvbT_S3_PKS3_NS_24const_host_device_scalarIT4_EES5_PKT0_PKT1_PKT2_S8_PT3_21rocsparse_index_base_b
; %bb.0:
	s_load_dwordx2 s[28:29], s[0:1], 0x68
	s_load_dwordx2 s[4:5], s[0:1], 0x20
	s_add_u32 s3, s0, 32
	s_addc_u32 s10, s1, 0
	s_waitcnt lgkmcnt(0)
	s_bitcmp1_b32 s29, 0
	s_cselect_b64 s[8:9], -1, 0
	s_and_b64 s[6:7], s[8:9], exec
	s_cselect_b32 s5, s10, s5
	s_cselect_b32 s3, s3, s4
	v_mov_b32_e32 v2, s3
	v_mov_b32_e32 v3, s5
	flat_load_dwordx4 v[2:5], v[2:3]
	s_waitcnt vmcnt(0) lgkmcnt(0)
	v_cmp_eq_f64_e32 vcc, 0, v[2:3]
	v_cmp_eq_f64_e64 s[4:5], 0, v[4:5]
	s_and_b64 s[10:11], vcc, s[4:5]
	s_mov_b64 s[4:5], -1
	s_and_saveexec_b64 s[6:7], s[10:11]
	s_cbranch_execz .LBB107_2
; %bb.1:
	s_load_dwordx2 s[4:5], s[0:1], 0x50
	s_add_u32 s3, s0, 0x50
	s_addc_u32 s10, s1, 0
	s_and_b64 s[8:9], s[8:9], exec
	s_waitcnt lgkmcnt(0)
	s_cselect_b32 s5, s10, s5
	s_cselect_b32 s3, s3, s4
	v_mov_b32_e32 v6, s3
	v_mov_b32_e32 v7, s5
	flat_load_dwordx4 v[6:9], v[6:7]
	s_waitcnt vmcnt(0) lgkmcnt(0)
	v_cmp_neq_f64_e32 vcc, 1.0, v[6:7]
	v_cmp_neq_f64_e64 s[4:5], 0, v[8:9]
	s_or_b64 s[4:5], vcc, s[4:5]
	s_orn2_b64 s[4:5], s[4:5], exec
.LBB107_2:
	s_or_b64 exec, exec, s[6:7]
	s_and_saveexec_b64 s[6:7], s[4:5]
	s_cbranch_execz .LBB107_141
; %bb.3:
	s_load_dwordx2 s[8:9], s[0:1], 0x18
	s_mov_b32 s4, 0
	s_ashr_i32 s3, s2, 31
	s_mov_b32 s6, s4
	s_mov_b32 s7, s4
	s_lshl_b64 s[2:3], s[2:3], 3
	s_mov_b32 s5, s4
	v_mov_b64_e32 v[8:9], s[6:7]
	s_waitcnt lgkmcnt(0)
	s_add_u32 s2, s8, s2
	v_lshlrev_b32_e32 v20, 4, v0
	v_mov_b64_e32 v[6:7], s[4:5]
	s_addc_u32 s3, s9, s3
	ds_write_b128 v20, v[6:9]
	ds_write_b128 v20, v[6:9] offset:4096
	ds_write_b128 v20, v[6:9] offset:8192
	;; [unrolled: 1-line block ×3, first 2 shown]
	s_waitcnt lgkmcnt(0)
	s_barrier
	s_load_dwordx4 s[20:23], s[2:3], 0x0
	s_load_dwordx2 s[24:25], s[0:1], 0x60
	s_load_dwordx8 s[12:19], s[0:1], 0x30
	s_mov_b64 s[2:3], -1
	s_waitcnt lgkmcnt(0)
	s_sub_u32 s26, s22, s20
	s_subb_u32 s27, s23, s21
	v_cmp_gt_i64_e64 s[4:5], s[26:27], 2
	s_and_b64 vcc, exec, s[4:5]
	s_cbranch_vccnz .LBB107_40
; %bb.4:
	v_mov_b64_e32 v[6:7], s[20:21]
	v_cmp_le_i64_e32 vcc, s[22:23], v[6:7]
	v_subrev_co_u32_e64 v10, s[2:3], s28, v0
	v_mov_b32_e32 v1, 0
	s_nop 0
	v_subb_co_u32_e64 v11, s[2:3], 0, 0, s[2:3]
	s_cbranch_vccnz .LBB107_30
; %bb.5:
	s_movk_i32 s2, 0x100
	v_cmp_gt_u32_e64 s[2:3], s2, v0
	v_cmp_gt_u32_e64 s[4:5], 64, v0
	;; [unrolled: 1-line block ×4, first 2 shown]
	v_cmp_eq_u32_e64 s[10:11], 0, v0
	s_mov_b64 s[30:31], 0x100
	s_mov_b64 s[34:35], 0x800
	v_mov_b64_e32 v[12:13], s[22:23]
	s_mov_b64 s[36:37], s[20:21]
	s_branch .LBB107_7
.LBB107_6:                              ;   in Loop: Header=BB107_7 Depth=1
	s_or_b64 exec, exec, s[38:39]
	s_add_u32 s36, s36, 1
	s_addc_u32 s37, s37, 0
	v_cmp_ge_i64_e32 vcc, s[36:37], v[12:13]
	s_cbranch_vccnz .LBB107_30
.LBB107_7:                              ; =>This Loop Header: Depth=1
                                        ;     Child Loop BB107_9 Depth 2
                                        ;     Child Loop BB107_23 Depth 2
	;; [unrolled: 1-line block ×3, first 2 shown]
	s_lshl_b64 s[38:39], s[36:37], 3
	s_add_u32 s38, s12, s38
	s_addc_u32 s39, s13, s39
	s_load_dwordx4 s[44:47], s[38:39], 0x0
	v_mov_b64_e32 v[8:9], 0
	v_mov_b64_e32 v[6:7], 0
	s_waitcnt lgkmcnt(0)
	s_sub_u32 s40, s46, s28
	v_lshl_add_u64 v[14:15], s[44:45], 0, v[10:11]
	s_subb_u32 s41, s47, 0
	v_cmp_gt_i64_e32 vcc, s[40:41], v[14:15]
	s_and_saveexec_b64 s[38:39], vcc
	s_cbranch_execz .LBB107_11
; %bb.8:                                ;   in Loop: Header=BB107_7 Depth=1
	v_lshlrev_b64 v[6:7], 3, v[14:15]
	v_mov_b64_e32 v[8:9], 0
	v_lshl_add_u64 v[16:17], s[14:15], 0, v[6:7]
	v_lshl_add_u64 v[18:19], s[16:17], 0, v[6:7]
	s_mov_b64 s[42:43], 0
	v_mov_b64_e32 v[6:7], v[8:9]
.LBB107_9:                              ;   Parent Loop BB107_7 Depth=1
                                        ; =>  This Inner Loop Header: Depth=2
	global_load_dwordx2 v[22:23], v[16:17], off
	global_load_dwordx2 v[26:27], v[18:19], off
	v_lshl_add_u64 v[14:15], v[14:15], 0, s[30:31]
	v_lshl_add_u64 v[16:17], v[16:17], 0, s[34:35]
	;; [unrolled: 1-line block ×3, first 2 shown]
	s_waitcnt vmcnt(1)
	v_subrev_co_u32_e32 v22, vcc, s28, v22
	s_nop 1
	v_subbrev_co_u32_e32 v23, vcc, 0, v23, vcc
	v_lshl_add_u64 v[22:23], v[22:23], 4, s[18:19]
	global_load_dwordx4 v[22:25], v[22:23], off
	v_cmp_le_i64_e32 vcc, s[40:41], v[14:15]
	s_or_b64 s[42:43], vcc, s[42:43]
	s_waitcnt vmcnt(0)
	v_fmac_f64_e32 v[6:7], v[26:27], v[22:23]
	v_fmac_f64_e32 v[8:9], 0, v[22:23]
	;; [unrolled: 1-line block ×4, first 2 shown]
	s_andn2_b64 exec, exec, s[42:43]
	s_cbranch_execnz .LBB107_9
; %bb.10:                               ;   in Loop: Header=BB107_7 Depth=1
	s_or_b64 exec, exec, s[42:43]
.LBB107_11:                             ;   in Loop: Header=BB107_7 Depth=1
	s_or_b64 exec, exec, s[38:39]
	ds_write_b128 v20, v[6:9]
	s_waitcnt lgkmcnt(0)
	s_barrier
	s_and_saveexec_b64 s[38:39], s[2:3]
	s_cbranch_execz .LBB107_13
; %bb.12:                               ;   in Loop: Header=BB107_7 Depth=1
	ds_read_b128 v[6:9], v20 offset:4096
	ds_read_b128 v[14:17], v20 offset:8192
	ds_read_b128 v[22:25], v20 offset:12288
	ds_read_b128 v[26:29], v20
	s_waitcnt lgkmcnt(2)
	v_add_f64 v[6:7], v[14:15], v[6:7]
	v_add_f64 v[8:9], v[16:17], v[8:9]
	s_waitcnt lgkmcnt(1)
	v_add_f64 v[6:7], v[6:7], v[22:23]
	v_add_f64 v[8:9], v[8:9], v[24:25]
	s_waitcnt lgkmcnt(0)
	v_add_f64 v[6:7], v[6:7], v[26:27]
	v_add_f64 v[8:9], v[8:9], v[28:29]
	ds_write_b128 v20, v[6:9]
.LBB107_13:                             ;   in Loop: Header=BB107_7 Depth=1
	s_or_b64 exec, exec, s[38:39]
	s_waitcnt lgkmcnt(0)
	s_barrier
	s_and_saveexec_b64 s[38:39], s[4:5]
	s_cbranch_execz .LBB107_15
; %bb.14:                               ;   in Loop: Header=BB107_7 Depth=1
	ds_read_b128 v[6:9], v20 offset:1024
	ds_read_b128 v[14:17], v20 offset:2048
	ds_read_b128 v[22:25], v20 offset:3072
	ds_read_b128 v[26:29], v20
	s_waitcnt lgkmcnt(2)
	v_add_f64 v[6:7], v[14:15], v[6:7]
	v_add_f64 v[8:9], v[16:17], v[8:9]
	s_waitcnt lgkmcnt(1)
	v_add_f64 v[6:7], v[6:7], v[22:23]
	v_add_f64 v[8:9], v[8:9], v[24:25]
	s_waitcnt lgkmcnt(0)
	v_add_f64 v[6:7], v[6:7], v[26:27]
	v_add_f64 v[8:9], v[8:9], v[28:29]
	ds_write_b128 v20, v[6:9]
.LBB107_15:                             ;   in Loop: Header=BB107_7 Depth=1
	s_or_b64 exec, exec, s[38:39]
	;; [unrolled: 21-line block ×5, first 2 shown]
	s_waitcnt lgkmcnt(0)
	s_barrier
	s_and_saveexec_b64 s[38:39], s[10:11]
	s_cbranch_execz .LBB107_6
; %bb.22:                               ;   in Loop: Header=BB107_7 Depth=1
	ds_read_b128 v[6:9], v1
	v_mov_b32_e32 v14, 0
	s_mov_b64 s[40:41], exec
	v_bfrev_b32_e32 v15, 1
	s_waitcnt lgkmcnt(0)
	v_mul_f64 v[16:17], v[8:9], -v[4:5]
	v_fmac_f64_e32 v[16:17], v[2:3], v[6:7]
.LBB107_23:                             ;   Parent Loop BB107_7 Depth=1
                                        ; =>  This Inner Loop Header: Depth=2
	s_ff1_i32_b64 s29, s[40:41]
	s_lshl_b64 s[44:45], 1, s29
	v_readlane_b32 s43, v17, s29
	v_readlane_b32 s42, v16, s29
	s_andn2_b64 s[40:41], s[40:41], s[44:45]
	s_cmp_lg_u64 s[40:41], 0
	v_add_f64 v[14:15], v[14:15], s[42:43]
	s_cbranch_scc1 .LBB107_23
; %bb.24:                               ;   in Loop: Header=BB107_7 Depth=1
	s_lshl_b64 s[40:41], s[36:37], 4
	v_mbcnt_lo_u32_b32 v16, exec_lo, 0
	s_add_u32 s40, s24, s40
	v_mbcnt_hi_u32_b32 v16, exec_hi, v16
	s_addc_u32 s41, s25, s41
	v_cmp_eq_u32_e32 vcc, 0, v16
	s_and_saveexec_b64 s[42:43], vcc
	s_xor_b64 s[42:43], exec, s[42:43]
	s_cbranch_execz .LBB107_26
; %bb.25:                               ;   in Loop: Header=BB107_7 Depth=1
	global_atomic_add_f64 v1, v[14:15], s[40:41]
.LBB107_26:                             ;   in Loop: Header=BB107_7 Depth=1
	s_or_b64 exec, exec, s[42:43]
	v_mul_f64 v[8:9], v[2:3], v[8:9]
	v_fmac_f64_e32 v[8:9], v[4:5], v[6:7]
	v_mov_b32_e32 v6, 0
	s_mov_b64 s[42:43], exec
	v_bfrev_b32_e32 v7, 1
.LBB107_27:                             ;   Parent Loop BB107_7 Depth=1
                                        ; =>  This Inner Loop Header: Depth=2
	s_ff1_i32_b64 s29, s[42:43]
	s_lshl_b64 s[46:47], 1, s29
	v_readlane_b32 s45, v9, s29
	v_readlane_b32 s44, v8, s29
	s_andn2_b64 s[42:43], s[42:43], s[46:47]
	s_cmp_lg_u64 s[42:43], 0
	v_add_f64 v[6:7], v[6:7], s[44:45]
	s_cbranch_scc1 .LBB107_27
; %bb.28:                               ;   in Loop: Header=BB107_7 Depth=1
	v_mbcnt_lo_u32_b32 v8, exec_lo, 0
	v_mbcnt_hi_u32_b32 v8, exec_hi, v8
	v_cmp_eq_u32_e32 vcc, 0, v8
	s_and_saveexec_b64 s[42:43], vcc
	s_xor_b64 s[42:43], exec, s[42:43]
	s_cbranch_execz .LBB107_6
; %bb.29:                               ;   in Loop: Header=BB107_7 Depth=1
	global_atomic_add_f64 v1, v[6:7], s[40:41] offset:8
	s_branch .LBB107_6
.LBB107_30:
	s_lshl_b64 s[2:3], s[20:21], 3
	s_add_u32 s2, s12, s2
	s_addc_u32 s3, s13, s3
	s_lshl_b64 s[4:5], s[22:23], 3
	s_add_u32 s4, s12, s4
	s_addc_u32 s5, s13, s5
	s_load_dwordx2 s[6:7], s[4:5], 0x0
	s_load_dwordx2 s[8:9], s[2:3], 0x0
	s_waitcnt lgkmcnt(0)
	s_sub_u32 s6, s6, s28
	s_subb_u32 s7, s7, 0
	v_lshl_add_u64 v[6:7], s[8:9], 0, v[10:11]
	v_cmp_gt_i64_e32 vcc, s[6:7], v[6:7]
	s_and_saveexec_b64 s[8:9], vcc
	s_cbranch_execz .LBB107_39
; %bb.31:
	s_add_u32 s10, s22, -1
	s_addc_u32 s11, s23, -1
	s_add_u32 s2, s22, -2
	s_addc_u32 s3, s23, -1
	v_mov_b64_e32 v[8:9], s[10:11]
	s_cmp_lg_u64 s[20:21], s[2:3]
	v_cmp_lt_i64_e32 vcc, s[20:21], v[8:9]
	s_cselect_b64 s[2:3], -1, 0
	s_mov_b32 s4, 0
	s_and_b64 s[2:3], vcc, s[2:3]
	s_brev_b32 s5, 1
	v_cndmask_b32_e64 v1, 0, 1, s[2:3]
	v_mul_f64 v[8:9], v[4:5], s[4:5]
	s_mov_b64 s[30:31], 0
	v_mul_f64 v[10:11], v[2:3], 0
	v_cmp_ne_u32_e64 s[2:3], 1, v1
	v_mov_b32_e32 v13, 0
	s_mov_b64 s[34:35], 0x100
	s_branch .LBB107_33
.LBB107_32:                             ;   in Loop: Header=BB107_33 Depth=1
	s_or_b64 exec, exec, s[4:5]
	v_lshl_add_u64 v[6:7], v[6:7], 0, s[34:35]
	v_cmp_le_i64_e32 vcc, s[6:7], v[6:7]
	s_or_b64 s[30:31], vcc, s[30:31]
	s_andn2_b64 exec, exec, s[30:31]
	s_cbranch_execz .LBB107_39
.LBB107_33:                             ; =>This Loop Header: Depth=1
                                        ;     Child Loop BB107_35 Depth 2
	s_and_b64 vcc, exec, s[2:3]
	v_mov_b64_e32 v[14:15], s[20:21]
	v_mov_b64_e32 v[16:17], s[10:11]
	s_cbranch_vccnz .LBB107_37
; %bb.34:                               ;   in Loop: Header=BB107_33 Depth=1
	s_mov_b64 s[36:37], 0
	v_mov_b64_e32 v[14:15], s[20:21]
	v_mov_b64_e32 v[16:17], s[10:11]
.LBB107_35:                             ;   Parent Loop BB107_33 Depth=1
                                        ; =>  This Inner Loop Header: Depth=2
	v_lshl_add_u64 v[18:19], v[16:17], 0, v[14:15]
	v_lshrrev_b32_e32 v12, 31, v19
	v_lshl_add_u64 v[18:19], v[18:19], 0, v[12:13]
	v_ashrrev_i64 v[18:19], 1, v[18:19]
	v_lshl_add_u64 v[22:23], v[18:19], 3, s[12:13]
	global_load_dwordx2 v[22:23], v[22:23], off
	s_waitcnt vmcnt(0)
	v_subrev_co_u32_e32 v22, vcc, s28, v22
	s_nop 1
	v_subbrev_co_u32_e32 v23, vcc, 0, v23, vcc
	v_cmp_lt_i64_e32 vcc, v[6:7], v[22:23]
	s_nop 1
	v_cndmask_b32_e32 v17, v17, v19, vcc
	v_cndmask_b32_e32 v16, v16, v18, vcc
	;; [unrolled: 1-line block ×4, first 2 shown]
	v_lshl_add_u64 v[18:19], v[16:17], 0, -1
	v_cmp_ge_i64_e32 vcc, v[14:15], v[16:17]
	v_cmp_eq_u64_e64 s[4:5], v[14:15], v[18:19]
	s_or_b64 s[4:5], vcc, s[4:5]
	s_and_b64 s[4:5], exec, s[4:5]
	s_or_b64 s[36:37], s[4:5], s[36:37]
	s_andn2_b64 exec, exec, s[36:37]
	s_cbranch_execnz .LBB107_35
; %bb.36:                               ;   in Loop: Header=BB107_33 Depth=1
	s_or_b64 exec, exec, s[36:37]
.LBB107_37:                             ;   in Loop: Header=BB107_33 Depth=1
	v_lshl_add_u64 v[18:19], v[16:17], 3, s[12:13]
	global_load_dwordx2 v[18:19], v[18:19], off
	v_lshl_add_u64 v[22:23], v[6:7], 3, s[14:15]
	global_load_dwordx2 v[22:23], v[22:23], off
	s_waitcnt vmcnt(1)
	v_subrev_co_u32_e32 v18, vcc, s28, v18
	s_nop 1
	v_subbrev_co_u32_e32 v19, vcc, 0, v19, vcc
	v_cmp_lt_i64_e32 vcc, v[6:7], v[18:19]
	s_nop 1
	v_cndmask_b32_e32 v17, v17, v15, vcc
	v_cndmask_b32_e32 v16, v16, v14, vcc
	s_waitcnt vmcnt(0)
	v_subrev_co_u32_e32 v14, vcc, s28, v22
	s_nop 1
	v_subbrev_co_u32_e32 v15, vcc, 0, v23, vcc
	v_cmp_ne_u64_e32 vcc, v[14:15], v[16:17]
	s_and_saveexec_b64 s[4:5], vcc
	s_cbranch_execz .LBB107_32
; %bb.38:                               ;   in Loop: Header=BB107_33 Depth=1
	v_lshl_add_u64 v[18:19], v[6:7], 3, s[16:17]
	global_load_dwordx2 v[22:23], v[18:19], off
	v_lshl_add_u64 v[16:17], v[16:17], 4, s[18:19]
	global_load_dwordx4 v[16:19], v[16:17], off
	v_lshl_add_u64 v[14:15], v[14:15], 4, s[24:25]
	s_waitcnt vmcnt(1)
	v_fma_f64 v[24:25], v[2:3], v[22:23], v[8:9]
	v_fma_f64 v[22:23], v[4:5], v[22:23], v[10:11]
	s_waitcnt vmcnt(0)
	v_mul_f64 v[26:27], v[18:19], -v[22:23]
	v_mul_f64 v[18:19], v[24:25], v[18:19]
	v_fmac_f64_e32 v[26:27], v[24:25], v[16:17]
	v_fmac_f64_e32 v[18:19], v[22:23], v[16:17]
	global_atomic_add_f64 v[14:15], v[26:27], off
	global_atomic_add_f64 v[14:15], v[18:19], off offset:8
	s_branch .LBB107_32
.LBB107_39:
	s_or_b64 exec, exec, s[8:9]
	s_mov_b64 s[2:3], 0
.LBB107_40:
	s_and_b64 vcc, exec, s[2:3]
	s_cbranch_vccz .LBB107_141
; %bb.41:
	s_load_dword s2, s[0:1], 0x7c
	s_mov_b32 s31, 0
	v_mov_b64_e32 v[6:7], s[26:27]
	s_mov_b64 s[34:35], 0
	s_waitcnt lgkmcnt(0)
	s_and_b32 s30, s2, 0xffff
	v_cmp_lt_u64_e32 vcc, s[30:31], v[6:7]
	s_cbranch_vccnz .LBB107_43
; %bb.42:
	v_cvt_f32_u32_e32 v1, s26
	s_sub_i32 s2, 0, s26
	v_rcp_iflag_f32_e32 v1, v1
	s_nop 0
	v_mul_f32_e32 v1, 0x4f7ffffe, v1
	v_cvt_u32_f32_e32 v1, v1
	s_nop 0
	v_readfirstlane_b32 s3, v1
	s_mul_i32 s2, s2, s3
	s_mul_hi_u32 s2, s3, s2
	s_add_i32 s3, s3, s2
	s_mul_hi_u32 s2, s30, s3
	s_mul_i32 s4, s2, s26
	s_sub_i32 s4, s30, s4
	s_add_i32 s3, s2, 1
	s_sub_i32 s5, s4, s26
	s_cmp_ge_u32 s4, s26
	s_cselect_b32 s2, s3, s2
	s_cselect_b32 s4, s5, s4
	s_add_i32 s3, s2, 1
	s_cmp_ge_u32 s4, s26
	s_cselect_b32 s34, s3, s2
.LBB107_43:
	s_load_dwordx4 s[4:7], s[0:1], 0x8
	s_lshl_b64 s[0:1], s[20:21], 3
	s_add_u32 s10, s12, s0
	s_addc_u32 s11, s13, s1
	s_load_dwordx2 s[8:9], s[10:11], 0x0
	v_subrev_co_u32_e32 v6, vcc, s28, v0
	v_mov_b32_e32 v1, 0
	s_nop 0
	v_subb_co_u32_e64 v7, s[0:1], 0, 0, vcc
	s_waitcnt lgkmcnt(0)
	v_lshl_add_u64 v[6:7], s[8:9], 0, v[6:7]
	s_mov_b64 s[0:1], 0x300
	v_lshl_add_u64 v[8:9], v[6:7], 0, s[0:1]
	v_cmp_le_i64_e64 s[0:1], s[4:5], v[8:9]
	s_and_saveexec_b64 s[2:3], s[0:1]
	s_xor_b64 s[2:3], exec, s[2:3]
	s_cbranch_execnz .LBB107_46
; %bb.44:
	s_andn2_saveexec_b64 s[2:3], s[2:3]
	s_cbranch_execnz .LBB107_50
.LBB107_45:
	s_or_b64 exec, exec, s[2:3]
	v_cmp_gt_i64_e32 vcc, s[6:7], v[0:1]
	s_and_saveexec_b64 s[2:3], vcc
	s_cbranch_execnz .LBB107_51
	s_branch .LBB107_53
.LBB107_46:
	s_lshl_b64 s[4:5], s[22:23], 3
	s_add_u32 s4, s12, s4
	s_addc_u32 s5, s13, s5
	s_load_dwordx2 s[4:5], s[4:5], 0x0
	s_waitcnt lgkmcnt(0)
	s_sub_u32 s4, s4, s8
	s_subb_u32 s5, s5, s9
	v_cmp_gt_i64_e32 vcc, s[4:5], v[0:1]
	s_and_saveexec_b64 s[36:37], vcc
	s_cbranch_execz .LBB107_49
; %bb.47:
	s_mov_b32 s38, 0
	s_brev_b32 s39, 1
	v_lshl_add_u64 v[10:11], v[6:7], 3, s[16:17]
	v_mul_f64 v[12:13], v[4:5], s[38:39]
	s_mov_b64 s[38:39], 0
	v_mul_f64 v[14:15], v[2:3], 0
	s_mov_b64 s[40:41], 0x800
	s_mov_b64 s[42:43], 0x100
	v_mov_b32_e32 v18, v20
	v_mov_b64_e32 v[16:17], v[0:1]
.LBB107_48:                             ; =>This Inner Loop Header: Depth=1
	global_load_dwordx2 v[24:25], v[10:11], off
	v_lshl_add_u64 v[16:17], v[16:17], 0, s[42:43]
	v_cmp_le_i64_e32 vcc, s[4:5], v[16:17]
	v_lshl_add_u64 v[10:11], v[10:11], 0, s[40:41]
	s_or_b64 s[38:39], vcc, s[38:39]
	s_waitcnt vmcnt(0)
	v_fma_f64 v[22:23], v[2:3], v[24:25], v[12:13]
	v_fma_f64 v[24:25], v[4:5], v[24:25], v[14:15]
	ds_write_b128 v18, v[22:25]
	v_add_u32_e32 v18, 0x1000, v18
	s_andn2_b64 exec, exec, s[38:39]
	s_cbranch_execnz .LBB107_48
.LBB107_49:
	s_or_b64 exec, exec, s[36:37]
                                        ; implicit-def: $vgpr4_vgpr5
	s_andn2_saveexec_b64 s[2:3], s[2:3]
	s_cbranch_execz .LBB107_45
.LBB107_50:
	v_lshl_add_u64 v[10:11], v[6:7], 3, s[16:17]
	global_load_dwordx2 v[16:17], v[10:11], off
	global_load_dwordx2 v[18:19], v[10:11], off offset:2048
	v_add_co_u32_e32 v10, vcc, 0x1000, v10
	s_mov_b32 s4, 0
	s_nop 0
	v_addc_co_u32_e32 v11, vcc, 0, v11, vcc
	global_load_dwordx2 v[26:27], v[10:11], off
	global_load_dwordx2 v[28:29], v[10:11], off offset:2048
	s_brev_b32 s5, 1
	v_mul_f64 v[12:13], v[2:3], 0
	v_mul_f64 v[10:11], v[4:5], s[4:5]
	s_waitcnt vmcnt(3)
	v_fma_f64 v[14:15], v[2:3], v[16:17], v[10:11]
	v_fma_f64 v[16:17], v[4:5], v[16:17], v[12:13]
	s_waitcnt vmcnt(2)
	v_fma_f64 v[22:23], v[2:3], v[18:19], v[10:11]
	v_fma_f64 v[24:25], v[4:5], v[18:19], v[12:13]
	ds_write_b128 v20, v[14:17]
	ds_write_b128 v20, v[22:25] offset:4096
	s_waitcnt vmcnt(1)
	v_fma_f64 v[14:15], v[2:3], v[26:27], v[10:11]
	v_fma_f64 v[16:17], v[4:5], v[26:27], v[12:13]
	s_waitcnt vmcnt(0)
	v_fmac_f64_e32 v[10:11], v[2:3], v[28:29]
	v_fmac_f64_e32 v[12:13], v[4:5], v[28:29]
	ds_write_b128 v20, v[14:17] offset:8192
	ds_write_b128 v20, v[10:13] offset:12288
	s_or_b64 exec, exec, s[2:3]
	v_cmp_gt_i64_e32 vcc, s[6:7], v[0:1]
	s_and_saveexec_b64 s[2:3], vcc
	s_cbranch_execz .LBB107_53
.LBB107_51:
	s_mov_b32 s16, 0
	v_mov_b32_e32 v2, 0x4000
	s_mov_b32 s17, s16
	s_mov_b32 s36, s16
	s_mov_b32 s37, s16
	v_lshl_add_u32 v12, v0, 4, v2
	s_mov_b64 s[4:5], 0
	v_mov_b64_e32 v[2:3], s[16:17]
	v_mov_b64_e32 v[4:5], s[36:37]
	s_mov_b64 s[16:17], 0x100
	v_mov_b64_e32 v[10:11], v[0:1]
.LBB107_52:                             ; =>This Inner Loop Header: Depth=1
	v_lshl_add_u64 v[10:11], v[10:11], 0, s[16:17]
	v_cmp_le_i64_e32 vcc, s[6:7], v[10:11]
	ds_write2_b64 v12, v[2:3], v[4:5] offset1:1
	s_or_b64 s[4:5], vcc, s[4:5]
	v_add_u32_e32 v12, 0x1000, v12
	s_andn2_b64 exec, exec, s[4:5]
	s_cbranch_execnz .LBB107_52
.LBB107_53:
	s_or_b64 exec, exec, s[2:3]
	s_sub_u32 s4, s22, s6
	v_mov_b64_e32 v[2:3], s[6:7]
	s_subb_u32 s5, s23, s7
	v_cmp_ge_i64_e32 vcc, s[22:23], v[2:3]
	s_and_b64 s[2:3], vcc, exec
	s_cselect_b32 s5, s5, 0
	s_cselect_b32 s4, s4, 0
	s_waitcnt lgkmcnt(0)
	s_barrier
	s_and_saveexec_b64 s[2:3], s[0:1]
	s_xor_b64 s[16:17], exec, s[2:3]
	s_cbranch_execz .LBB107_70
; %bb.54:
	s_lshl_b64 s[0:1], s[22:23], 3
	s_add_u32 s0, s12, s0
	s_addc_u32 s1, s13, s1
	s_load_dwordx2 s[0:1], s[0:1], 0x0
	s_waitcnt lgkmcnt(0)
	s_sub_u32 s36, s0, s8
	s_subb_u32 s37, s1, s9
	v_cmp_gt_i64_e32 vcc, s[36:37], v[0:1]
	s_and_saveexec_b64 s[38:39], vcc
	s_cbranch_execz .LBB107_69
; %bb.55:
	s_add_u32 s40, s22, -1
	s_addc_u32 s41, s23, -1
	s_add_u32 s2, s22, -2
	s_addc_u32 s3, s23, -1
	s_cmp_lg_u64 s[20:21], s[2:3]
	s_cselect_b64 s[2:3], -1, 0
	s_sub_u32 s42, s0, s28
	v_cndmask_b32_e64 v2, 0, 1, s[2:3]
	s_subb_u32 s43, s1, 0
	s_mov_b64 s[44:45], 0
	v_cmp_ne_u32_e64 s[0:1], 1, v2
	v_mov_b32_e32 v9, 0
	v_mov_b32_e32 v18, 0x4000
	s_mov_b64 s[46:47], 0
	s_branch .LBB107_58
.LBB107_56:                             ;   in Loop: Header=BB107_58 Depth=1
	s_or_b64 exec, exec, s[2:3]
.LBB107_57:                             ;   in Loop: Header=BB107_58 Depth=1
	s_or_b64 exec, exec, s[48:49]
	v_lshl_add_u64 v[12:13], v[12:13], 4, s[18:19]
	global_load_dwordx4 v[22:25], v[12:13], off
	s_add_u32 s46, s46, 0x100
	s_addc_u32 s47, s47, 0
	v_lshlrev_b32_e32 v8, 4, v10
	v_lshl_add_u64 v[10:11], s[46:47], 0, v[0:1]
	v_cmp_le_i64_e32 vcc, s[36:37], v[10:11]
	s_or_b64 s[44:45], vcc, s[44:45]
	s_waitcnt vmcnt(0)
	v_mul_f64 v[10:11], v[24:25], v[14:15]
	v_mul_f64 v[12:13], v[24:25], v[2:3]
	v_fmac_f64_e32 v[10:11], v[2:3], v[22:23]
	v_fmac_f64_e32 v[12:13], v[4:5], v[22:23]
	ds_write_b128 v8, v[10:13]
	s_andn2_b64 exec, exec, s[44:45]
	s_cbranch_execz .LBB107_69
.LBB107_58:                             ; =>This Loop Header: Depth=1
                                        ;     Child Loop BB107_60 Depth 2
	v_lshl_add_u64 v[2:3], s[46:47], 0, v[6:7]
	s_and_b64 vcc, exec, s[0:1]
	v_mov_b64_e32 v[4:5], s[20:21]
	v_mov_b64_e32 v[14:15], s[40:41]
	s_cbranch_vccnz .LBB107_62
; %bb.59:                               ;   in Loop: Header=BB107_58 Depth=1
	s_mov_b64 s[48:49], 0
	v_mov_b64_e32 v[4:5], s[20:21]
	v_mov_b64_e32 v[14:15], s[40:41]
.LBB107_60:                             ;   Parent Loop BB107_58 Depth=1
                                        ; =>  This Inner Loop Header: Depth=2
	v_lshl_add_u64 v[10:11], v[14:15], 0, v[4:5]
	v_lshrrev_b32_e32 v8, 31, v11
	v_lshl_add_u64 v[10:11], v[10:11], 0, v[8:9]
	v_ashrrev_i64 v[10:11], 1, v[10:11]
	v_lshl_add_u64 v[12:13], v[10:11], 3, s[12:13]
	global_load_dwordx2 v[12:13], v[12:13], off
	s_waitcnt vmcnt(0)
	v_subrev_co_u32_e32 v12, vcc, s28, v12
	s_nop 1
	v_subbrev_co_u32_e32 v13, vcc, 0, v13, vcc
	v_cmp_lt_i64_e32 vcc, v[2:3], v[12:13]
	s_nop 1
	v_cndmask_b32_e32 v15, v15, v11, vcc
	v_cndmask_b32_e32 v14, v14, v10, vcc
	;; [unrolled: 1-line block ×4, first 2 shown]
	v_lshl_add_u64 v[10:11], v[14:15], 0, -1
	v_cmp_ge_i64_e32 vcc, v[4:5], v[14:15]
	v_cmp_eq_u64_e64 s[2:3], v[4:5], v[10:11]
	s_or_b64 s[2:3], vcc, s[2:3]
	s_and_b64 s[2:3], exec, s[2:3]
	s_or_b64 s[48:49], s[2:3], s[48:49]
	s_andn2_b64 exec, exec, s[48:49]
	s_cbranch_execnz .LBB107_60
; %bb.61:                               ;   in Loop: Header=BB107_58 Depth=1
	s_or_b64 exec, exec, s[48:49]
.LBB107_62:                             ;   in Loop: Header=BB107_58 Depth=1
	v_lshl_add_u64 v[10:11], v[14:15], 3, s[12:13]
	global_load_dwordx2 v[12:13], v[10:11], off
	v_lshl_add_u64 v[10:11], v[2:3], 3, s[14:15]
	global_load_dwordx2 v[16:17], v[10:11], off
	v_lshl_add_u64 v[10:11], s[46:47], 0, v[0:1]
	v_cmp_le_i64_e32 vcc, s[42:43], v[2:3]
	v_lshlrev_b32_e32 v8, 4, v10
	s_waitcnt vmcnt(1)
	v_subrev_co_u32_e64 v22, s[2:3], s28, v12
	s_nop 1
	v_subbrev_co_u32_e64 v23, s[2:3], 0, v13, s[2:3]
	s_waitcnt vmcnt(0)
	v_subrev_co_u32_e64 v12, s[2:3], s28, v16
	s_nop 1
	v_subbrev_co_u32_e64 v13, s[2:3], 0, v17, s[2:3]
	v_cmp_lt_i64_e64 s[2:3], v[2:3], v[22:23]
	s_nop 1
	v_cndmask_b32_e64 v17, v15, v5, s[2:3]
	v_cndmask_b32_e64 v16, v14, v4, s[2:3]
	v_cmp_eq_u64_e64 s[2:3], v[12:13], v[16:17]
	s_or_b64 s[2:3], s[2:3], vcc
                                        ; implicit-def: $vgpr2_vgpr3
                                        ; implicit-def: $vgpr14_vgpr15
	s_and_saveexec_b64 s[48:49], s[2:3]
	s_xor_b64 s[2:3], exec, s[48:49]
	s_cbranch_execz .LBB107_64
; %bb.63:                               ;   in Loop: Header=BB107_58 Depth=1
	ds_read_b128 v[2:5], v8
                                        ; implicit-def: $vgpr8
                                        ; implicit-def: $vgpr16_vgpr17
	s_waitcnt lgkmcnt(0)
	v_xor_b32_e32 v15, 0x80000000, v5
	v_mov_b32_e32 v14, v4
.LBB107_64:                             ;   in Loop: Header=BB107_58 Depth=1
	s_andn2_saveexec_b64 s[48:49], s[2:3]
	s_cbranch_execz .LBB107_57
; %bb.65:                               ;   in Loop: Header=BB107_58 Depth=1
	v_cmp_gt_i64_e32 vcc, s[4:5], v[12:13]
	v_cmp_le_i64_e64 s[2:3], s[22:23], v[12:13]
	s_or_b64 s[2:3], vcc, s[2:3]
	v_lshl_add_u64 v[16:17], v[16:17], 4, s[18:19]
                                        ; implicit-def: $vgpr2_vgpr3
                                        ; implicit-def: $vgpr14_vgpr15
	s_and_saveexec_b64 s[50:51], s[2:3]
	s_xor_b64 s[2:3], exec, s[50:51]
	s_cbranch_execz .LBB107_67
; %bb.66:                               ;   in Loop: Header=BB107_58 Depth=1
	global_load_dwordx4 v[14:17], v[16:17], off
	ds_read_b128 v[2:5], v8
	v_lshl_add_u64 v[22:23], v[12:13], 4, s[24:25]
                                        ; implicit-def: $vgpr8
	s_waitcnt vmcnt(0) lgkmcnt(0)
	v_mul_f64 v[24:25], v[16:17], -v[4:5]
	v_mul_f64 v[16:17], v[16:17], v[2:3]
	v_fmac_f64_e32 v[24:25], v[2:3], v[14:15]
	v_fmac_f64_e32 v[16:17], v[4:5], v[14:15]
	global_atomic_add_f64 v[22:23], v[24:25], off
	global_atomic_add_f64 v[22:23], v[16:17], off offset:8
	v_xor_b32_e32 v15, 0x80000000, v5
	v_mov_b32_e32 v14, v4
                                        ; implicit-def: $vgpr16_vgpr17
.LBB107_67:                             ;   in Loop: Header=BB107_58 Depth=1
	s_andn2_saveexec_b64 s[2:3], s[2:3]
	s_cbranch_execz .LBB107_56
; %bb.68:                               ;   in Loop: Header=BB107_58 Depth=1
	global_load_dwordx4 v[14:17], v[16:17], off
	ds_read_b128 v[2:5], v8
	v_subrev_u32_e32 v8, s4, v12
	v_lshl_add_u32 v8, v8, 4, v18
	s_waitcnt vmcnt(0) lgkmcnt(0)
	v_mul_f64 v[22:23], v[16:17], -v[4:5]
	v_mul_f64 v[16:17], v[16:17], v[2:3]
	v_fmac_f64_e32 v[22:23], v[2:3], v[14:15]
	v_fmac_f64_e32 v[16:17], v[4:5], v[14:15]
	ds_add_f64 v8, v[22:23]
	ds_add_f64 v8, v[16:17] offset:8
	v_xor_b32_e32 v15, 0x80000000, v5
	v_mov_b32_e32 v14, v4
	s_branch .LBB107_56
.LBB107_69:
	s_or_b64 exec, exec, s[38:39]
                                        ; implicit-def: $vgpr8_vgpr9
                                        ; implicit-def: $vgpr6_vgpr7
.LBB107_70:
	s_andn2_saveexec_b64 s[16:17], s[16:17]
	s_cbranch_execz .LBB107_112
; %bb.71:
	s_add_u32 s36, s22, -1
	s_addc_u32 s37, s23, -1
	s_add_u32 s0, s22, -2
	s_addc_u32 s1, s23, -1
	s_cmp_lg_u64 s[20:21], s[0:1]
	s_cselect_b64 s[2:3], -1, 0
	s_cmp_eq_u64 s[20:21], s[0:1]
	v_mov_b64_e32 v[4:5], s[20:21]
	v_mov_b64_e32 v[10:11], s[36:37]
	s_cbranch_scc1 .LBB107_75
; %bb.72:
	s_mov_b64 s[38:39], 0
	v_mov_b64_e32 v[4:5], s[20:21]
	v_mov_b64_e32 v[10:11], s[36:37]
	v_mov_b32_e32 v3, 0
.LBB107_73:                             ; =>This Inner Loop Header: Depth=1
	v_lshl_add_u64 v[12:13], v[10:11], 0, v[4:5]
	v_lshrrev_b32_e32 v2, 31, v13
	v_lshl_add_u64 v[12:13], v[12:13], 0, v[2:3]
	v_ashrrev_i64 v[12:13], 1, v[12:13]
	v_lshl_add_u64 v[14:15], v[12:13], 3, s[12:13]
	global_load_dwordx2 v[14:15], v[14:15], off
	s_waitcnt vmcnt(0)
	v_subrev_co_u32_e32 v14, vcc, s28, v14
	s_nop 1
	v_subbrev_co_u32_e32 v15, vcc, 0, v15, vcc
	v_cmp_lt_i64_e32 vcc, v[6:7], v[14:15]
	s_nop 1
	v_cndmask_b32_e32 v11, v11, v13, vcc
	v_cndmask_b32_e32 v10, v10, v12, vcc
	v_cndmask_b32_e32 v5, v13, v5, vcc
	v_cndmask_b32_e32 v4, v12, v4, vcc
	v_lshl_add_u64 v[12:13], v[10:11], 0, -1
	v_cmp_ge_i64_e32 vcc, v[4:5], v[10:11]
	v_cmp_eq_u64_e64 s[0:1], v[4:5], v[12:13]
	s_or_b64 s[0:1], vcc, s[0:1]
	s_and_b64 s[0:1], exec, s[0:1]
	s_or_b64 s[38:39], s[0:1], s[38:39]
	s_andn2_b64 exec, exec, s[38:39]
	s_cbranch_execnz .LBB107_73
; %bb.74:
	s_or_b64 exec, exec, s[38:39]
.LBB107_75:
	v_lshl_add_u64 v[2:3], v[10:11], 3, s[12:13]
	global_load_dwordx2 v[12:13], v[2:3], off
	v_lshl_add_u64 v[2:3], v[6:7], 3, s[14:15]
	global_load_dwordx2 v[14:15], v[2:3], off
	s_lshl_b64 s[0:1], s[22:23], 3
	s_add_u32 s14, s12, s0
	s_addc_u32 s15, s13, s1
	s_waitcnt vmcnt(1)
	v_subrev_co_u32_e32 v12, vcc, s28, v12
	s_nop 1
	v_subbrev_co_u32_e32 v13, vcc, 0, v13, vcc
	v_cmp_lt_i64_e32 vcc, v[6:7], v[12:13]
	s_nop 1
	v_cndmask_b32_e32 v11, v11, v5, vcc
	v_cndmask_b32_e32 v10, v10, v4, vcc
	s_waitcnt vmcnt(0)
	v_subrev_co_u32_e32 v4, vcc, s28, v14
	s_nop 1
	v_subbrev_co_u32_e32 v5, vcc, 0, v15, vcc
	v_cmp_ne_u64_e32 vcc, v[4:5], v[10:11]
	s_and_saveexec_b64 s[38:39], vcc
	s_cbranch_execz .LBB107_81
; %bb.76:
	s_load_dwordx2 s[0:1], s[14:15], 0x0
	s_waitcnt lgkmcnt(0)
	s_sub_u32 s0, s0, s28
	s_subb_u32 s1, s1, 0
	v_cmp_gt_i64_e32 vcc, s[0:1], v[6:7]
	s_and_b64 exec, exec, vcc
	s_cbranch_execz .LBB107_81
; %bb.77:
	v_cmp_gt_i64_e32 vcc, s[4:5], v[4:5]
	v_cmp_le_i64_e64 s[0:1], s[22:23], v[4:5]
	s_or_b64 s[0:1], vcc, s[0:1]
	v_lshl_add_u64 v[10:11], v[10:11], 4, s[18:19]
	s_and_saveexec_b64 s[40:41], s[0:1]
	s_xor_b64 s[0:1], exec, s[40:41]
	s_cbranch_execz .LBB107_79
; %bb.78:
	global_load_dwordx4 v[10:13], v[10:11], off
	ds_read_b128 v[14:17], v20
	v_lshl_add_u64 v[18:19], v[4:5], 4, s[24:25]
	s_waitcnt vmcnt(0) lgkmcnt(0)
	v_mul_f64 v[22:23], v[12:13], -v[16:17]
	v_mul_f64 v[12:13], v[12:13], v[14:15]
	v_fmac_f64_e32 v[22:23], v[14:15], v[10:11]
	v_fmac_f64_e32 v[12:13], v[16:17], v[10:11]
	global_atomic_add_f64 v[18:19], v[22:23], off
	global_atomic_add_f64 v[18:19], v[12:13], off offset:8
                                        ; implicit-def: $vgpr10_vgpr11
.LBB107_79:
	s_andn2_saveexec_b64 s[0:1], s[0:1]
	s_cbranch_execz .LBB107_81
; %bb.80:
	global_load_dwordx4 v[10:13], v[10:11], off
	ds_read_b128 v[14:17], v20
	v_subrev_u32_e32 v18, s4, v4
	v_mov_b32_e32 v19, 0x4000
	v_lshl_add_u32 v21, v18, 4, v19
	s_waitcnt vmcnt(0) lgkmcnt(0)
	v_mul_f64 v[18:19], v[12:13], -v[16:17]
	v_mul_f64 v[12:13], v[12:13], v[14:15]
	v_fmac_f64_e32 v[18:19], v[14:15], v[10:11]
	v_fmac_f64_e32 v[12:13], v[16:17], v[10:11]
	ds_add_f64 v21, v[18:19]
	ds_add_f64 v21, v[12:13] offset:8
.LBB107_81:
	s_or_b64 exec, exec, s[38:39]
	v_lshl_add_u64 v[4:5], v[4:5], 4, s[18:19]
	global_load_dwordx4 v[12:15], v[4:5], off
	ds_read_b128 v[16:19], v20
	s_mov_b64 s[0:1], 0x100
	v_cndmask_b32_e64 v21, 0, 1, s[2:3]
	v_mov_b64_e32 v[10:11], s[20:21]
	v_lshl_add_u64 v[4:5], v[6:7], 0, s[0:1]
	v_cmp_ne_u32_e64 s[0:1], 1, v21
	s_andn2_b64 vcc, exec, s[2:3]
	s_waitcnt vmcnt(0) lgkmcnt(0)
	v_mul_f64 v[22:23], v[14:15], -v[18:19]
	v_mul_f64 v[24:25], v[14:15], v[16:17]
	v_fmac_f64_e32 v[22:23], v[16:17], v[12:13]
	v_fmac_f64_e32 v[24:25], v[18:19], v[12:13]
	v_mov_b64_e32 v[12:13], s[36:37]
	ds_write_b128 v20, v[22:25]
	s_cbranch_vccnz .LBB107_85
; %bb.82:
	s_mov_b64 s[38:39], 0
	v_mov_b64_e32 v[10:11], s[20:21]
	v_mov_b64_e32 v[12:13], s[36:37]
	v_mov_b32_e32 v15, 0
.LBB107_83:                             ; =>This Inner Loop Header: Depth=1
	v_lshl_add_u64 v[16:17], v[12:13], 0, v[10:11]
	v_lshrrev_b32_e32 v14, 31, v17
	v_lshl_add_u64 v[16:17], v[16:17], 0, v[14:15]
	v_ashrrev_i64 v[16:17], 1, v[16:17]
	v_lshl_add_u64 v[18:19], v[16:17], 3, s[12:13]
	global_load_dwordx2 v[18:19], v[18:19], off
	s_waitcnt vmcnt(0)
	v_subrev_co_u32_e32 v18, vcc, s28, v18
	s_nop 1
	v_subbrev_co_u32_e32 v19, vcc, 0, v19, vcc
	v_cmp_lt_i64_e32 vcc, v[4:5], v[18:19]
	s_nop 1
	v_cndmask_b32_e32 v13, v13, v17, vcc
	v_cndmask_b32_e32 v12, v12, v16, vcc
	;; [unrolled: 1-line block ×4, first 2 shown]
	v_lshl_add_u64 v[16:17], v[12:13], 0, -1
	v_cmp_ge_i64_e32 vcc, v[10:11], v[12:13]
	v_cmp_eq_u64_e64 s[2:3], v[10:11], v[16:17]
	s_or_b64 s[2:3], vcc, s[2:3]
	s_and_b64 s[2:3], exec, s[2:3]
	s_or_b64 s[38:39], s[2:3], s[38:39]
	s_andn2_b64 exec, exec, s[38:39]
	s_cbranch_execnz .LBB107_83
; %bb.84:
	s_or_b64 exec, exec, s[38:39]
.LBB107_85:
	v_lshl_add_u64 v[14:15], v[12:13], 3, s[12:13]
	global_load_dwordx2 v[16:17], v[14:15], off
	global_load_dwordx2 v[18:19], v[2:3], off offset:2048
	s_waitcnt vmcnt(1)
	v_subrev_co_u32_e32 v14, vcc, s28, v16
	s_nop 1
	v_subbrev_co_u32_e32 v15, vcc, 0, v17, vcc
	v_cmp_lt_i64_e32 vcc, v[4:5], v[14:15]
	s_nop 1
	v_cndmask_b32_e32 v13, v13, v11, vcc
	v_cndmask_b32_e32 v12, v12, v10, vcc
	s_waitcnt vmcnt(0)
	v_subrev_co_u32_e32 v10, vcc, s28, v18
	s_nop 1
	v_subbrev_co_u32_e32 v11, vcc, 0, v19, vcc
	v_cmp_ne_u64_e32 vcc, v[10:11], v[12:13]
	s_and_saveexec_b64 s[38:39], vcc
	s_cbranch_execz .LBB107_91
; %bb.86:
	s_load_dwordx2 s[2:3], s[14:15], 0x0
	s_waitcnt lgkmcnt(0)
	s_sub_u32 s2, s2, s28
	s_subb_u32 s3, s3, 0
	v_cmp_gt_i64_e32 vcc, s[2:3], v[4:5]
	s_and_b64 exec, exec, vcc
	s_cbranch_execz .LBB107_91
; %bb.87:
	v_cmp_gt_i64_e32 vcc, s[4:5], v[10:11]
	v_cmp_le_i64_e64 s[2:3], s[22:23], v[10:11]
	s_or_b64 s[2:3], vcc, s[2:3]
	v_lshl_add_u64 v[4:5], v[12:13], 4, s[18:19]
	s_and_saveexec_b64 s[40:41], s[2:3]
	s_xor_b64 s[2:3], exec, s[40:41]
	s_cbranch_execz .LBB107_89
; %bb.88:
	global_load_dwordx4 v[12:15], v[4:5], off
	ds_read_b128 v[16:19], v20 offset:4096
	v_lshl_add_u64 v[4:5], v[10:11], 4, s[24:25]
	s_waitcnt vmcnt(0) lgkmcnt(0)
	v_mul_f64 v[22:23], v[14:15], -v[18:19]
	v_mul_f64 v[14:15], v[14:15], v[16:17]
	v_fmac_f64_e32 v[22:23], v[16:17], v[12:13]
	v_fmac_f64_e32 v[14:15], v[18:19], v[12:13]
	global_atomic_add_f64 v[4:5], v[22:23], off
	global_atomic_add_f64 v[4:5], v[14:15], off offset:8
                                        ; implicit-def: $vgpr4_vgpr5
.LBB107_89:
	s_andn2_saveexec_b64 s[2:3], s[2:3]
	s_cbranch_execz .LBB107_91
; %bb.90:
	global_load_dwordx4 v[12:15], v[4:5], off
	ds_read_b128 v[16:19], v20 offset:4096
	v_subrev_u32_e32 v4, s4, v10
	v_mov_b32_e32 v5, 0x4000
	v_lshl_add_u32 v21, v4, 4, v5
	s_waitcnt vmcnt(0) lgkmcnt(0)
	v_mul_f64 v[4:5], v[14:15], -v[18:19]
	v_mul_f64 v[14:15], v[14:15], v[16:17]
	v_fmac_f64_e32 v[4:5], v[16:17], v[12:13]
	v_fmac_f64_e32 v[14:15], v[18:19], v[12:13]
	ds_add_f64 v21, v[4:5]
	ds_add_f64 v21, v[14:15] offset:8
.LBB107_91:
	s_or_b64 exec, exec, s[38:39]
	v_lshl_add_u64 v[4:5], v[10:11], 4, s[18:19]
	global_load_dwordx4 v[12:15], v[4:5], off
	ds_read_b128 v[16:19], v20 offset:4096
	s_mov_b64 s[2:3], 0x200
	s_and_b64 vcc, exec, s[0:1]
	v_mov_b64_e32 v[10:11], s[20:21]
	v_lshl_add_u64 v[4:5], v[6:7], 0, s[2:3]
	v_mov_b64_e32 v[6:7], s[36:37]
	s_waitcnt vmcnt(0) lgkmcnt(0)
	v_mul_f64 v[22:23], v[14:15], -v[18:19]
	v_mul_f64 v[24:25], v[14:15], v[16:17]
	v_fmac_f64_e32 v[22:23], v[16:17], v[12:13]
	v_fmac_f64_e32 v[24:25], v[18:19], v[12:13]
	ds_write_b128 v20, v[22:25] offset:4096
	s_cbranch_vccnz .LBB107_95
; %bb.92:
	s_mov_b64 s[38:39], 0
	v_mov_b64_e32 v[10:11], s[20:21]
	v_mov_b64_e32 v[6:7], s[36:37]
	v_mov_b32_e32 v13, 0
.LBB107_93:                             ; =>This Inner Loop Header: Depth=1
	v_lshl_add_u64 v[14:15], v[6:7], 0, v[10:11]
	v_lshrrev_b32_e32 v12, 31, v15
	v_lshl_add_u64 v[14:15], v[14:15], 0, v[12:13]
	v_ashrrev_i64 v[14:15], 1, v[14:15]
	v_lshl_add_u64 v[16:17], v[14:15], 3, s[12:13]
	global_load_dwordx2 v[16:17], v[16:17], off
	s_waitcnt vmcnt(0)
	v_subrev_co_u32_e32 v16, vcc, s28, v16
	s_nop 1
	v_subbrev_co_u32_e32 v17, vcc, 0, v17, vcc
	v_cmp_lt_i64_e32 vcc, v[4:5], v[16:17]
	s_nop 1
	v_cndmask_b32_e32 v7, v7, v15, vcc
	v_cndmask_b32_e32 v6, v6, v14, vcc
	;; [unrolled: 1-line block ×4, first 2 shown]
	v_lshl_add_u64 v[14:15], v[6:7], 0, -1
	v_cmp_ge_i64_e32 vcc, v[10:11], v[6:7]
	v_cmp_eq_u64_e64 s[2:3], v[10:11], v[14:15]
	s_or_b64 s[2:3], vcc, s[2:3]
	s_and_b64 s[2:3], exec, s[2:3]
	s_or_b64 s[38:39], s[2:3], s[38:39]
	s_andn2_b64 exec, exec, s[38:39]
	s_cbranch_execnz .LBB107_93
; %bb.94:
	s_or_b64 exec, exec, s[38:39]
.LBB107_95:
	v_lshl_add_u64 v[12:13], v[6:7], 3, s[12:13]
	global_load_dwordx2 v[12:13], v[12:13], off
	v_add_co_u32_e32 v14, vcc, 0x1000, v2
	s_nop 1
	v_addc_co_u32_e32 v15, vcc, 0, v3, vcc
	global_load_dwordx2 v[14:15], v[14:15], off
	s_waitcnt vmcnt(1)
	v_subrev_co_u32_e32 v12, vcc, s28, v12
	s_nop 1
	v_subbrev_co_u32_e32 v13, vcc, 0, v13, vcc
	v_cmp_lt_i64_e32 vcc, v[4:5], v[12:13]
	s_nop 1
	v_cndmask_b32_e32 v11, v7, v11, vcc
	v_cndmask_b32_e32 v10, v6, v10, vcc
	s_waitcnt vmcnt(0)
	v_subrev_co_u32_e32 v6, vcc, s28, v14
	s_nop 1
	v_subbrev_co_u32_e32 v7, vcc, 0, v15, vcc
	v_cmp_ne_u64_e32 vcc, v[6:7], v[10:11]
	s_and_saveexec_b64 s[38:39], vcc
	s_cbranch_execz .LBB107_101
; %bb.96:
	s_load_dwordx2 s[2:3], s[14:15], 0x0
	s_waitcnt lgkmcnt(0)
	s_sub_u32 s2, s2, s28
	s_subb_u32 s3, s3, 0
	v_cmp_gt_i64_e32 vcc, s[2:3], v[4:5]
	s_and_b64 exec, exec, vcc
	s_cbranch_execz .LBB107_101
; %bb.97:
	v_cmp_gt_i64_e32 vcc, s[4:5], v[6:7]
	v_cmp_le_i64_e64 s[2:3], s[22:23], v[6:7]
	s_or_b64 s[2:3], vcc, s[2:3]
	v_lshl_add_u64 v[4:5], v[10:11], 4, s[18:19]
	s_and_saveexec_b64 s[40:41], s[2:3]
	s_xor_b64 s[2:3], exec, s[40:41]
	s_cbranch_execz .LBB107_99
; %bb.98:
	global_load_dwordx4 v[10:13], v[4:5], off
	ds_read_b128 v[14:17], v20 offset:8192
	v_lshl_add_u64 v[4:5], v[6:7], 4, s[24:25]
	s_waitcnt vmcnt(0) lgkmcnt(0)
	v_mul_f64 v[18:19], v[12:13], -v[16:17]
	v_mul_f64 v[12:13], v[12:13], v[14:15]
	v_fmac_f64_e32 v[18:19], v[14:15], v[10:11]
	v_fmac_f64_e32 v[12:13], v[16:17], v[10:11]
	global_atomic_add_f64 v[4:5], v[18:19], off
	global_atomic_add_f64 v[4:5], v[12:13], off offset:8
                                        ; implicit-def: $vgpr4_vgpr5
.LBB107_99:
	s_andn2_saveexec_b64 s[2:3], s[2:3]
	s_cbranch_execz .LBB107_101
; %bb.100:
	global_load_dwordx4 v[10:13], v[4:5], off
	ds_read_b128 v[14:17], v20 offset:8192
	v_subrev_u32_e32 v4, s4, v6
	v_mov_b32_e32 v5, 0x4000
	v_lshl_add_u32 v18, v4, 4, v5
	s_waitcnt vmcnt(0) lgkmcnt(0)
	v_mul_f64 v[4:5], v[12:13], -v[16:17]
	v_mul_f64 v[12:13], v[12:13], v[14:15]
	v_fmac_f64_e32 v[4:5], v[14:15], v[10:11]
	v_fmac_f64_e32 v[12:13], v[16:17], v[10:11]
	ds_add_f64 v18, v[4:5]
	ds_add_f64 v18, v[12:13] offset:8
.LBB107_101:
	s_or_b64 exec, exec, s[38:39]
	v_lshl_add_u64 v[4:5], v[6:7], 4, s[18:19]
	global_load_dwordx4 v[10:13], v[4:5], off
	ds_read_b128 v[14:17], v20 offset:8192
	s_and_b64 vcc, exec, s[0:1]
	v_mov_b64_e32 v[4:5], s[20:21]
	v_mov_b64_e32 v[6:7], s[36:37]
	s_waitcnt vmcnt(0) lgkmcnt(0)
	v_mul_f64 v[22:23], v[12:13], -v[16:17]
	v_mul_f64 v[24:25], v[12:13], v[14:15]
	v_fmac_f64_e32 v[22:23], v[14:15], v[10:11]
	v_fmac_f64_e32 v[24:25], v[16:17], v[10:11]
	ds_write_b128 v20, v[22:25] offset:8192
	s_cbranch_vccnz .LBB107_105
; %bb.102:
	s_mov_b64 s[2:3], 0
	v_mov_b64_e32 v[4:5], s[20:21]
	v_mov_b64_e32 v[6:7], s[36:37]
	v_mov_b32_e32 v11, 0
.LBB107_103:                            ; =>This Inner Loop Header: Depth=1
	v_lshl_add_u64 v[12:13], v[6:7], 0, v[4:5]
	v_lshrrev_b32_e32 v10, 31, v13
	v_lshl_add_u64 v[12:13], v[12:13], 0, v[10:11]
	v_ashrrev_i64 v[12:13], 1, v[12:13]
	v_lshl_add_u64 v[14:15], v[12:13], 3, s[12:13]
	global_load_dwordx2 v[14:15], v[14:15], off
	s_waitcnt vmcnt(0)
	v_subrev_co_u32_e32 v14, vcc, s28, v14
	s_nop 1
	v_subbrev_co_u32_e32 v15, vcc, 0, v15, vcc
	v_cmp_lt_i64_e32 vcc, v[8:9], v[14:15]
	s_nop 1
	v_cndmask_b32_e32 v7, v7, v13, vcc
	v_cndmask_b32_e32 v6, v6, v12, vcc
	;; [unrolled: 1-line block ×4, first 2 shown]
	v_lshl_add_u64 v[12:13], v[6:7], 0, -1
	v_cmp_ge_i64_e32 vcc, v[4:5], v[6:7]
	v_cmp_eq_u64_e64 s[0:1], v[4:5], v[12:13]
	s_or_b64 s[0:1], vcc, s[0:1]
	s_and_b64 s[0:1], exec, s[0:1]
	s_or_b64 s[2:3], s[0:1], s[2:3]
	s_andn2_b64 exec, exec, s[2:3]
	s_cbranch_execnz .LBB107_103
; %bb.104:
	s_or_b64 exec, exec, s[2:3]
.LBB107_105:
	v_lshl_add_u64 v[10:11], v[6:7], 3, s[12:13]
	global_load_dwordx2 v[10:11], v[10:11], off
	v_add_co_u32_e32 v2, vcc, 0x1000, v2
	s_nop 1
	v_addc_co_u32_e32 v3, vcc, 0, v3, vcc
	global_load_dwordx2 v[2:3], v[2:3], off offset:2048
	s_waitcnt vmcnt(1)
	v_subrev_co_u32_e32 v10, vcc, s28, v10
	s_nop 1
	v_subbrev_co_u32_e32 v11, vcc, 0, v11, vcc
	v_cmp_lt_i64_e32 vcc, v[8:9], v[10:11]
	s_nop 1
	v_cndmask_b32_e32 v5, v7, v5, vcc
	v_cndmask_b32_e32 v4, v6, v4, vcc
	s_waitcnt vmcnt(0)
	v_subrev_co_u32_e32 v2, vcc, s28, v2
	s_nop 1
	v_subbrev_co_u32_e32 v3, vcc, 0, v3, vcc
	v_cmp_ne_u64_e32 vcc, v[2:3], v[4:5]
	s_and_saveexec_b64 s[2:3], vcc
	s_cbranch_execz .LBB107_111
; %bb.106:
	s_load_dwordx2 s[0:1], s[14:15], 0x0
	s_waitcnt lgkmcnt(0)
	s_sub_u32 s0, s0, s28
	s_subb_u32 s1, s1, 0
	v_cmp_gt_i64_e32 vcc, s[0:1], v[8:9]
	s_and_b64 exec, exec, vcc
	s_cbranch_execz .LBB107_111
; %bb.107:
	v_cmp_gt_i64_e32 vcc, s[4:5], v[2:3]
	v_cmp_le_i64_e64 s[0:1], s[22:23], v[2:3]
	s_or_b64 s[0:1], vcc, s[0:1]
	v_lshl_add_u64 v[4:5], v[4:5], 4, s[18:19]
	s_and_saveexec_b64 s[14:15], s[0:1]
	s_xor_b64 s[0:1], exec, s[14:15]
	s_cbranch_execz .LBB107_109
; %bb.108:
	global_load_dwordx4 v[4:7], v[4:5], off
	ds_read_b128 v[8:11], v20 offset:12288
	v_lshl_add_u64 v[12:13], v[2:3], 4, s[24:25]
	s_waitcnt vmcnt(0) lgkmcnt(0)
	v_mul_f64 v[14:15], v[6:7], -v[10:11]
	v_mul_f64 v[6:7], v[6:7], v[8:9]
	v_fmac_f64_e32 v[14:15], v[8:9], v[4:5]
	v_fmac_f64_e32 v[6:7], v[10:11], v[4:5]
	global_atomic_add_f64 v[12:13], v[14:15], off
	global_atomic_add_f64 v[12:13], v[6:7], off offset:8
                                        ; implicit-def: $vgpr4_vgpr5
.LBB107_109:
	s_andn2_saveexec_b64 s[0:1], s[0:1]
	s_cbranch_execz .LBB107_111
; %bb.110:
	global_load_dwordx4 v[4:7], v[4:5], off
	ds_read_b128 v[8:11], v20 offset:12288
	v_subrev_u32_e32 v12, s4, v2
	v_mov_b32_e32 v13, 0x4000
	v_lshl_add_u32 v14, v12, 4, v13
	s_waitcnt vmcnt(0) lgkmcnt(0)
	v_mul_f64 v[12:13], v[6:7], -v[10:11]
	v_mul_f64 v[6:7], v[6:7], v[8:9]
	v_fmac_f64_e32 v[12:13], v[8:9], v[4:5]
	v_fmac_f64_e32 v[6:7], v[10:11], v[4:5]
	ds_add_f64 v14, v[12:13]
	ds_add_f64 v14, v[6:7] offset:8
.LBB107_111:
	s_or_b64 exec, exec, s[2:3]
	v_lshl_add_u64 v[2:3], v[2:3], 4, s[18:19]
	global_load_dwordx4 v[2:5], v[2:3], off
	ds_read_b128 v[6:9], v20 offset:12288
	s_waitcnt vmcnt(0) lgkmcnt(0)
	v_mul_f64 v[10:11], v[4:5], -v[8:9]
	v_mul_f64 v[12:13], v[4:5], v[6:7]
	v_fmac_f64_e32 v[10:11], v[6:7], v[2:3]
	v_fmac_f64_e32 v[12:13], v[8:9], v[2:3]
	ds_write_b128 v20, v[10:13] offset:12288
.LBB107_112:
	s_or_b64 exec, exec, s[16:17]
	v_mov_b64_e32 v[2:3], s[6:7]
	v_cmp_lt_i64_e32 vcc, s[22:23], v[2:3]
	s_and_b64 s[0:1], vcc, exec
	s_cselect_b32 s16, s22, s6
	s_cselect_b32 s0, s23, s7
	s_sub_u32 s2, s16, s26
	s_subb_u32 s3, s0, s27
	v_cmp_gt_i64_e32 vcc, s[2:3], v[0:1]
	s_waitcnt lgkmcnt(0)
	s_barrier
	s_and_saveexec_b64 s[0:1], vcc
	s_cbranch_execz .LBB107_115
; %bb.113:
	v_mov_b64_e32 v[2:3], s[6:7]
	v_cmp_gt_i64_e32 vcc, s[22:23], v[2:3]
	s_and_b64 s[4:5], vcc, exec
	s_cselect_b32 s5, s23, s7
	s_cselect_b32 s4, s22, s6
	v_lshlrev_b32_e32 v2, 4, v0
	v_mov_b32_e32 v3, 0
	v_lshl_add_u64 v[2:3], s[4:5], 4, v[2:3]
	s_lshl_b64 s[4:5], s[6:7], 4
	v_mov_b32_e32 v4, s5
	v_subrev_co_u32_e32 v2, vcc, s4, v2
	v_or_b32_e32 v2, 8, v2
	s_nop 0
	v_subb_co_u32_e32 v3, vcc, v3, v4, vcc
	v_mov_b32_e32 v4, 0x4000
	v_lshl_add_u64 v[2:3], s[24:25], 0, v[2:3]
	v_lshl_add_u32 v6, v0, 4, v4
	s_mov_b64 s[4:5], 0
	s_mov_b64 s[6:7], 0x100
	;; [unrolled: 1-line block ×3, first 2 shown]
	v_mov_b64_e32 v[4:5], v[0:1]
.LBB107_114:                            ; =>This Inner Loop Header: Depth=1
	ds_read2_b64 v[8:11], v6 offset1:1
	v_lshl_add_u64 v[4:5], v[4:5], 0, s[6:7]
	v_cmp_le_i64_e32 vcc, s[2:3], v[4:5]
	v_add_u32_e32 v6, 0x1000, v6
	s_or_b64 s[4:5], vcc, s[4:5]
	s_waitcnt lgkmcnt(0)
	global_atomic_add_f64 v[2:3], v[8:9], off offset:-8
	global_atomic_add_f64 v[2:3], v[10:11], off
	v_lshl_add_u64 v[2:3], v[2:3], 0, s[14:15]
	s_andn2_b64 exec, exec, s[4:5]
	s_cbranch_execnz .LBB107_114
.LBB107_115:
	s_or_b64 exec, exec, s[0:1]
	s_add_i32 s0, s34, -1
	s_ashr_i32 s1, s0, 1
	s_or_b32 s0, s1, s0
	s_ashr_i32 s1, s0, 2
	s_or_b32 s0, s1, s0
	;; [unrolled: 2-line block ×5, first 2 shown]
	s_add_i32 s0, s0, 1
	s_ashr_i32 s3, s0, 1
	v_lshl_add_u64 v[6:7], s[20:21], 0, v[0:1]
	s_cmp_gt_i32 s3, 1
	s_mov_b64 s[0:1], -1
	s_barrier
	s_cbranch_scc1 .LBB107_124
; %bb.116:
	v_cmp_gt_i64_e32 vcc, s[22:23], v[6:7]
	s_and_saveexec_b64 s[0:1], vcc
	s_cbranch_execz .LBB107_123
; %bb.117:
	s_sub_i32 s4, s16, s22
	s_lshl_b32 s4, s4, 4
	s_add_i32 s16, s4, 0x4000
	s_lshl_b32 s4, s8, 4
	s_sub_i32 s17, 0, s4
	s_mov_b64 s[4:5], 0
	v_mov_b64_e32 v[8:9], v[6:7]
	s_branch .LBB107_119
.LBB107_118:                            ;   in Loop: Header=BB107_119 Depth=1
	s_or_b64 exec, exec, s[6:7]
	v_lshl_add_u32 v2, v8, 4, s16
	ds_read2_b64 v[2:5], v2 offset1:1
	s_waitcnt lgkmcnt(0)
	v_add_f64 v[2:3], v[12:13], v[2:3]
	v_add_f64 v[4:5], v[10:11], v[4:5]
	v_lshl_add_u64 v[10:11], v[8:9], 4, s[24:25]
	global_atomic_add_f64 v[10:11], v[2:3], off
	global_atomic_add_f64 v[10:11], v[4:5], off offset:8
	v_lshl_add_u64 v[8:9], v[8:9], 0, s[30:31]
	v_cmp_le_i64_e32 vcc, s[22:23], v[8:9]
	s_or_b64 s[4:5], vcc, s[4:5]
	s_andn2_b64 exec, exec, s[4:5]
	s_cbranch_execz .LBB107_123
.LBB107_119:                            ; =>This Loop Header: Depth=1
                                        ;     Child Loop BB107_121 Depth 2
	v_lshl_add_u64 v[2:3], v[8:9], 3, s[12:13]
	global_load_dwordx4 v[2:5], v[2:3], off
	v_mov_b64_e32 v[10:11], 0
	v_mov_b64_e32 v[12:13], 0
	s_waitcnt vmcnt(0)
	v_cmp_lt_i64_e32 vcc, v[2:3], v[4:5]
	s_and_saveexec_b64 s[6:7], vcc
	s_cbranch_execz .LBB107_118
; %bb.120:                              ;   in Loop: Header=BB107_119 Depth=1
	v_mov_b32_e32 v10, s9
	v_subrev_co_u32_e32 v4, vcc, s8, v4
	s_mov_b64 s[14:15], 0
	s_nop 0
	v_subb_co_u32_e32 v5, vcc, v5, v10, vcc
	v_subrev_co_u32_e32 v14, vcc, s8, v2
	v_lshl_add_u32 v2, v2, 4, s17
	s_nop 0
	v_subb_co_u32_e32 v15, vcc, v3, v10, vcc
	v_mov_b64_e32 v[10:11], 0
	v_mov_b64_e32 v[12:13], 0
.LBB107_121:                            ;   Parent Loop BB107_119 Depth=1
                                        ; =>  This Inner Loop Header: Depth=2
	ds_read_b128 v[16:19], v2
	v_lshl_add_u64 v[14:15], v[14:15], 0, 1
	v_cmp_ge_i64_e32 vcc, v[14:15], v[4:5]
	v_add_u32_e32 v2, 16, v2
	s_or_b64 s[14:15], vcc, s[14:15]
	s_waitcnt lgkmcnt(0)
	v_add_f64 v[12:13], v[12:13], v[16:17]
	v_add_f64 v[10:11], v[10:11], v[18:19]
	s_andn2_b64 exec, exec, s[14:15]
	s_cbranch_execnz .LBB107_121
; %bb.122:                              ;   in Loop: Header=BB107_119 Depth=1
	s_or_b64 exec, exec, s[14:15]
	s_branch .LBB107_118
.LBB107_123:
	s_or_b64 exec, exec, s[0:1]
	s_mov_b64 s[0:1], 0
.LBB107_124:
	s_andn2_b64 vcc, exec, s[0:1]
	s_cbranch_vccnz .LBB107_141
; %bb.125:
	v_cvt_f32_u32_e32 v2, s3
	s_sub_i32 s12, 0, s3
	v_mov_b32_e32 v3, 0
	v_rcp_iflag_f32_e32 v2, v2
	s_nop 0
	v_mul_f32_e32 v2, 0x4f7ffffe, v2
	v_cvt_u32_f32_e32 v2, v2
	v_mul_lo_u32 v4, s12, v2
	v_mul_hi_u32 v4, v2, v4
	v_add_u32_e32 v2, v2, v4
	v_mul_hi_u32 v2, v0, v2
	v_mul_lo_u32 v4, v2, s3
	v_sub_u32_e32 v4, v0, v4
	v_add_u32_e32 v5, 1, v2
	v_cmp_le_u32_e32 vcc, s3, v4
	s_nop 1
	v_cndmask_b32_e32 v2, v2, v5, vcc
	v_subrev_u32_e32 v5, s3, v4
	v_cndmask_b32_e32 v4, v4, v5, vcc
	v_add_u32_e32 v5, 1, v2
	v_cmp_le_u32_e32 vcc, s3, v4
	s_nop 1
	v_cndmask_b32_e32 v2, v2, v5, vcc
	v_lshl_add_u64 v[4:5], v[2:3], 3, s[10:11]
	global_load_dwordx4 v[8:11], v[4:5], off
	v_mov_b32_e32 v4, s9
	v_mov_b32_e32 v5, s9
	s_waitcnt vmcnt(0)
	v_subrev_co_u32_e32 v8, vcc, s8, v8
	s_nop 1
	v_subb_co_u32_e32 v9, vcc, v9, v4, vcc
	v_subrev_co_u32_e32 v16, vcc, s8, v10
	v_mov_b32_e32 v10, v3
	s_nop 0
	v_subb_co_u32_e32 v17, vcc, v11, v5, vcc
	v_sub_co_u32_e32 v4, vcc, v16, v8
	s_nop 1
	v_subb_co_u32_e32 v5, vcc, v17, v9, vcc
	v_mov_b32_e32 v11, v5
	v_cmp_ne_u64_e32 vcc, 0, v[10:11]
                                        ; implicit-def: $vgpr10_vgpr11
	s_and_saveexec_b64 s[0:1], vcc
	s_xor_b64 s[4:5], exec, s[0:1]
	s_cbranch_execz .LBB107_127
; %bb.126:
	s_add_u32 s0, s3, 0
	s_addc_u32 s1, 0, 0
	s_xor_b64 s[6:7], s[0:1], 0
	v_cvt_f32_u32_e32 v10, s6
	v_cvt_f32_u32_e32 v11, s7
	s_sub_u32 s8, 0, s6
	s_subb_u32 s9, 0, s7
	v_ashrrev_i32_e32 v12, 31, v5
	v_fmamk_f32 v10, v11, 0x4f800000, v10
	v_rcp_f32_e32 v10, v10
	v_mov_b32_e32 v13, v12
	v_lshl_add_u64 v[4:5], v[4:5], 0, v[12:13]
	v_xor_b32_e32 v18, v4, v12
	v_mul_f32_e32 v10, 0x5f7ffffc, v10
	v_mul_f32_e32 v11, 0x2f800000, v10
	v_trunc_f32_e32 v11, v11
	v_fmamk_f32 v10, v11, 0xcf800000, v10
	v_cvt_u32_f32_e32 v11, v11
	v_cvt_u32_f32_e32 v10, v10
	v_xor_b32_e32 v13, v5, v12
	v_readfirstlane_b32 s10, v11
	v_readfirstlane_b32 s0, v10
	s_mul_i32 s1, s8, s10
	s_mul_hi_u32 s13, s8, s0
	s_mul_i32 s11, s9, s0
	s_add_i32 s1, s13, s1
	s_mul_i32 s14, s8, s0
	s_add_i32 s1, s1, s11
	s_mul_i32 s13, s0, s1
	s_mul_hi_u32 s15, s0, s14
	s_mul_hi_u32 s11, s0, s1
	s_add_u32 s13, s15, s13
	s_addc_u32 s11, 0, s11
	s_mul_hi_u32 s16, s10, s14
	s_mul_i32 s14, s10, s14
	s_add_u32 s13, s13, s14
	s_mul_hi_u32 s15, s10, s1
	s_addc_u32 s11, s11, s16
	s_addc_u32 s13, s15, 0
	s_mul_i32 s1, s10, s1
	s_add_u32 s1, s11, s1
	s_addc_u32 s11, 0, s13
	s_add_u32 s13, s0, s1
	s_cselect_b64 s[0:1], -1, 0
	s_cmp_lg_u64 s[0:1], 0
	s_addc_u32 s10, s10, s11
	s_mul_i32 s0, s8, s10
	s_mul_hi_u32 s1, s8, s13
	s_add_i32 s0, s1, s0
	s_mul_i32 s9, s9, s13
	s_add_i32 s0, s0, s9
	s_mul_i32 s8, s8, s13
	s_mul_hi_u32 s9, s10, s8
	s_mul_i32 s11, s10, s8
	s_mul_i32 s15, s13, s0
	s_mul_hi_u32 s8, s13, s8
	s_mul_hi_u32 s14, s13, s0
	s_add_u32 s8, s8, s15
	s_addc_u32 s14, 0, s14
	s_add_u32 s8, s8, s11
	s_mul_hi_u32 s1, s10, s0
	s_addc_u32 s8, s14, s9
	s_addc_u32 s1, s1, 0
	s_mul_i32 s0, s10, s0
	s_add_u32 s0, s8, s0
	s_addc_u32 s8, 0, s1
	s_add_u32 s9, s13, s0
	s_cselect_b64 s[0:1], -1, 0
	s_cmp_lg_u64 s[0:1], 0
	s_addc_u32 s8, s10, s8
	v_mad_u64_u32 v[4:5], s[0:1], v18, s8, 0
	v_mul_hi_u32 v10, v18, s9
	v_mov_b32_e32 v11, v3
	v_lshl_add_u64 v[4:5], v[10:11], 0, v[4:5]
	v_mad_u64_u32 v[14:15], s[0:1], v13, s9, 0
	v_add_co_u32_e32 v4, vcc, v4, v14
	v_mad_u64_u32 v[10:11], s[0:1], v13, s8, 0
	s_nop 0
	v_addc_co_u32_e32 v4, vcc, v5, v15, vcc
	v_mov_b32_e32 v5, v3
	s_nop 0
	v_addc_co_u32_e32 v11, vcc, 0, v11, vcc
	v_lshl_add_u64 v[4:5], v[4:5], 0, v[10:11]
	v_mul_lo_u32 v14, s7, v4
	v_mul_lo_u32 v15, s6, v5
	v_mad_u64_u32 v[10:11], s[0:1], s6, v4, 0
	v_add3_u32 v19, v11, v15, v14
	v_sub_u32_e32 v11, v13, v19
	v_mov_b32_e32 v14, s7
	v_sub_co_u32_e32 v18, vcc, v18, v10
	s_nop 1
	v_subb_co_u32_e64 v10, s[0:1], v11, v14, vcc
	v_subrev_co_u32_e64 v11, s[0:1], s6, v18
	v_subb_co_u32_e32 v13, vcc, v13, v19, vcc
	s_nop 0
	v_subbrev_co_u32_e64 v10, s[0:1], 0, v10, s[0:1]
	v_cmp_le_u32_e64 s[0:1], s7, v10
	v_cmp_le_u32_e32 vcc, s7, v13
	s_nop 0
	v_cndmask_b32_e64 v14, 0, -1, s[0:1]
	v_cmp_le_u32_e64 s[0:1], s6, v11
	s_nop 1
	v_cndmask_b32_e64 v11, 0, -1, s[0:1]
	v_cmp_eq_u32_e64 s[0:1], s7, v10
	s_nop 1
	v_cndmask_b32_e64 v21, v14, v11, s[0:1]
	v_lshl_add_u64 v[10:11], v[4:5], 0, 2
	v_lshl_add_u64 v[14:15], v[4:5], 0, 1
	v_cmp_ne_u32_e64 s[0:1], 0, v21
	s_nop 1
	v_cndmask_b32_e64 v11, v15, v11, s[0:1]
	v_cndmask_b32_e64 v15, 0, -1, vcc
	v_cmp_le_u32_e32 vcc, s6, v18
	v_cndmask_b32_e64 v10, v14, v10, s[0:1]
	s_nop 0
	v_cndmask_b32_e64 v18, 0, -1, vcc
	v_cmp_eq_u32_e32 vcc, s7, v13
	s_nop 1
	v_cndmask_b32_e32 v13, v15, v18, vcc
	v_cmp_ne_u32_e32 vcc, 0, v13
	s_nop 1
	v_cndmask_b32_e32 v4, v4, v10, vcc
	v_cndmask_b32_e32 v5, v5, v11, vcc
	v_xor_b32_e32 v4, v4, v12
	v_xor_b32_e32 v5, v5, v12
	v_sub_co_u32_e32 v10, vcc, v4, v12
                                        ; implicit-def: $vgpr4
	s_nop 1
	v_subb_co_u32_e32 v11, vcc, v5, v12, vcc
.LBB107_127:
	s_andn2_saveexec_b64 s[0:1], s[4:5]
	s_cbranch_execz .LBB107_129
; %bb.128:
	v_cvt_f32_u32_e32 v5, s3
	v_rcp_iflag_f32_e32 v5, v5
	s_nop 0
	v_mul_f32_e32 v5, 0x4f7ffffe, v5
	v_cvt_u32_f32_e32 v5, v5
	v_mul_lo_u32 v10, s12, v5
	v_mul_hi_u32 v10, v5, v10
	v_add_u32_e32 v5, v5, v10
	v_mul_hi_u32 v5, v4, v5
	v_mul_lo_u32 v10, v5, s3
	v_sub_u32_e32 v4, v4, v10
	v_add_u32_e32 v11, 1, v5
	v_subrev_u32_e32 v10, s3, v4
	v_cmp_le_u32_e32 vcc, s3, v4
	s_nop 1
	v_cndmask_b32_e32 v4, v4, v10, vcc
	v_cndmask_b32_e32 v5, v5, v11, vcc
	v_add_u32_e32 v10, 1, v5
	v_cmp_le_u32_e32 vcc, s3, v4
	v_mov_b32_e32 v11, 0
	s_nop 0
	v_cndmask_b32_e32 v10, v5, v10, vcc
.LBB107_129:
	s_or_b64 exec, exec, s[0:1]
	v_cmp_gt_i64_e32 vcc, s[26:27], v[2:3]
	v_mov_b64_e32 v[4:5], 0
	v_mov_b64_e32 v[2:3], 0
	s_and_saveexec_b64 s[0:1], vcc
	s_cbranch_execz .LBB107_137
; %bb.130:
	s_add_i32 s4, s3, -1
	v_and_b32_e32 v12, s4, v0
	s_mov_b64 s[4:5], 0
	v_cmp_lt_i64_e32 vcc, 0, v[10:11]
	v_mov_b64_e32 v[4:5], 0
	v_lshlrev_b32_e32 v18, 4, v12
	v_mov_b64_e32 v[2:3], 0
	s_and_saveexec_b64 s[6:7], vcc
	s_cbranch_execz .LBB107_134
; %bb.131:
	v_mov_b64_e32 v[4:5], 0
	v_lshl_add_u32 v13, v8, 4, v18
	s_lshl_b32 s8, s3, 4
	v_mov_b64_e32 v[14:15], v[10:11]
	v_mov_b64_e32 v[2:3], v[4:5]
.LBB107_132:                            ; =>This Inner Loop Header: Depth=1
	ds_read_b128 v[22:25], v13
	v_lshl_add_u64 v[14:15], v[14:15], 0, -1
	v_cmp_eq_u64_e32 vcc, 0, v[14:15]
	v_add_u32_e32 v13, s8, v13
	s_or_b64 s[4:5], vcc, s[4:5]
	s_waitcnt lgkmcnt(0)
	v_add_f64 v[2:3], v[2:3], v[22:23]
	v_add_f64 v[4:5], v[4:5], v[24:25]
	s_andn2_b64 exec, exec, s[4:5]
	s_cbranch_execnz .LBB107_132
; %bb.133:
	s_or_b64 exec, exec, s[4:5]
.LBB107_134:
	s_or_b64 exec, exec, s[6:7]
	v_mad_u64_u32 v[8:9], s[4:5], v10, s3, v[8:9]
	v_mov_b32_e32 v10, v9
	v_mad_u64_u32 v[10:11], s[4:5], v11, s3, v[10:11]
	v_sub_co_u32_e32 v14, vcc, v16, v8
	v_mov_b32_e32 v13, 0
	s_nop 0
	v_subb_co_u32_e32 v15, vcc, v17, v10, vcc
	v_cmp_gt_i64_e32 vcc, v[14:15], v[12:13]
	s_and_saveexec_b64 s[4:5], vcc
	s_cbranch_execz .LBB107_136
; %bb.135:
	v_lshl_add_u32 v8, v8, 4, v18
	ds_read_b128 v[8:11], v8
	s_waitcnt lgkmcnt(0)
	v_add_f64 v[2:3], v[2:3], v[8:9]
	v_add_f64 v[4:5], v[4:5], v[10:11]
.LBB107_136:
	s_or_b64 exec, exec, s[4:5]
.LBB107_137:
	s_or_b64 exec, exec, s[0:1]
	v_cmp_gt_i64_e32 vcc, s[26:27], v[0:1]
	s_barrier
	ds_write_b128 v20, v[2:5]
	s_waitcnt lgkmcnt(0)
	s_barrier
	s_and_b64 exec, exec, vcc
	s_cbranch_execz .LBB107_141
; %bb.138:
	v_mul_lo_u32 v1, s3, v0
	v_lshlrev_b32_e32 v1, 4, v1
	v_mov_b64_e32 v[2:3], 0
	v_mov_b64_e32 v[4:5], 0
.LBB107_139:                            ; =>This Inner Loop Header: Depth=1
	ds_read_b128 v[8:11], v1
	s_add_i32 s3, s3, -1
	v_add_u32_e32 v1, 16, v1
	s_cmp_eq_u32 s3, 0
	s_waitcnt lgkmcnt(0)
	v_add_f64 v[4:5], v[4:5], v[8:9]
	v_add_f64 v[2:3], v[2:3], v[10:11]
	s_cbranch_scc0 .LBB107_139
; %bb.140:
	s_lshl_b32 s0, s2, 4
	s_addk_i32 s0, 0x4000
	v_lshl_add_u32 v0, v0, 4, s0
	ds_read2_b64 v[8:11], v0 offset1:1
	s_waitcnt lgkmcnt(0)
	v_add_f64 v[0:1], v[4:5], v[8:9]
	v_lshl_add_u64 v[4:5], v[6:7], 4, s[24:25]
	v_add_f64 v[2:3], v[2:3], v[10:11]
	global_atomic_add_f64 v[4:5], v[0:1], off
	global_atomic_add_f64 v[4:5], v[2:3], off offset:8
.LBB107_141:
	s_endpgm
	.section	.rodata,"a",@progbits
	.p2align	6, 0x0
	.amdhsa_kernel _ZN9rocsparseL27csrmvn_symm_adaptive_kernelIlld21rocsparse_complex_numIdES2_S2_EEvbT_S3_PKS3_NS_24const_host_device_scalarIT4_EES5_PKT0_PKT1_PKT2_S8_PT3_21rocsparse_index_base_b
		.amdhsa_group_segment_fixed_size 16384
		.amdhsa_private_segment_fixed_size 0
		.amdhsa_kernarg_size 368
		.amdhsa_user_sgpr_count 2
		.amdhsa_user_sgpr_dispatch_ptr 0
		.amdhsa_user_sgpr_queue_ptr 0
		.amdhsa_user_sgpr_kernarg_segment_ptr 1
		.amdhsa_user_sgpr_dispatch_id 0
		.amdhsa_user_sgpr_kernarg_preload_length 0
		.amdhsa_user_sgpr_kernarg_preload_offset 0
		.amdhsa_user_sgpr_private_segment_size 0
		.amdhsa_uses_dynamic_stack 0
		.amdhsa_enable_private_segment 0
		.amdhsa_system_sgpr_workgroup_id_x 1
		.amdhsa_system_sgpr_workgroup_id_y 0
		.amdhsa_system_sgpr_workgroup_id_z 0
		.amdhsa_system_sgpr_workgroup_info 0
		.amdhsa_system_vgpr_workitem_id 0
		.amdhsa_next_free_vgpr 30
		.amdhsa_next_free_sgpr 52
		.amdhsa_accum_offset 32
		.amdhsa_reserve_vcc 1
		.amdhsa_float_round_mode_32 0
		.amdhsa_float_round_mode_16_64 0
		.amdhsa_float_denorm_mode_32 3
		.amdhsa_float_denorm_mode_16_64 3
		.amdhsa_dx10_clamp 1
		.amdhsa_ieee_mode 1
		.amdhsa_fp16_overflow 0
		.amdhsa_tg_split 0
		.amdhsa_exception_fp_ieee_invalid_op 0
		.amdhsa_exception_fp_denorm_src 0
		.amdhsa_exception_fp_ieee_div_zero 0
		.amdhsa_exception_fp_ieee_overflow 0
		.amdhsa_exception_fp_ieee_underflow 0
		.amdhsa_exception_fp_ieee_inexact 0
		.amdhsa_exception_int_div_zero 0
	.end_amdhsa_kernel
	.section	.text._ZN9rocsparseL27csrmvn_symm_adaptive_kernelIlld21rocsparse_complex_numIdES2_S2_EEvbT_S3_PKS3_NS_24const_host_device_scalarIT4_EES5_PKT0_PKT1_PKT2_S8_PT3_21rocsparse_index_base_b,"axG",@progbits,_ZN9rocsparseL27csrmvn_symm_adaptive_kernelIlld21rocsparse_complex_numIdES2_S2_EEvbT_S3_PKS3_NS_24const_host_device_scalarIT4_EES5_PKT0_PKT1_PKT2_S8_PT3_21rocsparse_index_base_b,comdat
.Lfunc_end107:
	.size	_ZN9rocsparseL27csrmvn_symm_adaptive_kernelIlld21rocsparse_complex_numIdES2_S2_EEvbT_S3_PKS3_NS_24const_host_device_scalarIT4_EES5_PKT0_PKT1_PKT2_S8_PT3_21rocsparse_index_base_b, .Lfunc_end107-_ZN9rocsparseL27csrmvn_symm_adaptive_kernelIlld21rocsparse_complex_numIdES2_S2_EEvbT_S3_PKS3_NS_24const_host_device_scalarIT4_EES5_PKT0_PKT1_PKT2_S8_PT3_21rocsparse_index_base_b
                                        ; -- End function
	.set _ZN9rocsparseL27csrmvn_symm_adaptive_kernelIlld21rocsparse_complex_numIdES2_S2_EEvbT_S3_PKS3_NS_24const_host_device_scalarIT4_EES5_PKT0_PKT1_PKT2_S8_PT3_21rocsparse_index_base_b.num_vgpr, 30
	.set _ZN9rocsparseL27csrmvn_symm_adaptive_kernelIlld21rocsparse_complex_numIdES2_S2_EEvbT_S3_PKS3_NS_24const_host_device_scalarIT4_EES5_PKT0_PKT1_PKT2_S8_PT3_21rocsparse_index_base_b.num_agpr, 0
	.set _ZN9rocsparseL27csrmvn_symm_adaptive_kernelIlld21rocsparse_complex_numIdES2_S2_EEvbT_S3_PKS3_NS_24const_host_device_scalarIT4_EES5_PKT0_PKT1_PKT2_S8_PT3_21rocsparse_index_base_b.numbered_sgpr, 52
	.set _ZN9rocsparseL27csrmvn_symm_adaptive_kernelIlld21rocsparse_complex_numIdES2_S2_EEvbT_S3_PKS3_NS_24const_host_device_scalarIT4_EES5_PKT0_PKT1_PKT2_S8_PT3_21rocsparse_index_base_b.num_named_barrier, 0
	.set _ZN9rocsparseL27csrmvn_symm_adaptive_kernelIlld21rocsparse_complex_numIdES2_S2_EEvbT_S3_PKS3_NS_24const_host_device_scalarIT4_EES5_PKT0_PKT1_PKT2_S8_PT3_21rocsparse_index_base_b.private_seg_size, 0
	.set _ZN9rocsparseL27csrmvn_symm_adaptive_kernelIlld21rocsparse_complex_numIdES2_S2_EEvbT_S3_PKS3_NS_24const_host_device_scalarIT4_EES5_PKT0_PKT1_PKT2_S8_PT3_21rocsparse_index_base_b.uses_vcc, 1
	.set _ZN9rocsparseL27csrmvn_symm_adaptive_kernelIlld21rocsparse_complex_numIdES2_S2_EEvbT_S3_PKS3_NS_24const_host_device_scalarIT4_EES5_PKT0_PKT1_PKT2_S8_PT3_21rocsparse_index_base_b.uses_flat_scratch, 0
	.set _ZN9rocsparseL27csrmvn_symm_adaptive_kernelIlld21rocsparse_complex_numIdES2_S2_EEvbT_S3_PKS3_NS_24const_host_device_scalarIT4_EES5_PKT0_PKT1_PKT2_S8_PT3_21rocsparse_index_base_b.has_dyn_sized_stack, 0
	.set _ZN9rocsparseL27csrmvn_symm_adaptive_kernelIlld21rocsparse_complex_numIdES2_S2_EEvbT_S3_PKS3_NS_24const_host_device_scalarIT4_EES5_PKT0_PKT1_PKT2_S8_PT3_21rocsparse_index_base_b.has_recursion, 0
	.set _ZN9rocsparseL27csrmvn_symm_adaptive_kernelIlld21rocsparse_complex_numIdES2_S2_EEvbT_S3_PKS3_NS_24const_host_device_scalarIT4_EES5_PKT0_PKT1_PKT2_S8_PT3_21rocsparse_index_base_b.has_indirect_call, 0
	.section	.AMDGPU.csdata,"",@progbits
; Kernel info:
; codeLenInByte = 7924
; TotalNumSgprs: 58
; NumVgprs: 30
; NumAgprs: 0
; TotalNumVgprs: 30
; ScratchSize: 0
; MemoryBound: 0
; FloatMode: 240
; IeeeMode: 1
; LDSByteSize: 16384 bytes/workgroup (compile time only)
; SGPRBlocks: 7
; VGPRBlocks: 3
; NumSGPRsForWavesPerEU: 58
; NumVGPRsForWavesPerEU: 30
; AccumOffset: 32
; Occupancy: 8
; WaveLimiterHint : 1
; COMPUTE_PGM_RSRC2:SCRATCH_EN: 0
; COMPUTE_PGM_RSRC2:USER_SGPR: 2
; COMPUTE_PGM_RSRC2:TRAP_HANDLER: 0
; COMPUTE_PGM_RSRC2:TGID_X_EN: 1
; COMPUTE_PGM_RSRC2:TGID_Y_EN: 0
; COMPUTE_PGM_RSRC2:TGID_Z_EN: 0
; COMPUTE_PGM_RSRC2:TIDIG_COMP_CNT: 0
; COMPUTE_PGM_RSRC3_GFX90A:ACCUM_OFFSET: 7
; COMPUTE_PGM_RSRC3_GFX90A:TG_SPLIT: 0
	.section	.text._ZL33csrmvn_symm_large_adaptive_kernelIlld21rocsparse_complex_numIdES1_S1_EvbT_PKS2_N9rocsparse24const_host_device_scalarIT4_EES4_PKT0_PKT1_PKT2_S8_PT3_21rocsparse_index_base_b,"axG",@progbits,_ZL33csrmvn_symm_large_adaptive_kernelIlld21rocsparse_complex_numIdES1_S1_EvbT_PKS2_N9rocsparse24const_host_device_scalarIT4_EES4_PKT0_PKT1_PKT2_S8_PT3_21rocsparse_index_base_b,comdat
	.globl	_ZL33csrmvn_symm_large_adaptive_kernelIlld21rocsparse_complex_numIdES1_S1_EvbT_PKS2_N9rocsparse24const_host_device_scalarIT4_EES4_PKT0_PKT1_PKT2_S8_PT3_21rocsparse_index_base_b ; -- Begin function _ZL33csrmvn_symm_large_adaptive_kernelIlld21rocsparse_complex_numIdES1_S1_EvbT_PKS2_N9rocsparse24const_host_device_scalarIT4_EES4_PKT0_PKT1_PKT2_S8_PT3_21rocsparse_index_base_b
	.p2align	8
	.type	_ZL33csrmvn_symm_large_adaptive_kernelIlld21rocsparse_complex_numIdES1_S1_EvbT_PKS2_N9rocsparse24const_host_device_scalarIT4_EES4_PKT0_PKT1_PKT2_S8_PT3_21rocsparse_index_base_b,@function
_ZL33csrmvn_symm_large_adaptive_kernelIlld21rocsparse_complex_numIdES1_S1_EvbT_PKS2_N9rocsparse24const_host_device_scalarIT4_EES4_PKT0_PKT1_PKT2_S8_PT3_21rocsparse_index_base_b: ; @_ZL33csrmvn_symm_large_adaptive_kernelIlld21rocsparse_complex_numIdES1_S1_EvbT_PKS2_N9rocsparse24const_host_device_scalarIT4_EES4_PKT0_PKT1_PKT2_S8_PT3_21rocsparse_index_base_b
; %bb.0:
	s_load_dwordx2 s[10:11], s[0:1], 0x60
	s_load_dwordx2 s[4:5], s[0:1], 0x18
	s_add_u32 s3, s0, 24
	s_addc_u32 s12, s1, 0
	s_waitcnt lgkmcnt(0)
	s_bitcmp1_b32 s11, 0
	s_cselect_b64 s[8:9], -1, 0
	s_and_b64 s[6:7], s[8:9], exec
	s_cselect_b32 s5, s12, s5
	s_cselect_b32 s3, s3, s4
	v_mov_b32_e32 v2, s3
	v_mov_b32_e32 v3, s5
	flat_load_dwordx4 v[2:5], v[2:3]
	s_waitcnt vmcnt(0) lgkmcnt(0)
	v_cmp_eq_f64_e32 vcc, 0, v[2:3]
	v_cmp_eq_f64_e64 s[4:5], 0, v[4:5]
	s_and_b64 s[12:13], vcc, s[4:5]
	s_mov_b64 s[4:5], -1
	s_and_saveexec_b64 s[6:7], s[12:13]
	s_cbranch_execz .LBB108_2
; %bb.1:
	s_load_dwordx2 s[4:5], s[0:1], 0x48
	s_add_u32 s3, s0, 0x48
	s_addc_u32 s11, s1, 0
	s_and_b64 s[8:9], s[8:9], exec
	s_waitcnt lgkmcnt(0)
	s_cselect_b32 s5, s11, s5
	s_cselect_b32 s3, s3, s4
	v_mov_b32_e32 v6, s3
	v_mov_b32_e32 v7, s5
	flat_load_dwordx4 v[6:9], v[6:7]
	s_waitcnt vmcnt(0) lgkmcnt(0)
	v_cmp_neq_f64_e32 vcc, 1.0, v[6:7]
	v_cmp_neq_f64_e64 s[4:5], 0, v[8:9]
	s_or_b64 s[4:5], vcc, s[4:5]
	s_orn2_b64 s[4:5], s[4:5], exec
.LBB108_2:
	s_or_b64 exec, exec, s[6:7]
	s_and_saveexec_b64 s[6:7], s[4:5]
	s_cbranch_execz .LBB108_38
; %bb.3:
	s_load_dwordx2 s[8:9], s[0:1], 0x10
	s_mov_b32 s4, 0
	s_ashr_i32 s3, s2, 31
	s_mov_b32 s6, s4
	s_mov_b32 s7, s4
	s_lshl_b64 s[2:3], s[2:3], 3
	s_mov_b32 s5, s4
	v_mov_b64_e32 v[8:9], s[6:7]
	s_waitcnt lgkmcnt(0)
	s_add_u32 s2, s8, s2
	v_lshlrev_b32_e32 v18, 4, v0
	v_mov_b64_e32 v[6:7], s[4:5]
	s_addc_u32 s3, s9, s3
	ds_write_b128 v18, v[6:9]
	ds_write_b128 v18, v[6:9] offset:4096
	ds_write_b128 v18, v[6:9] offset:8192
	;; [unrolled: 1-line block ×3, first 2 shown]
	s_waitcnt lgkmcnt(0)
	s_barrier
	s_load_dwordx4 s[20:23], s[2:3], 0x0
	s_load_dwordx2 s[24:25], s[0:1], 0x58
	s_load_dwordx8 s[12:19], s[0:1], 0x28
	v_subrev_co_u32_e64 v10, s[0:1], s10, v0
	s_waitcnt lgkmcnt(0)
	v_mov_b64_e32 v[6:7], s[22:23]
	v_cmp_ge_i64_e32 vcc, s[20:21], v[6:7]
	v_mov_b32_e32 v19, 0
	v_subb_co_u32_e64 v11, s[0:1], 0, 0, s[0:1]
	s_cbranch_vccnz .LBB108_29
; %bb.4:
	s_movk_i32 s0, 0x100
	v_cmp_gt_u32_e64 s[0:1], s0, v0
	v_cmp_gt_u32_e64 s[2:3], 64, v0
	;; [unrolled: 1-line block ×4, first 2 shown]
	v_cmp_eq_u32_e64 s[8:9], 0, v0
	s_mov_b64 s[26:27], 0x100
	s_mov_b64 s[28:29], 0x800
	v_mov_b64_e32 v[0:1], s[22:23]
	s_mov_b64 s[30:31], s[20:21]
	s_branch .LBB108_6
.LBB108_5:                              ;   in Loop: Header=BB108_6 Depth=1
	s_or_b64 exec, exec, s[34:35]
	s_add_u32 s30, s30, 1
	s_addc_u32 s31, s31, 0
	v_cmp_ge_i64_e32 vcc, s[30:31], v[0:1]
	s_cbranch_vccnz .LBB108_29
.LBB108_6:                              ; =>This Loop Header: Depth=1
                                        ;     Child Loop BB108_8 Depth 2
                                        ;     Child Loop BB108_22 Depth 2
	;; [unrolled: 1-line block ×3, first 2 shown]
	s_lshl_b64 s[34:35], s[30:31], 3
	s_add_u32 s34, s12, s34
	s_addc_u32 s35, s13, s35
	s_load_dwordx4 s[40:43], s[34:35], 0x0
	v_mov_b64_e32 v[8:9], 0
	v_mov_b64_e32 v[6:7], 0
	s_waitcnt lgkmcnt(0)
	s_sub_u32 s36, s42, s10
	v_lshl_add_u64 v[12:13], s[40:41], 0, v[10:11]
	s_subb_u32 s37, s43, 0
	v_cmp_gt_i64_e32 vcc, s[36:37], v[12:13]
	s_and_saveexec_b64 s[34:35], vcc
	s_cbranch_execz .LBB108_10
; %bb.7:                                ;   in Loop: Header=BB108_6 Depth=1
	v_lshlrev_b64 v[6:7], 3, v[12:13]
	v_mov_b64_e32 v[8:9], 0
	v_lshl_add_u64 v[14:15], s[14:15], 0, v[6:7]
	v_lshl_add_u64 v[16:17], s[16:17], 0, v[6:7]
	s_mov_b64 s[38:39], 0
	v_mov_b64_e32 v[6:7], v[8:9]
.LBB108_8:                              ;   Parent Loop BB108_6 Depth=1
                                        ; =>  This Inner Loop Header: Depth=2
	global_load_dwordx2 v[20:21], v[14:15], off
	global_load_dwordx2 v[24:25], v[16:17], off
	v_lshl_add_u64 v[12:13], v[12:13], 0, s[26:27]
	v_lshl_add_u64 v[14:15], v[14:15], 0, s[28:29]
	;; [unrolled: 1-line block ×3, first 2 shown]
	s_waitcnt vmcnt(1)
	v_subrev_co_u32_e32 v20, vcc, s10, v20
	s_nop 1
	v_subbrev_co_u32_e32 v21, vcc, 0, v21, vcc
	v_lshl_add_u64 v[20:21], v[20:21], 4, s[18:19]
	global_load_dwordx4 v[20:23], v[20:21], off
	v_cmp_le_i64_e32 vcc, s[36:37], v[12:13]
	s_or_b64 s[38:39], vcc, s[38:39]
	s_waitcnt vmcnt(0)
	v_fmac_f64_e32 v[6:7], v[24:25], v[20:21]
	v_fmac_f64_e32 v[8:9], 0, v[20:21]
	;; [unrolled: 1-line block ×4, first 2 shown]
	s_andn2_b64 exec, exec, s[38:39]
	s_cbranch_execnz .LBB108_8
; %bb.9:                                ;   in Loop: Header=BB108_6 Depth=1
	s_or_b64 exec, exec, s[38:39]
.LBB108_10:                             ;   in Loop: Header=BB108_6 Depth=1
	s_or_b64 exec, exec, s[34:35]
	ds_write_b128 v18, v[6:9]
	s_waitcnt lgkmcnt(0)
	s_barrier
	s_and_saveexec_b64 s[34:35], s[0:1]
	s_cbranch_execz .LBB108_12
; %bb.11:                               ;   in Loop: Header=BB108_6 Depth=1
	ds_read_b128 v[6:9], v18 offset:4096
	ds_read_b128 v[12:15], v18 offset:8192
	ds_read_b128 v[20:23], v18 offset:12288
	ds_read_b128 v[24:27], v18
	s_waitcnt lgkmcnt(2)
	v_add_f64 v[6:7], v[12:13], v[6:7]
	v_add_f64 v[8:9], v[14:15], v[8:9]
	s_waitcnt lgkmcnt(1)
	v_add_f64 v[6:7], v[6:7], v[20:21]
	v_add_f64 v[8:9], v[8:9], v[22:23]
	s_waitcnt lgkmcnt(0)
	v_add_f64 v[6:7], v[6:7], v[24:25]
	v_add_f64 v[8:9], v[8:9], v[26:27]
	ds_write_b128 v18, v[6:9]
.LBB108_12:                             ;   in Loop: Header=BB108_6 Depth=1
	s_or_b64 exec, exec, s[34:35]
	s_waitcnt lgkmcnt(0)
	s_barrier
	s_and_saveexec_b64 s[34:35], s[2:3]
	s_cbranch_execz .LBB108_14
; %bb.13:                               ;   in Loop: Header=BB108_6 Depth=1
	ds_read_b128 v[6:9], v18 offset:1024
	ds_read_b128 v[12:15], v18 offset:2048
	ds_read_b128 v[20:23], v18 offset:3072
	ds_read_b128 v[24:27], v18
	s_waitcnt lgkmcnt(2)
	v_add_f64 v[6:7], v[12:13], v[6:7]
	v_add_f64 v[8:9], v[14:15], v[8:9]
	s_waitcnt lgkmcnt(1)
	v_add_f64 v[6:7], v[6:7], v[20:21]
	v_add_f64 v[8:9], v[8:9], v[22:23]
	s_waitcnt lgkmcnt(0)
	v_add_f64 v[6:7], v[6:7], v[24:25]
	v_add_f64 v[8:9], v[8:9], v[26:27]
	ds_write_b128 v18, v[6:9]
.LBB108_14:                             ;   in Loop: Header=BB108_6 Depth=1
	s_or_b64 exec, exec, s[34:35]
	s_waitcnt lgkmcnt(0)
	s_barrier
	s_and_saveexec_b64 s[34:35], s[4:5]
	s_cbranch_execz .LBB108_16
; %bb.15:                               ;   in Loop: Header=BB108_6 Depth=1
	ds_read_b128 v[6:9], v18 offset:256
	ds_read_b128 v[12:15], v18 offset:512
	ds_read_b128 v[20:23], v18 offset:768
	ds_read_b128 v[24:27], v18
	s_waitcnt lgkmcnt(2)
	v_add_f64 v[6:7], v[12:13], v[6:7]
	v_add_f64 v[8:9], v[14:15], v[8:9]
	s_waitcnt lgkmcnt(1)
	v_add_f64 v[6:7], v[6:7], v[20:21]
	v_add_f64 v[8:9], v[8:9], v[22:23]
	s_waitcnt lgkmcnt(0)
	v_add_f64 v[6:7], v[6:7], v[24:25]
	v_add_f64 v[8:9], v[8:9], v[26:27]
	ds_write_b128 v18, v[6:9]
.LBB108_16:                             ;   in Loop: Header=BB108_6 Depth=1
	s_or_b64 exec, exec, s[34:35]
	s_waitcnt lgkmcnt(0)
	s_barrier
	s_and_saveexec_b64 s[34:35], s[6:7]
	s_cbranch_execz .LBB108_18
; %bb.17:                               ;   in Loop: Header=BB108_6 Depth=1
	ds_read_b128 v[6:9], v18 offset:64
	ds_read_b128 v[12:15], v18 offset:128
	ds_read_b128 v[20:23], v18 offset:192
	ds_read_b128 v[24:27], v18
	s_waitcnt lgkmcnt(2)
	v_add_f64 v[6:7], v[12:13], v[6:7]
	v_add_f64 v[8:9], v[14:15], v[8:9]
	s_waitcnt lgkmcnt(1)
	v_add_f64 v[6:7], v[6:7], v[20:21]
	v_add_f64 v[8:9], v[8:9], v[22:23]
	s_waitcnt lgkmcnt(0)
	v_add_f64 v[6:7], v[6:7], v[24:25]
	v_add_f64 v[8:9], v[8:9], v[26:27]
	ds_write_b128 v18, v[6:9]
.LBB108_18:                             ;   in Loop: Header=BB108_6 Depth=1
	s_or_b64 exec, exec, s[34:35]
	s_waitcnt lgkmcnt(0)
	s_barrier
	s_and_saveexec_b64 s[34:35], s[8:9]
	s_cbranch_execz .LBB108_20
; %bb.19:                               ;   in Loop: Header=BB108_6 Depth=1
	ds_read_b128 v[6:9], v19 offset:16
	ds_read_b128 v[12:15], v19 offset:32
	ds_read_b128 v[20:23], v19 offset:48
	ds_read_b128 v[24:27], v18
	s_waitcnt lgkmcnt(2)
	v_add_f64 v[6:7], v[12:13], v[6:7]
	v_add_f64 v[8:9], v[14:15], v[8:9]
	s_waitcnt lgkmcnt(1)
	v_add_f64 v[6:7], v[6:7], v[20:21]
	v_add_f64 v[8:9], v[8:9], v[22:23]
	s_waitcnt lgkmcnt(0)
	v_add_f64 v[6:7], v[6:7], v[24:25]
	v_add_f64 v[8:9], v[8:9], v[26:27]
	ds_write_b128 v18, v[6:9]
.LBB108_20:                             ;   in Loop: Header=BB108_6 Depth=1
	s_or_b64 exec, exec, s[34:35]
	s_waitcnt lgkmcnt(0)
	s_barrier
	s_and_saveexec_b64 s[34:35], s[8:9]
	s_cbranch_execz .LBB108_5
; %bb.21:                               ;   in Loop: Header=BB108_6 Depth=1
	ds_read_b128 v[6:9], v19
	v_mov_b32_e32 v12, 0
	s_mov_b64 s[36:37], exec
	v_bfrev_b32_e32 v13, 1
	s_waitcnt lgkmcnt(0)
	v_mul_f64 v[14:15], v[8:9], -v[4:5]
	v_fmac_f64_e32 v[14:15], v[2:3], v[6:7]
.LBB108_22:                             ;   Parent Loop BB108_6 Depth=1
                                        ; =>  This Inner Loop Header: Depth=2
	s_ff1_i32_b64 s11, s[36:37]
	s_lshl_b64 s[40:41], 1, s11
	v_readlane_b32 s39, v15, s11
	v_readlane_b32 s38, v14, s11
	s_andn2_b64 s[36:37], s[36:37], s[40:41]
	s_cmp_lg_u64 s[36:37], 0
	v_add_f64 v[12:13], v[12:13], s[38:39]
	s_cbranch_scc1 .LBB108_22
; %bb.23:                               ;   in Loop: Header=BB108_6 Depth=1
	s_lshl_b64 s[36:37], s[30:31], 4
	v_mbcnt_lo_u32_b32 v14, exec_lo, 0
	s_add_u32 s36, s24, s36
	v_mbcnt_hi_u32_b32 v14, exec_hi, v14
	s_addc_u32 s37, s25, s37
	v_cmp_eq_u32_e32 vcc, 0, v14
	s_and_saveexec_b64 s[38:39], vcc
	s_xor_b64 s[38:39], exec, s[38:39]
	s_cbranch_execz .LBB108_25
; %bb.24:                               ;   in Loop: Header=BB108_6 Depth=1
	global_atomic_add_f64 v19, v[12:13], s[36:37]
.LBB108_25:                             ;   in Loop: Header=BB108_6 Depth=1
	s_or_b64 exec, exec, s[38:39]
	v_mul_f64 v[8:9], v[2:3], v[8:9]
	v_fmac_f64_e32 v[8:9], v[4:5], v[6:7]
	v_mov_b32_e32 v6, 0
	s_mov_b64 s[38:39], exec
	v_bfrev_b32_e32 v7, 1
.LBB108_26:                             ;   Parent Loop BB108_6 Depth=1
                                        ; =>  This Inner Loop Header: Depth=2
	s_ff1_i32_b64 s11, s[38:39]
	s_lshl_b64 s[42:43], 1, s11
	v_readlane_b32 s41, v9, s11
	v_readlane_b32 s40, v8, s11
	s_andn2_b64 s[38:39], s[38:39], s[42:43]
	s_cmp_lg_u64 s[38:39], 0
	v_add_f64 v[6:7], v[6:7], s[40:41]
	s_cbranch_scc1 .LBB108_26
; %bb.27:                               ;   in Loop: Header=BB108_6 Depth=1
	v_mbcnt_lo_u32_b32 v8, exec_lo, 0
	v_mbcnt_hi_u32_b32 v8, exec_hi, v8
	v_cmp_eq_u32_e32 vcc, 0, v8
	s_and_saveexec_b64 s[38:39], vcc
	s_xor_b64 s[38:39], exec, s[38:39]
	s_cbranch_execz .LBB108_5
; %bb.28:                               ;   in Loop: Header=BB108_6 Depth=1
	global_atomic_add_f64 v19, v[6:7], s[36:37] offset:8
	s_branch .LBB108_5
.LBB108_29:
	s_lshl_b64 s[0:1], s[20:21], 3
	s_add_u32 s0, s12, s0
	s_addc_u32 s1, s13, s1
	s_lshl_b64 s[2:3], s[22:23], 3
	s_add_u32 s2, s12, s2
	s_addc_u32 s3, s13, s3
	s_load_dwordx2 s[4:5], s[2:3], 0x0
	s_load_dwordx2 s[6:7], s[0:1], 0x0
	s_waitcnt lgkmcnt(0)
	s_sub_u32 s4, s4, s10
	s_subb_u32 s5, s5, 0
	v_lshl_add_u64 v[0:1], s[6:7], 0, v[10:11]
	v_cmp_gt_i64_e32 vcc, s[4:5], v[0:1]
	s_and_b64 exec, exec, vcc
	s_cbranch_execz .LBB108_38
; %bb.30:
	s_add_u32 s6, s22, -1
	s_addc_u32 s7, s23, -1
	s_add_u32 s0, s22, -2
	s_addc_u32 s1, s23, -1
	v_mov_b64_e32 v[6:7], s[6:7]
	s_cmp_lg_u64 s[20:21], s[0:1]
	v_cmp_lt_i64_e32 vcc, s[20:21], v[6:7]
	s_cselect_b64 s[0:1], -1, 0
	s_mov_b32 s2, 0
	s_and_b64 s[0:1], vcc, s[0:1]
	s_brev_b32 s3, 1
	v_cndmask_b32_e64 v10, 0, 1, s[0:1]
	v_mul_f64 v[6:7], v[4:5], s[2:3]
	s_mov_b64 s[8:9], 0
	v_mul_f64 v[8:9], v[2:3], 0
	v_cmp_ne_u32_e64 s[0:1], 1, v10
	v_mov_b32_e32 v11, 0
	s_mov_b64 s[22:23], 0x100
	s_branch .LBB108_32
.LBB108_31:                             ;   in Loop: Header=BB108_32 Depth=1
	s_or_b64 exec, exec, s[2:3]
	v_lshl_add_u64 v[0:1], v[0:1], 0, s[22:23]
	v_cmp_le_i64_e32 vcc, s[4:5], v[0:1]
	s_or_b64 s[8:9], vcc, s[8:9]
	s_andn2_b64 exec, exec, s[8:9]
	s_cbranch_execz .LBB108_38
.LBB108_32:                             ; =>This Loop Header: Depth=1
                                        ;     Child Loop BB108_34 Depth 2
	s_and_b64 vcc, exec, s[0:1]
	v_mov_b64_e32 v[12:13], s[20:21]
	v_mov_b64_e32 v[14:15], s[6:7]
	s_cbranch_vccnz .LBB108_36
; %bb.33:                               ;   in Loop: Header=BB108_32 Depth=1
	s_mov_b64 s[26:27], 0
	v_mov_b64_e32 v[12:13], s[20:21]
	v_mov_b64_e32 v[14:15], s[6:7]
.LBB108_34:                             ;   Parent Loop BB108_32 Depth=1
                                        ; =>  This Inner Loop Header: Depth=2
	v_lshl_add_u64 v[16:17], v[14:15], 0, v[12:13]
	v_lshrrev_b32_e32 v10, 31, v17
	v_lshl_add_u64 v[16:17], v[16:17], 0, v[10:11]
	v_ashrrev_i64 v[16:17], 1, v[16:17]
	v_lshl_add_u64 v[18:19], v[16:17], 3, s[12:13]
	global_load_dwordx2 v[18:19], v[18:19], off
	s_waitcnt vmcnt(0)
	v_subrev_co_u32_e32 v18, vcc, s10, v18
	s_nop 1
	v_subbrev_co_u32_e32 v19, vcc, 0, v19, vcc
	v_cmp_lt_i64_e32 vcc, v[0:1], v[18:19]
	s_nop 1
	v_cndmask_b32_e32 v15, v15, v17, vcc
	v_cndmask_b32_e32 v14, v14, v16, vcc
	;; [unrolled: 1-line block ×4, first 2 shown]
	v_lshl_add_u64 v[16:17], v[14:15], 0, -1
	v_cmp_ge_i64_e32 vcc, v[12:13], v[14:15]
	v_cmp_eq_u64_e64 s[2:3], v[12:13], v[16:17]
	s_or_b64 s[2:3], vcc, s[2:3]
	s_and_b64 s[2:3], exec, s[2:3]
	s_or_b64 s[26:27], s[2:3], s[26:27]
	s_andn2_b64 exec, exec, s[26:27]
	s_cbranch_execnz .LBB108_34
; %bb.35:                               ;   in Loop: Header=BB108_32 Depth=1
	s_or_b64 exec, exec, s[26:27]
.LBB108_36:                             ;   in Loop: Header=BB108_32 Depth=1
	v_lshl_add_u64 v[16:17], v[14:15], 3, s[12:13]
	global_load_dwordx2 v[16:17], v[16:17], off
	v_lshl_add_u64 v[18:19], v[0:1], 3, s[14:15]
	global_load_dwordx2 v[18:19], v[18:19], off
	s_waitcnt vmcnt(1)
	v_subrev_co_u32_e32 v16, vcc, s10, v16
	s_nop 1
	v_subbrev_co_u32_e32 v17, vcc, 0, v17, vcc
	v_cmp_lt_i64_e32 vcc, v[0:1], v[16:17]
	s_nop 1
	v_cndmask_b32_e32 v15, v15, v13, vcc
	v_cndmask_b32_e32 v14, v14, v12, vcc
	s_waitcnt vmcnt(0)
	v_subrev_co_u32_e32 v12, vcc, s10, v18
	s_nop 1
	v_subbrev_co_u32_e32 v13, vcc, 0, v19, vcc
	v_cmp_ne_u64_e32 vcc, v[12:13], v[14:15]
	s_and_saveexec_b64 s[2:3], vcc
	s_cbranch_execz .LBB108_31
; %bb.37:                               ;   in Loop: Header=BB108_32 Depth=1
	v_lshl_add_u64 v[16:17], v[0:1], 3, s[16:17]
	global_load_dwordx2 v[18:19], v[16:17], off
	v_lshl_add_u64 v[14:15], v[14:15], 4, s[18:19]
	global_load_dwordx4 v[14:17], v[14:15], off
	v_lshl_add_u64 v[12:13], v[12:13], 4, s[24:25]
	s_waitcnt vmcnt(1)
	v_fma_f64 v[20:21], v[2:3], v[18:19], v[6:7]
	v_fma_f64 v[18:19], v[4:5], v[18:19], v[8:9]
	s_waitcnt vmcnt(0)
	v_mul_f64 v[22:23], v[16:17], -v[18:19]
	v_mul_f64 v[16:17], v[20:21], v[16:17]
	v_fmac_f64_e32 v[22:23], v[20:21], v[14:15]
	v_fmac_f64_e32 v[16:17], v[18:19], v[14:15]
	global_atomic_add_f64 v[12:13], v[22:23], off
	global_atomic_add_f64 v[12:13], v[16:17], off offset:8
	s_branch .LBB108_31
.LBB108_38:
	s_endpgm
	.section	.rodata,"a",@progbits
	.p2align	6, 0x0
	.amdhsa_kernel _ZL33csrmvn_symm_large_adaptive_kernelIlld21rocsparse_complex_numIdES1_S1_EvbT_PKS2_N9rocsparse24const_host_device_scalarIT4_EES4_PKT0_PKT1_PKT2_S8_PT3_21rocsparse_index_base_b
		.amdhsa_group_segment_fixed_size 16384
		.amdhsa_private_segment_fixed_size 0
		.amdhsa_kernarg_size 104
		.amdhsa_user_sgpr_count 2
		.amdhsa_user_sgpr_dispatch_ptr 0
		.amdhsa_user_sgpr_queue_ptr 0
		.amdhsa_user_sgpr_kernarg_segment_ptr 1
		.amdhsa_user_sgpr_dispatch_id 0
		.amdhsa_user_sgpr_kernarg_preload_length 0
		.amdhsa_user_sgpr_kernarg_preload_offset 0
		.amdhsa_user_sgpr_private_segment_size 0
		.amdhsa_uses_dynamic_stack 0
		.amdhsa_enable_private_segment 0
		.amdhsa_system_sgpr_workgroup_id_x 1
		.amdhsa_system_sgpr_workgroup_id_y 0
		.amdhsa_system_sgpr_workgroup_id_z 0
		.amdhsa_system_sgpr_workgroup_info 0
		.amdhsa_system_vgpr_workitem_id 0
		.amdhsa_next_free_vgpr 28
		.amdhsa_next_free_sgpr 44
		.amdhsa_accum_offset 28
		.amdhsa_reserve_vcc 1
		.amdhsa_float_round_mode_32 0
		.amdhsa_float_round_mode_16_64 0
		.amdhsa_float_denorm_mode_32 3
		.amdhsa_float_denorm_mode_16_64 3
		.amdhsa_dx10_clamp 1
		.amdhsa_ieee_mode 1
		.amdhsa_fp16_overflow 0
		.amdhsa_tg_split 0
		.amdhsa_exception_fp_ieee_invalid_op 0
		.amdhsa_exception_fp_denorm_src 0
		.amdhsa_exception_fp_ieee_div_zero 0
		.amdhsa_exception_fp_ieee_overflow 0
		.amdhsa_exception_fp_ieee_underflow 0
		.amdhsa_exception_fp_ieee_inexact 0
		.amdhsa_exception_int_div_zero 0
	.end_amdhsa_kernel
	.section	.text._ZL33csrmvn_symm_large_adaptive_kernelIlld21rocsparse_complex_numIdES1_S1_EvbT_PKS2_N9rocsparse24const_host_device_scalarIT4_EES4_PKT0_PKT1_PKT2_S8_PT3_21rocsparse_index_base_b,"axG",@progbits,_ZL33csrmvn_symm_large_adaptive_kernelIlld21rocsparse_complex_numIdES1_S1_EvbT_PKS2_N9rocsparse24const_host_device_scalarIT4_EES4_PKT0_PKT1_PKT2_S8_PT3_21rocsparse_index_base_b,comdat
.Lfunc_end108:
	.size	_ZL33csrmvn_symm_large_adaptive_kernelIlld21rocsparse_complex_numIdES1_S1_EvbT_PKS2_N9rocsparse24const_host_device_scalarIT4_EES4_PKT0_PKT1_PKT2_S8_PT3_21rocsparse_index_base_b, .Lfunc_end108-_ZL33csrmvn_symm_large_adaptive_kernelIlld21rocsparse_complex_numIdES1_S1_EvbT_PKS2_N9rocsparse24const_host_device_scalarIT4_EES4_PKT0_PKT1_PKT2_S8_PT3_21rocsparse_index_base_b
                                        ; -- End function
	.set _ZL33csrmvn_symm_large_adaptive_kernelIlld21rocsparse_complex_numIdES1_S1_EvbT_PKS2_N9rocsparse24const_host_device_scalarIT4_EES4_PKT0_PKT1_PKT2_S8_PT3_21rocsparse_index_base_b.num_vgpr, 28
	.set _ZL33csrmvn_symm_large_adaptive_kernelIlld21rocsparse_complex_numIdES1_S1_EvbT_PKS2_N9rocsparse24const_host_device_scalarIT4_EES4_PKT0_PKT1_PKT2_S8_PT3_21rocsparse_index_base_b.num_agpr, 0
	.set _ZL33csrmvn_symm_large_adaptive_kernelIlld21rocsparse_complex_numIdES1_S1_EvbT_PKS2_N9rocsparse24const_host_device_scalarIT4_EES4_PKT0_PKT1_PKT2_S8_PT3_21rocsparse_index_base_b.numbered_sgpr, 44
	.set _ZL33csrmvn_symm_large_adaptive_kernelIlld21rocsparse_complex_numIdES1_S1_EvbT_PKS2_N9rocsparse24const_host_device_scalarIT4_EES4_PKT0_PKT1_PKT2_S8_PT3_21rocsparse_index_base_b.num_named_barrier, 0
	.set _ZL33csrmvn_symm_large_adaptive_kernelIlld21rocsparse_complex_numIdES1_S1_EvbT_PKS2_N9rocsparse24const_host_device_scalarIT4_EES4_PKT0_PKT1_PKT2_S8_PT3_21rocsparse_index_base_b.private_seg_size, 0
	.set _ZL33csrmvn_symm_large_adaptive_kernelIlld21rocsparse_complex_numIdES1_S1_EvbT_PKS2_N9rocsparse24const_host_device_scalarIT4_EES4_PKT0_PKT1_PKT2_S8_PT3_21rocsparse_index_base_b.uses_vcc, 1
	.set _ZL33csrmvn_symm_large_adaptive_kernelIlld21rocsparse_complex_numIdES1_S1_EvbT_PKS2_N9rocsparse24const_host_device_scalarIT4_EES4_PKT0_PKT1_PKT2_S8_PT3_21rocsparse_index_base_b.uses_flat_scratch, 0
	.set _ZL33csrmvn_symm_large_adaptive_kernelIlld21rocsparse_complex_numIdES1_S1_EvbT_PKS2_N9rocsparse24const_host_device_scalarIT4_EES4_PKT0_PKT1_PKT2_S8_PT3_21rocsparse_index_base_b.has_dyn_sized_stack, 0
	.set _ZL33csrmvn_symm_large_adaptive_kernelIlld21rocsparse_complex_numIdES1_S1_EvbT_PKS2_N9rocsparse24const_host_device_scalarIT4_EES4_PKT0_PKT1_PKT2_S8_PT3_21rocsparse_index_base_b.has_recursion, 0
	.set _ZL33csrmvn_symm_large_adaptive_kernelIlld21rocsparse_complex_numIdES1_S1_EvbT_PKS2_N9rocsparse24const_host_device_scalarIT4_EES4_PKT0_PKT1_PKT2_S8_PT3_21rocsparse_index_base_b.has_indirect_call, 0
	.section	.AMDGPU.csdata,"",@progbits
; Kernel info:
; codeLenInByte = 2076
; TotalNumSgprs: 50
; NumVgprs: 28
; NumAgprs: 0
; TotalNumVgprs: 28
; ScratchSize: 0
; MemoryBound: 0
; FloatMode: 240
; IeeeMode: 1
; LDSByteSize: 16384 bytes/workgroup (compile time only)
; SGPRBlocks: 6
; VGPRBlocks: 3
; NumSGPRsForWavesPerEU: 50
; NumVGPRsForWavesPerEU: 28
; AccumOffset: 28
; Occupancy: 8
; WaveLimiterHint : 1
; COMPUTE_PGM_RSRC2:SCRATCH_EN: 0
; COMPUTE_PGM_RSRC2:USER_SGPR: 2
; COMPUTE_PGM_RSRC2:TRAP_HANDLER: 0
; COMPUTE_PGM_RSRC2:TGID_X_EN: 1
; COMPUTE_PGM_RSRC2:TGID_Y_EN: 0
; COMPUTE_PGM_RSRC2:TGID_Z_EN: 0
; COMPUTE_PGM_RSRC2:TIDIG_COMP_CNT: 0
; COMPUTE_PGM_RSRC3_GFX90A:ACCUM_OFFSET: 6
; COMPUTE_PGM_RSRC3_GFX90A:TG_SPLIT: 0
	.section	.text._ZN9rocsparseL22csrmvn_adaptive_kernelIii21rocsparse_complex_numIfES1_IdES3_S3_EEvbT_PKS4_PjPKT0_NS_24const_host_device_scalarIT4_EES6_SA_PKT1_PKT2_SD_PT3_21rocsparse_index_base_b,"axG",@progbits,_ZN9rocsparseL22csrmvn_adaptive_kernelIii21rocsparse_complex_numIfES1_IdES3_S3_EEvbT_PKS4_PjPKT0_NS_24const_host_device_scalarIT4_EES6_SA_PKT1_PKT2_SD_PT3_21rocsparse_index_base_b,comdat
	.globl	_ZN9rocsparseL22csrmvn_adaptive_kernelIii21rocsparse_complex_numIfES1_IdES3_S3_EEvbT_PKS4_PjPKT0_NS_24const_host_device_scalarIT4_EES6_SA_PKT1_PKT2_SD_PT3_21rocsparse_index_base_b ; -- Begin function _ZN9rocsparseL22csrmvn_adaptive_kernelIii21rocsparse_complex_numIfES1_IdES3_S3_EEvbT_PKS4_PjPKT0_NS_24const_host_device_scalarIT4_EES6_SA_PKT1_PKT2_SD_PT3_21rocsparse_index_base_b
	.p2align	8
	.type	_ZN9rocsparseL22csrmvn_adaptive_kernelIii21rocsparse_complex_numIfES1_IdES3_S3_EEvbT_PKS4_PjPKT0_NS_24const_host_device_scalarIT4_EES6_SA_PKT1_PKT2_SD_PT3_21rocsparse_index_base_b,@function
_ZN9rocsparseL22csrmvn_adaptive_kernelIii21rocsparse_complex_numIfES1_IdES3_S3_EEvbT_PKS4_PjPKT0_NS_24const_host_device_scalarIT4_EES6_SA_PKT1_PKT2_SD_PT3_21rocsparse_index_base_b: ; @_ZN9rocsparseL22csrmvn_adaptive_kernelIii21rocsparse_complex_numIfES1_IdES3_S3_EEvbT_PKS4_PjPKT0_NS_24const_host_device_scalarIT4_EES6_SA_PKT1_PKT2_SD_PT3_21rocsparse_index_base_b
; %bb.0:
	s_load_dwordx2 s[4:5], s[0:1], 0x20
	s_load_dwordx2 s[40:41], s[0:1], 0x68
	s_add_u32 s3, s0, 32
	s_addc_u32 s8, s1, 0
	s_add_u32 s9, s0, 0x50
	s_load_dwordx2 s[6:7], s[0:1], 0x50
	s_addc_u32 s10, s1, 0
	s_waitcnt lgkmcnt(0)
	s_bitcmp1_b32 s41, 0
	s_cselect_b32 s5, s8, s5
	s_cselect_b32 s3, s3, s4
	v_mov_b32_e32 v2, s3
	v_mov_b32_e32 v3, s5
	flat_load_dwordx4 v[6:9], v[2:3]
	s_cselect_b32 s3, s10, s7
	s_cselect_b32 s4, s9, s6
	v_mov_b32_e32 v2, s4
	v_mov_b32_e32 v3, s3
	flat_load_dwordx4 v[2:5], v[2:3]
	s_waitcnt vmcnt(0) lgkmcnt(0)
	v_cmp_eq_f64_e32 vcc, 0, v[6:7]
	v_cmp_eq_f64_e64 s[4:5], 0, v[8:9]
	s_and_b64 s[8:9], vcc, s[4:5]
	s_mov_b64 s[4:5], -1
	s_and_saveexec_b64 s[6:7], s[8:9]
; %bb.1:
	v_cmp_neq_f64_e32 vcc, 1.0, v[2:3]
	v_cmp_neq_f64_e64 s[4:5], 0, v[4:5]
	s_or_b64 s[4:5], vcc, s[4:5]
	s_orn2_b64 s[4:5], s[4:5], exec
; %bb.2:
	s_or_b64 exec, exec, s[6:7]
	s_and_saveexec_b64 s[6:7], s[4:5]
	s_cbranch_execz .LBB109_114
; %bb.3:
	s_load_dwordx4 s[36:39], s[0:1], 0x0
	s_load_dwordx2 s[4:5], s[0:1], 0x18
	s_waitcnt lgkmcnt(0)
	s_bitcmp1_b32 s36, 0
	s_cselect_b64 s[42:43], -1, 0
	s_ashr_i32 s3, s2, 31
	s_lshl_b64 s[46:47], s[2:3], 2
	s_add_u32 s6, s38, s46
	s_addc_u32 s7, s39, s47
	s_load_dwordx2 s[34:35], s[6:7], 0x0
	s_load_dwordx2 s[22:23], s[0:1], 0x60
	s_load_dwordx8 s[24:31], s[0:1], 0x30
	s_waitcnt lgkmcnt(0)
	s_sub_i32 s3, s35, s34
	s_add_u32 s4, s4, s46
	s_mov_b32 s44, s34
	s_addc_u32 s5, s5, s47
	s_ashr_i32 s45, s34, 31
	s_load_dword s33, s[4:5], 0x0
	s_lshl_b64 s[4:5], s[44:45], 2
	s_add_u32 s38, s24, s4
	s_addc_u32 s39, s25, s5
	s_load_dword s36, s[38:39], 0x0
	s_cmp_lt_i32 s3, 2
	s_mov_b64 s[4:5], -1
	s_cbranch_scc0 .LBB109_70
; %bb.4:
	s_cmp_lg_u32 s3, 1
	s_cselect_b64 s[4:5], -1, 0
	s_waitcnt lgkmcnt(0)
	s_cmp_lg_u32 s33, 0
	s_cselect_b64 s[6:7], -1, 0
	s_or_b64 s[4:5], s[4:5], s[6:7]
	s_mov_b64 s[18:19], -1
	s_and_b64 vcc, exec, s[4:5]
	v_cmp_gt_u32_e64 s[4:5], 64, v0
	v_cmp_gt_u32_e64 s[6:7], 32, v0
	;; [unrolled: 1-line block ×6, first 2 shown]
	v_cmp_eq_u32_e64 s[16:17], 0, v0
	s_cbranch_vccnz .LBB109_32
; %bb.5:
	v_cmp_neq_f64_e64 s[18:19], 0, v[2:3]
	v_cmp_neq_f64_e64 s[20:21], 0, v[4:5]
	s_or_b64 s[20:21], s[18:19], s[20:21]
	s_movk_i32 s3, 0x80
	s_add_u32 s48, s28, 4
	v_subrev_u32_e32 v1, s40, v0
	v_lshlrev_b32_e32 v20, 4, v0
	v_cmp_gt_u32_e32 vcc, s3, v0
	s_addc_u32 s49, s29, 0
	s_mov_b64 s[50:51], 0x800
	s_mov_b64 s[52:53], 0x400
	v_mov_b32_e32 v21, 0
	s_mov_b32 s54, s34
	s_branch .LBB109_8
.LBB109_6:                              ;   in Loop: Header=BB109_8 Depth=1
	s_or_b64 exec, exec, s[56:57]
	s_lshl_b64 s[56:57], s[54:55], 4
	s_add_u32 s56, s22, s56
	s_addc_u32 s57, s23, s57
	s_waitcnt lgkmcnt(0)
	global_store_dwordx4 v21, v[10:13], s[56:57]
.LBB109_7:                              ;   in Loop: Header=BB109_8 Depth=1
	s_or_b64 exec, exec, s[18:19]
	s_add_i32 s54, s54, 1
	s_cmp_ge_i32 s54, s35
	s_cbranch_scc1 .LBB109_31
.LBB109_8:                              ; =>This Loop Header: Depth=1
                                        ;     Child Loop BB109_10 Depth 2
	s_ashr_i32 s55, s54, 31
	s_lshl_b64 s[18:19], s[54:55], 2
	s_add_u32 s18, s24, s18
	s_addc_u32 s19, s25, s19
	s_load_dwordx2 s[56:57], s[18:19], 0x0
	v_mov_b64_e32 v[12:13], 0
	v_mov_b64_e32 v[10:11], 0
	s_waitcnt lgkmcnt(0)
	s_sub_i32 s3, s57, s40
	v_add_u32_e32 v14, s56, v1
	v_cmp_gt_i32_e64 s[18:19], s3, v14
	s_and_saveexec_b64 s[56:57], s[18:19]
	s_cbranch_execz .LBB109_12
; %bb.9:                                ;   in Loop: Header=BB109_8 Depth=1
	v_ashrrev_i32_e32 v15, 31, v14
	v_mov_b64_e32 v[12:13], 0
	v_lshl_add_u64 v[16:17], v[14:15], 3, s[48:49]
	v_lshl_add_u64 v[18:19], v[14:15], 2, s[26:27]
	s_mov_b64 s[58:59], 0
	v_mov_b64_e32 v[10:11], v[12:13]
.LBB109_10:                             ;   Parent Loop BB109_8 Depth=1
                                        ; =>  This Inner Loop Header: Depth=2
	global_load_dword v15, v[18:19], off
	global_load_dwordx2 v[26:27], v[16:17], off offset:-4
	v_add_u32_e32 v14, 0x100, v14
	v_cmp_le_i32_e64 s[18:19], s3, v14
	v_lshl_add_u64 v[16:17], v[16:17], 0, s[50:51]
	v_lshl_add_u64 v[18:19], v[18:19], 0, s[52:53]
	s_or_b64 s[58:59], s[18:19], s[58:59]
	s_waitcnt vmcnt(1)
	v_subrev_u32_e32 v22, s40, v15
	v_ashrrev_i32_e32 v23, 31, v22
	v_lshl_add_u64 v[22:23], v[22:23], 4, s[30:31]
	global_load_dwordx4 v[22:25], v[22:23], off
	s_waitcnt vmcnt(1)
	v_cndmask_b32_e64 v15, v27, -v27, s[42:43]
	v_cvt_f64_f32_e32 v[28:29], v15
	v_cvt_f64_f32_e32 v[26:27], v26
	v_mul_f64 v[30:31], -v[8:9], v[28:29]
	v_mul_f64 v[28:29], v[6:7], v[28:29]
	v_fmac_f64_e32 v[30:31], v[6:7], v[26:27]
	v_fmac_f64_e32 v[28:29], v[8:9], v[26:27]
	s_waitcnt vmcnt(0)
	v_fmac_f64_e32 v[10:11], v[30:31], v[22:23]
	v_fmac_f64_e32 v[12:13], v[28:29], v[22:23]
	v_fma_f64 v[10:11], -v[28:29], v[24:25], v[10:11]
	v_fmac_f64_e32 v[12:13], v[30:31], v[24:25]
	s_andn2_b64 exec, exec, s[58:59]
	s_cbranch_execnz .LBB109_10
; %bb.11:                               ;   in Loop: Header=BB109_8 Depth=1
	s_or_b64 exec, exec, s[58:59]
.LBB109_12:                             ;   in Loop: Header=BB109_8 Depth=1
	s_or_b64 exec, exec, s[56:57]
	ds_write_b128 v20, v[10:13]
	s_waitcnt lgkmcnt(0)
	s_barrier
	s_and_saveexec_b64 s[18:19], vcc
	s_cbranch_execz .LBB109_14
; %bb.13:                               ;   in Loop: Header=BB109_8 Depth=1
	ds_read_b128 v[10:13], v20 offset:2048
	ds_read_b128 v[14:17], v20
	s_waitcnt lgkmcnt(0)
	v_add_f64 v[10:11], v[10:11], v[14:15]
	v_add_f64 v[12:13], v[12:13], v[16:17]
	ds_write_b128 v20, v[10:13]
.LBB109_14:                             ;   in Loop: Header=BB109_8 Depth=1
	s_or_b64 exec, exec, s[18:19]
	s_waitcnt lgkmcnt(0)
	s_barrier
	s_and_saveexec_b64 s[18:19], s[4:5]
	s_cbranch_execz .LBB109_16
; %bb.15:                               ;   in Loop: Header=BB109_8 Depth=1
	ds_read_b128 v[10:13], v20 offset:1024
	ds_read_b128 v[14:17], v20
	s_waitcnt lgkmcnt(0)
	v_add_f64 v[10:11], v[10:11], v[14:15]
	v_add_f64 v[12:13], v[12:13], v[16:17]
	ds_write_b128 v20, v[10:13]
.LBB109_16:                             ;   in Loop: Header=BB109_8 Depth=1
	s_or_b64 exec, exec, s[18:19]
	s_waitcnt lgkmcnt(0)
	s_barrier
	s_and_saveexec_b64 s[18:19], s[6:7]
	;; [unrolled: 13-line block ×6, first 2 shown]
	s_cbranch_execz .LBB109_26
; %bb.25:                               ;   in Loop: Header=BB109_8 Depth=1
	ds_read_b128 v[10:13], v20
	ds_read_b128 v[14:17], v20 offset:32
	s_waitcnt lgkmcnt(0)
	v_add_f64 v[10:11], v[14:15], v[10:11]
	v_add_f64 v[12:13], v[16:17], v[12:13]
	ds_write_b128 v20, v[10:13]
.LBB109_26:                             ;   in Loop: Header=BB109_8 Depth=1
	s_or_b64 exec, exec, s[18:19]
	s_waitcnt lgkmcnt(0)
	s_barrier
	s_and_saveexec_b64 s[18:19], s[16:17]
	s_cbranch_execz .LBB109_28
; %bb.27:                               ;   in Loop: Header=BB109_8 Depth=1
	ds_read_b128 v[10:13], v21
	ds_read_b128 v[14:17], v21 offset:16
	s_waitcnt lgkmcnt(0)
	v_add_f64 v[10:11], v[14:15], v[10:11]
	v_add_f64 v[12:13], v[16:17], v[12:13]
	ds_write_b128 v21, v[10:13]
.LBB109_28:                             ;   in Loop: Header=BB109_8 Depth=1
	s_or_b64 exec, exec, s[18:19]
	s_waitcnt lgkmcnt(0)
	s_barrier
	s_and_saveexec_b64 s[18:19], s[16:17]
	s_cbranch_execz .LBB109_7
; %bb.29:                               ;   in Loop: Header=BB109_8 Depth=1
	ds_read_b128 v[10:13], v21
	s_and_saveexec_b64 s[56:57], s[20:21]
	s_cbranch_execz .LBB109_6
; %bb.30:                               ;   in Loop: Header=BB109_8 Depth=1
	s_lshl_b64 s[58:59], s[54:55], 4
	s_add_u32 s58, s22, s58
	s_addc_u32 s59, s23, s59
	global_load_dwordx4 v[14:17], v21, s[58:59]
	s_waitcnt vmcnt(0) lgkmcnt(0)
	v_fmac_f64_e32 v[10:11], v[2:3], v[14:15]
	v_fmac_f64_e32 v[12:13], v[4:5], v[14:15]
	v_fma_f64 v[10:11], -v[4:5], v[16:17], v[10:11]
	v_fmac_f64_e32 v[12:13], v[2:3], v[16:17]
	s_branch .LBB109_6
.LBB109_31:
	s_mov_b64 s[18:19], 0
.LBB109_32:
	s_and_b64 vcc, exec, s[18:19]
	s_cbranch_vccz .LBB109_69
; %bb.33:
	s_load_dwordx2 s[4:5], s[0:1], 0x10
	s_sub_i32 s2, s2, s33
	v_mov_b32_e32 v14, 0
	v_or_b32_e32 v10, s33, v0
	v_cmp_eq_u32_e32 vcc, 0, v10
	s_waitcnt lgkmcnt(0)
	s_add_u32 s0, s4, s46
	s_addc_u32 s1, s5, s47
	global_load_dword v1, v14, s[0:1]
	v_mov_b64_e32 v[10:11], 0
	v_mov_b64_e32 v[12:13], 0
	s_and_saveexec_b64 s[6:7], vcc
	s_cbranch_execz .LBB109_37
; %bb.34:
	s_lshl_b64 s[10:11], s[44:45], 4
	s_add_u32 s10, s22, s10
	s_addc_u32 s11, s23, s11
	global_load_dwordx4 v[14:17], v14, s[10:11]
	s_mov_b64 s[8:9], exec
	v_mbcnt_lo_u32_b32 v10, s8, 0
	v_add_f64 v[18:19], v[2:3], -1.0
	v_mbcnt_hi_u32_b32 v20, s9, v10
	v_cmp_eq_u32_e32 vcc, 0, v20
	s_waitcnt vmcnt(0) expcnt(0) lgkmcnt(0)
	v_mul_f64 v[10:11], v[16:17], -v[4:5]
	v_mul_f64 v[12:13], v[18:19], v[16:17]
	s_and_saveexec_b64 s[10:11], vcc
	s_cbranch_execz .LBB109_36
; %bb.35:
	s_ashr_i32 s3, s2, 31
	s_lshl_b64 s[12:13], s[2:3], 2
	s_add_u32 s12, s4, s12
	s_addc_u32 s13, s5, s13
	s_bcnt1_i32_b64 s3, s[8:9]
	s_and_b32 s3, s3, 1
	v_mov_b32_e32 v16, 0
	v_mov_b32_e32 v17, s3
	global_atomic_xor v16, v17, s[12:13]
.LBB109_36:
	s_or_b64 exec, exec, s[10:11]
	v_fmac_f64_e32 v[10:11], v[18:19], v[14:15]
	v_fmac_f64_e32 v[12:13], v[4:5], v[14:15]
.LBB109_37:
	s_or_b64 exec, exec, s[6:7]
	s_load_dword s6, s[38:39], 0x4
	s_mul_i32 s3, s33, 0xc00
	s_sub_i32 s7, s36, s40
	s_add_i32 s3, s7, s3
	v_add_u32_e32 v14, s3, v0
	s_waitcnt lgkmcnt(0)
	s_sub_i32 s8, s6, s40
	v_cmp_gt_i32_e32 vcc, s8, v14
	s_and_saveexec_b64 s[6:7], vcc
	s_cbranch_execz .LBB109_41
; %bb.38:
	v_ashrrev_i32_e32 v15, 31, v14
	s_addk_i32 s3, 0xc00
	v_lshl_add_u64 v[16:17], v[14:15], 3, s[28:29]
	s_min_i32 s3, s3, s8
	v_lshl_add_u64 v[16:17], v[16:17], 0, 4
	v_lshl_add_u64 v[18:19], v[14:15], 2, s[26:27]
	s_mov_b64 s[8:9], 0
	s_mov_b64 s[10:11], 0x800
	;; [unrolled: 1-line block ×3, first 2 shown]
.LBB109_39:                             ; =>This Inner Loop Header: Depth=1
	global_load_dword v15, v[18:19], off
	global_load_dwordx2 v[24:25], v[16:17], off offset:-4
	v_add_u32_e32 v14, 0x100, v14
	v_cmp_le_i32_e32 vcc, s3, v14
	v_lshl_add_u64 v[16:17], v[16:17], 0, s[10:11]
	v_lshl_add_u64 v[18:19], v[18:19], 0, s[12:13]
	s_or_b64 s[8:9], vcc, s[8:9]
	s_waitcnt vmcnt(1)
	v_subrev_u32_e32 v20, s40, v15
	v_ashrrev_i32_e32 v21, 31, v20
	v_lshl_add_u64 v[20:21], v[20:21], 4, s[30:31]
	global_load_dwordx4 v[20:23], v[20:21], off
	s_waitcnt vmcnt(1)
	v_cndmask_b32_e64 v15, v25, -v25, s[42:43]
	v_cvt_f64_f32_e32 v[26:27], v15
	v_cvt_f64_f32_e32 v[24:25], v24
	v_mul_f64 v[28:29], -v[8:9], v[26:27]
	v_mul_f64 v[26:27], v[6:7], v[26:27]
	v_fmac_f64_e32 v[28:29], v[6:7], v[24:25]
	v_fmac_f64_e32 v[26:27], v[8:9], v[24:25]
	s_waitcnt vmcnt(0)
	v_fmac_f64_e32 v[10:11], v[28:29], v[20:21]
	v_fmac_f64_e32 v[12:13], v[26:27], v[20:21]
	v_fma_f64 v[10:11], -v[26:27], v[22:23], v[10:11]
	v_fmac_f64_e32 v[12:13], v[28:29], v[22:23]
	s_andn2_b64 exec, exec, s[8:9]
	s_cbranch_execnz .LBB109_39
; %bb.40:
	s_or_b64 exec, exec, s[8:9]
.LBB109_41:
	s_or_b64 exec, exec, s[6:7]
	s_movk_i32 s3, 0x80
	v_lshlrev_b32_e32 v14, 4, v0
	v_cmp_gt_u32_e32 vcc, s3, v0
	ds_write_b128 v14, v[10:13]
	s_waitcnt lgkmcnt(0)
	s_barrier
	s_and_saveexec_b64 s[6:7], vcc
	s_cbranch_execz .LBB109_43
; %bb.42:
	ds_read_b128 v[10:13], v14 offset:2048
	ds_read_b128 v[16:19], v14
	s_waitcnt lgkmcnt(0)
	v_add_f64 v[10:11], v[10:11], v[16:17]
	v_add_f64 v[12:13], v[12:13], v[18:19]
	ds_write_b128 v14, v[10:13]
.LBB109_43:
	s_or_b64 exec, exec, s[6:7]
	v_cmp_gt_u32_e32 vcc, 64, v0
	s_waitcnt lgkmcnt(0)
	s_barrier
	s_and_saveexec_b64 s[6:7], vcc
	s_cbranch_execz .LBB109_45
; %bb.44:
	ds_read_b128 v[10:13], v14 offset:1024
	ds_read_b128 v[16:19], v14
	s_waitcnt lgkmcnt(0)
	v_add_f64 v[10:11], v[10:11], v[16:17]
	v_add_f64 v[12:13], v[12:13], v[18:19]
	ds_write_b128 v14, v[10:13]
.LBB109_45:
	s_or_b64 exec, exec, s[6:7]
	v_cmp_gt_u32_e32 vcc, 32, v0
	;; [unrolled: 14-line block ×6, first 2 shown]
	s_waitcnt lgkmcnt(0)
	s_barrier
	s_and_saveexec_b64 s[6:7], vcc
	s_cbranch_execz .LBB109_55
; %bb.54:
	ds_read_b128 v[10:13], v14
	ds_read_b128 v[16:19], v14 offset:32
	s_waitcnt lgkmcnt(0)
	v_add_f64 v[10:11], v[16:17], v[10:11]
	v_add_f64 v[12:13], v[18:19], v[12:13]
	ds_write_b128 v14, v[10:13]
.LBB109_55:
	s_or_b64 exec, exec, s[6:7]
	v_cmp_eq_u32_e32 vcc, 0, v0
	s_waitcnt lgkmcnt(0)
	s_barrier
	s_and_saveexec_b64 s[6:7], vcc
	s_cbranch_execz .LBB109_57
; %bb.56:
	v_mov_b32_e32 v18, 0
	ds_read_b128 v[10:13], v18
	ds_read_b128 v[14:17], v18 offset:16
	s_waitcnt lgkmcnt(0)
	v_add_f64 v[10:11], v[14:15], v[10:11]
	v_add_f64 v[12:13], v[16:17], v[12:13]
	ds_write_b128 v18, v[10:13]
.LBB109_57:
	s_or_b64 exec, exec, s[6:7]
	s_waitcnt lgkmcnt(0)
	s_barrier
	s_and_saveexec_b64 s[6:7], vcc
	s_cbranch_execz .LBB109_68
; %bb.58:
	s_cmp_eq_u32 s33, 0
	s_cbranch_scc1 .LBB109_64
; %bb.59:
	s_ashr_i32 s3, s2, 31
	s_lshl_b64 s[2:3], s[2:3], 2
	s_add_u32 s2, s4, s2
	s_addc_u32 s3, s5, s3
	v_mov_b32_e32 v10, 0
	s_branch .LBB109_61
.LBB109_60:                             ;   in Loop: Header=BB109_61 Depth=1
	s_or_b64 exec, exec, s[4:5]
	s_waitcnt vmcnt(0)
	v_readfirstlane_b32 s4, v11
	s_nop 1
	v_cmp_eq_u32_e32 vcc, s4, v1
	s_cbranch_vccz .LBB109_63
.LBB109_61:                             ; =>This Inner Loop Header: Depth=1
	v_mbcnt_lo_u32_b32 v11, exec_lo, 0
	v_mbcnt_hi_u32_b32 v11, exec_hi, v11
	v_cmp_eq_u32_e32 vcc, 0, v11
                                        ; implicit-def: $vgpr11
	s_and_saveexec_b64 s[4:5], vcc
	s_cbranch_execz .LBB109_60
; %bb.62:                               ;   in Loop: Header=BB109_61 Depth=1
	global_load_dword v11, v10, s[2:3] sc1
	s_branch .LBB109_60
.LBB109_63:
	v_mov_b32_e32 v1, 0
	global_load_ushort v10, v1, s[0:1]
	s_waitcnt vmcnt(0)
	v_xor_b32_e32 v10, 1, v10
	global_store_short v1, v10, s[0:1]
.LBB109_64:
	s_waitcnt vmcnt(0)
	v_mov_b32_e32 v1, 0
	ds_read_b128 v[10:13], v1
	s_mov_b64 s[2:3], exec
	s_lshl_b64 s[0:1], s[44:45], 4
	v_mbcnt_lo_u32_b32 v14, s2, 0
	s_add_u32 s0, s22, s0
	v_mbcnt_hi_u32_b32 v14, s3, v14
	s_addc_u32 s1, s23, s1
	v_cmp_eq_u32_e32 vcc, 0, v14
	s_and_saveexec_b64 s[4:5], vcc
	s_cbranch_execz .LBB109_66
; %bb.65:
	s_bcnt1_i32_b64 s2, s[2:3]
	v_cvt_f64_u32_e32 v[14:15], s2
	s_waitcnt lgkmcnt(0)
	v_mul_f64 v[10:11], v[10:11], v[14:15]
	global_atomic_add_f64 v1, v[10:11], s[0:1]
.LBB109_66:
	s_or_b64 exec, exec, s[4:5]
	s_mov_b64 s[2:3], exec
	v_mbcnt_lo_u32_b32 v1, s2, 0
	v_mbcnt_hi_u32_b32 v1, s3, v1
	v_cmp_eq_u32_e32 vcc, 0, v1
	s_and_b64 s[4:5], exec, vcc
	s_mov_b64 exec, s[4:5]
	s_cbranch_execz .LBB109_68
; %bb.67:
	s_bcnt1_i32_b64 s2, s[2:3]
	s_waitcnt lgkmcnt(0)
	v_cvt_f64_u32_e32 v[10:11], s2
	v_mul_f64 v[10:11], v[12:13], v[10:11]
	v_mov_b32_e32 v1, 0
	global_atomic_add_f64 v1, v[10:11], s[0:1] offset:8
.LBB109_68:
	s_or_b64 exec, exec, s[6:7]
.LBB109_69:
	s_mov_b64 s[4:5], 0
.LBB109_70:
	s_andn2_b64 vcc, exec, s[4:5]
	s_cbranch_vccnz .LBB109_114
; %bb.71:
	s_waitcnt vmcnt(0)
	v_subrev_u32_e32 v1, s40, v0
	s_waitcnt lgkmcnt(0)
	v_add_u32_e32 v10, s36, v1
	v_add_u32_e32 v1, 0x300, v10
	v_cmp_le_i32_e32 vcc, s37, v1
	s_and_saveexec_b64 s[0:1], vcc
	s_xor_b64 s[0:1], exec, s[0:1]
	s_cbranch_execz .LBB109_76
; %bb.72:
	s_ashr_i32 s3, s35, 31
	s_mov_b32 s2, s35
	s_lshl_b64 s[2:3], s[2:3], 2
	s_add_u32 s2, s24, s2
	s_addc_u32 s3, s25, s3
	s_load_dword s2, s[2:3], 0x0
	s_waitcnt lgkmcnt(0)
	s_sub_i32 s6, s2, s40
	v_cmp_gt_i32_e32 vcc, s6, v10
	s_and_saveexec_b64 s[2:3], vcc
	s_cbranch_execz .LBB109_75
; %bb.73:
	v_lshlrev_b32_e32 v1, 4, v0
	s_mov_b64 s[4:5], 0
.LBB109_74:                             ; =>This Inner Loop Header: Depth=1
	v_ashrrev_i32_e32 v11, 31, v10
	v_lshl_add_u64 v[12:13], v[10:11], 2, s[26:27]
	global_load_dword v14, v[12:13], off
	v_lshl_add_u64 v[12:13], v[10:11], 3, s[28:29]
	global_load_dwordx2 v[16:17], v[12:13], off
	v_add_u32_e32 v10, 0x100, v10
	v_cmp_le_i32_e32 vcc, s6, v10
	s_or_b64 s[4:5], vcc, s[4:5]
	s_waitcnt vmcnt(1)
	v_subrev_u32_e32 v12, s40, v14
	v_ashrrev_i32_e32 v13, 31, v12
	v_lshl_add_u64 v[12:13], v[12:13], 4, s[30:31]
	global_load_dwordx4 v[12:15], v[12:13], off
	s_waitcnt vmcnt(1)
	v_cndmask_b32_e64 v11, v17, -v17, s[42:43]
	v_cvt_f64_f32_e32 v[18:19], v11
	v_cvt_f64_f32_e32 v[16:17], v16
	v_mul_f64 v[20:21], -v[8:9], v[18:19]
	v_mul_f64 v[22:23], v[6:7], v[18:19]
	v_fmac_f64_e32 v[20:21], v[6:7], v[16:17]
	v_fmac_f64_e32 v[22:23], v[8:9], v[16:17]
	s_waitcnt vmcnt(0)
	v_mul_f64 v[16:17], v[14:15], -v[22:23]
	v_mul_f64 v[18:19], v[14:15], v[20:21]
	v_fmac_f64_e32 v[16:17], v[20:21], v[12:13]
	v_fmac_f64_e32 v[18:19], v[22:23], v[12:13]
	ds_write_b128 v1, v[16:19]
	v_add_u32_e32 v1, 0x1000, v1
	s_andn2_b64 exec, exec, s[4:5]
	s_cbranch_execnz .LBB109_74
.LBB109_75:
	s_or_b64 exec, exec, s[2:3]
                                        ; implicit-def: $vgpr10
                                        ; implicit-def: $vgpr8_vgpr9
.LBB109_76:
	s_or_saveexec_b64 s[0:1], s[0:1]
	v_lshlrev_b32_e32 v1, 4, v0
	s_xor_b64 exec, exec, s[0:1]
	s_cbranch_execz .LBB109_78
; %bb.77:
	v_ashrrev_i32_e32 v11, 31, v10
	v_lshl_add_u64 v[12:13], v[10:11], 2, s[26:27]
	global_load_dword v14, v[12:13], off
	global_load_dword v15, v[12:13], off offset:1024
	global_load_dword v16, v[12:13], off offset:2048
	;; [unrolled: 1-line block ×3, first 2 shown]
	s_movk_i32 s2, 0x1000
	v_lshl_add_u64 v[10:11], v[10:11], 3, s[28:29]
	global_load_dwordx2 v[26:27], v[10:11], off
	global_load_dwordx2 v[28:29], v[10:11], off offset:2048
	v_add_co_u32_e32 v10, vcc, s2, v10
	s_waitcnt vmcnt(3)
	v_subrev_u32_e32 v18, s40, v16
	v_addc_co_u32_e32 v11, vcc, 0, v11, vcc
	global_load_dwordx2 v[30:31], v[10:11], off
	global_load_dwordx2 v[32:33], v[10:11], off offset:2048
	v_subrev_u32_e32 v10, s40, v14
	v_subrev_u32_e32 v14, s40, v15
	s_waitcnt vmcnt(4)
	v_subrev_u32_e32 v22, s40, v17
	v_ashrrev_i32_e32 v11, 31, v10
	v_ashrrev_i32_e32 v15, 31, v14
	;; [unrolled: 1-line block ×4, first 2 shown]
	v_lshl_add_u64 v[10:11], v[10:11], 4, s[30:31]
	global_load_dwordx4 v[10:13], v[10:11], off
	v_lshl_add_u64 v[14:15], v[14:15], 4, s[30:31]
	v_lshl_add_u64 v[18:19], v[18:19], 4, s[30:31]
	;; [unrolled: 1-line block ×3, first 2 shown]
	global_load_dwordx4 v[14:17], v[14:15], off
	s_waitcnt vmcnt(5)
	v_cndmask_b32_e64 v34, v27, -v27, s[42:43]
	global_load_dwordx4 v[18:21], v[18:19], off
	s_waitcnt vmcnt(5)
	v_cndmask_b32_e64 v36, v29, -v29, s[42:43]
	global_load_dwordx4 v[22:25], v[22:23], off
	v_cvt_f64_f32_e32 v[34:35], v34
	v_cvt_f64_f32_e32 v[36:37], v36
	;; [unrolled: 1-line block ×3, first 2 shown]
	v_mul_f64 v[38:39], -v[8:9], v[34:35]
	v_mul_f64 v[40:41], v[6:7], v[34:35]
	v_mul_f64 v[42:43], -v[8:9], v[36:37]
	v_mul_f64 v[44:45], v[6:7], v[36:37]
	v_cvt_f64_f32_e32 v[28:29], v28
	v_fmac_f64_e32 v[38:39], v[6:7], v[26:27]
	v_fmac_f64_e32 v[40:41], v[8:9], v[26:27]
	v_fmac_f64_e32 v[42:43], v[6:7], v[28:29]
	v_fmac_f64_e32 v[44:45], v[8:9], v[28:29]
	s_waitcnt vmcnt(5)
	v_cndmask_b32_e64 v46, v31, -v31, s[42:43]
	s_waitcnt vmcnt(4)
	v_cndmask_b32_e64 v47, v33, -v33, s[42:43]
	v_cvt_f64_f32_e32 v[34:35], v46
	v_cvt_f64_f32_e32 v[36:37], v47
	;; [unrolled: 1-line block ×4, first 2 shown]
	v_mul_f64 v[46:47], -v[8:9], v[34:35]
	v_mul_f64 v[48:49], v[6:7], v[34:35]
	v_mul_f64 v[50:51], -v[8:9], v[36:37]
	v_mul_f64 v[52:53], v[6:7], v[36:37]
	v_fmac_f64_e32 v[46:47], v[6:7], v[30:31]
	v_fmac_f64_e32 v[48:49], v[8:9], v[30:31]
	;; [unrolled: 1-line block ×4, first 2 shown]
	s_waitcnt vmcnt(3)
	v_mul_f64 v[6:7], v[12:13], -v[40:41]
	v_mul_f64 v[8:9], v[12:13], v[38:39]
	s_waitcnt vmcnt(2)
	v_mul_f64 v[26:27], v[16:17], -v[44:45]
	v_mul_f64 v[28:29], v[16:17], v[42:43]
	;; [unrolled: 3-line block ×4, first 2 shown]
	v_fmac_f64_e32 v[6:7], v[38:39], v[10:11]
	v_fmac_f64_e32 v[8:9], v[40:41], v[10:11]
	;; [unrolled: 1-line block ×8, first 2 shown]
	ds_write_b128 v1, v[6:9]
	ds_write_b128 v1, v[26:29] offset:4096
	ds_write_b128 v1, v[30:33] offset:8192
	ds_write_b128 v1, v[34:37] offset:12288
.LBB109_78:
	s_or_b64 exec, exec, s[0:1]
	s_cmp_lt_i32 s33, 2
	s_mov_b64 s[0:1], -1
	s_waitcnt lgkmcnt(0)
	s_barrier
	s_cbranch_scc0 .LBB109_89
; %bb.79:
	v_add_u32_e32 v10, s34, v0
	v_cmp_gt_i32_e32 vcc, s35, v10
	s_and_saveexec_b64 s[2:3], vcc
	s_cbranch_execz .LBB109_88
; %bb.80:
	v_cmp_neq_f64_e32 vcc, 0, v[2:3]
	v_cmp_neq_f64_e64 s[0:1], 0, v[4:5]
	s_lshl_b32 s6, s36, 4
	s_mov_b64 s[4:5], 0
	s_or_b64 s[0:1], vcc, s[0:1]
	s_sub_i32 s10, 0, s6
	s_branch .LBB109_82
.LBB109_81:                             ;   in Loop: Header=BB109_82 Depth=1
	s_or_b64 exec, exec, s[6:7]
	v_add_u32_e32 v10, 0x100, v10
	v_cmp_le_i32_e32 vcc, s35, v10
	s_or_b64 s[4:5], vcc, s[4:5]
	global_store_dwordx4 v[12:13], v[6:9], off
	s_andn2_b64 exec, exec, s[4:5]
	s_cbranch_execz .LBB109_88
.LBB109_82:                             ; =>This Loop Header: Depth=1
                                        ;     Child Loop BB109_84 Depth 2
	v_ashrrev_i32_e32 v11, 31, v10
	v_lshl_add_u64 v[6:7], v[10:11], 2, s[24:25]
	global_load_dwordx2 v[12:13], v[6:7], off
	v_mov_b64_e32 v[8:9], 0
	v_mov_b64_e32 v[6:7], 0
	s_waitcnt vmcnt(0)
	v_cmp_lt_i32_e32 vcc, v12, v13
	s_and_saveexec_b64 s[6:7], vcc
	s_cbranch_execz .LBB109_86
; %bb.83:                               ;   in Loop: Header=BB109_82 Depth=1
	v_mov_b64_e32 v[8:9], 0
	v_subrev_u32_e32 v13, s36, v13
	v_subrev_u32_e32 v14, s36, v12
	v_lshl_add_u32 v12, v12, 4, s10
	s_mov_b64 s[8:9], 0
	v_mov_b64_e32 v[6:7], v[8:9]
.LBB109_84:                             ;   Parent Loop BB109_82 Depth=1
                                        ; =>  This Inner Loop Header: Depth=2
	ds_read_b128 v[16:19], v12
	v_add_u32_e32 v14, 1, v14
	v_cmp_ge_i32_e32 vcc, v14, v13
	v_add_u32_e32 v12, 16, v12
	s_or_b64 s[8:9], vcc, s[8:9]
	s_waitcnt lgkmcnt(0)
	v_add_f64 v[6:7], v[6:7], v[16:17]
	v_add_f64 v[8:9], v[8:9], v[18:19]
	s_andn2_b64 exec, exec, s[8:9]
	s_cbranch_execnz .LBB109_84
; %bb.85:                               ;   in Loop: Header=BB109_82 Depth=1
	s_or_b64 exec, exec, s[8:9]
.LBB109_86:                             ;   in Loop: Header=BB109_82 Depth=1
	s_or_b64 exec, exec, s[6:7]
	v_lshl_add_u64 v[12:13], v[10:11], 4, s[22:23]
	s_and_saveexec_b64 s[6:7], s[0:1]
	s_cbranch_execz .LBB109_81
; %bb.87:                               ;   in Loop: Header=BB109_82 Depth=1
	global_load_dwordx4 v[14:17], v[12:13], off
	s_waitcnt vmcnt(0)
	v_fmac_f64_e32 v[6:7], v[2:3], v[14:15]
	v_fmac_f64_e32 v[8:9], v[4:5], v[14:15]
	v_fma_f64 v[6:7], -v[4:5], v[16:17], v[6:7]
	v_fmac_f64_e32 v[8:9], v[2:3], v[16:17]
	s_branch .LBB109_81
.LBB109_88:
	s_or_b64 exec, exec, s[2:3]
	s_mov_b64 s[0:1], 0
.LBB109_89:
	s_andn2_b64 vcc, exec, s[0:1]
	s_cbranch_vccnz .LBB109_114
; %bb.90:
	s_flbit_i32_b32 s0, s33
	s_xor_b32 s0, s0, 31
	v_lshrrev_b32_e32 v11, s0, v0
	v_add_u32_e32 v10, s34, v11
	s_add_i32 s0, s33, -1
	v_mov_b64_e32 v[6:7], 0
	v_and_b32_e32 v0, s0, v0
	v_cmp_le_i32_e32 vcc, s35, v10
	v_cmp_gt_i32_e64 s[0:1], s35, v10
	v_mov_b64_e32 v[8:9], v[6:7]
	s_and_saveexec_b64 s[2:3], s[0:1]
	s_cbranch_execz .LBB109_96
; %bb.91:
	v_lshlrev_b32_e32 v6, 2, v11
	global_load_dwordx2 v[6:7], v6, s[38:39]
	v_subrev_u32_e32 v12, s36, v0
	v_mov_b64_e32 v[8:9], 0
	s_waitcnt vmcnt(0)
	v_subrev_u32_e32 v11, s36, v7
	v_add_u32_e32 v12, v6, v12
	v_cmp_lt_i32_e64 s[0:1], v12, v11
	v_mov_b64_e32 v[6:7], 0
	s_and_saveexec_b64 s[4:5], s[0:1]
	s_cbranch_execz .LBB109_95
; %bb.92:
	v_mov_b64_e32 v[8:9], 0
	v_lshlrev_b32_e32 v13, 4, v12
	s_lshl_b32 s8, s33, 4
	s_mov_b64 s[6:7], 0
	v_mov_b64_e32 v[6:7], v[8:9]
.LBB109_93:                             ; =>This Inner Loop Header: Depth=1
	ds_read_b128 v[14:17], v13
	v_add_u32_e32 v12, s33, v12
	v_cmp_ge_i32_e64 s[0:1], v12, v11
	v_add_u32_e32 v13, s8, v13
	s_or_b64 s[6:7], s[0:1], s[6:7]
	s_waitcnt lgkmcnt(0)
	v_add_f64 v[6:7], v[6:7], v[14:15]
	v_add_f64 v[8:9], v[8:9], v[16:17]
	s_andn2_b64 exec, exec, s[6:7]
	s_cbranch_execnz .LBB109_93
; %bb.94:
	s_or_b64 exec, exec, s[6:7]
.LBB109_95:
	s_or_b64 exec, exec, s[4:5]
.LBB109_96:
	s_or_b64 exec, exec, s[2:3]
	s_cmpk_lt_u32 s33, 0x81
	s_barrier
	ds_write_b128 v1, v[6:9]
	s_waitcnt lgkmcnt(0)
	s_barrier
	s_cbranch_scc1 .LBB109_98
; %bb.97:
	ds_read_b128 v[12:15], v1 offset:2048
	s_waitcnt lgkmcnt(0)
	s_barrier
	v_add_f64 v[6:7], v[6:7], v[12:13]
	v_add_f64 v[8:9], v[8:9], v[14:15]
	ds_write_b128 v1, v[6:9]
.LBB109_98:
	s_cmpk_lt_u32 s33, 0x41
	s_waitcnt lgkmcnt(0)
	s_barrier
	s_cbranch_scc1 .LBB109_100
; %bb.99:
	ds_read_b128 v[12:15], v1 offset:1024
	s_waitcnt lgkmcnt(0)
	s_barrier
	v_add_f64 v[6:7], v[6:7], v[12:13]
	v_add_f64 v[8:9], v[8:9], v[14:15]
	ds_write_b128 v1, v[6:9]
.LBB109_100:
	s_cmp_lt_u32 s33, 33
	s_waitcnt lgkmcnt(0)
	s_barrier
	s_cbranch_scc1 .LBB109_102
; %bb.101:
	ds_read_b128 v[12:15], v1 offset:512
	s_waitcnt lgkmcnt(0)
	s_barrier
	v_add_f64 v[6:7], v[6:7], v[12:13]
	v_add_f64 v[8:9], v[8:9], v[14:15]
	ds_write_b128 v1, v[6:9]
.LBB109_102:
	s_cmp_lt_u32 s33, 17
	;; [unrolled: 12-line block ×4, first 2 shown]
	s_waitcnt lgkmcnt(0)
	s_barrier
	s_cbranch_scc1 .LBB109_108
; %bb.107:
	ds_read_b128 v[12:15], v1 offset:64
	s_waitcnt lgkmcnt(0)
	s_barrier
	v_add_f64 v[6:7], v[6:7], v[12:13]
	v_add_f64 v[8:9], v[8:9], v[14:15]
	ds_write_b128 v1, v[6:9]
.LBB109_108:
	s_cmp_eq_u32 s33, 2
	s_waitcnt lgkmcnt(0)
	s_barrier
	s_cbranch_scc1 .LBB109_110
; %bb.109:
	ds_read_b128 v[12:15], v1 offset:32
	s_waitcnt lgkmcnt(0)
	s_barrier
	v_add_f64 v[6:7], v[6:7], v[12:13]
	v_add_f64 v[8:9], v[8:9], v[14:15]
	ds_write_b128 v1, v[6:9]
.LBB109_110:
	s_waitcnt lgkmcnt(0)
	s_barrier
	ds_read_b128 v[12:15], v1 offset:16
	v_cmp_eq_u32_e64 s[0:1], 0, v0
	s_xor_b64 s[2:3], vcc, -1
	s_and_b64 s[0:1], s[0:1], s[2:3]
	s_waitcnt lgkmcnt(0)
	v_add_f64 v[6:7], v[6:7], v[12:13]
	v_add_f64 v[8:9], v[8:9], v[14:15]
	s_barrier
	ds_write_b128 v1, v[6:9]
	s_and_b64 exec, exec, s[0:1]
	s_cbranch_execz .LBB109_114
; %bb.111:
	v_ashrrev_i32_e32 v11, 31, v10
	v_cmp_neq_f64_e32 vcc, 0, v[2:3]
	v_cmp_neq_f64_e64 s[0:1], 0, v[4:5]
	s_or_b64 s[2:3], vcc, s[0:1]
	v_lshl_add_u64 v[0:1], v[10:11], 4, s[22:23]
	s_and_saveexec_b64 s[0:1], s[2:3]
	s_cbranch_execz .LBB109_113
; %bb.112:
	global_load_dwordx4 v[10:13], v[0:1], off
	s_waitcnt vmcnt(0)
	v_fmac_f64_e32 v[6:7], v[2:3], v[10:11]
	v_fmac_f64_e32 v[8:9], v[4:5], v[10:11]
	v_fma_f64 v[6:7], -v[4:5], v[12:13], v[6:7]
	v_fmac_f64_e32 v[8:9], v[2:3], v[12:13]
.LBB109_113:
	s_or_b64 exec, exec, s[0:1]
	global_store_dwordx4 v[0:1], v[6:9], off
.LBB109_114:
	s_endpgm
	.section	.rodata,"a",@progbits
	.p2align	6, 0x0
	.amdhsa_kernel _ZN9rocsparseL22csrmvn_adaptive_kernelIii21rocsparse_complex_numIfES1_IdES3_S3_EEvbT_PKS4_PjPKT0_NS_24const_host_device_scalarIT4_EES6_SA_PKT1_PKT2_SD_PT3_21rocsparse_index_base_b
		.amdhsa_group_segment_fixed_size 16384
		.amdhsa_private_segment_fixed_size 0
		.amdhsa_kernarg_size 112
		.amdhsa_user_sgpr_count 2
		.amdhsa_user_sgpr_dispatch_ptr 0
		.amdhsa_user_sgpr_queue_ptr 0
		.amdhsa_user_sgpr_kernarg_segment_ptr 1
		.amdhsa_user_sgpr_dispatch_id 0
		.amdhsa_user_sgpr_kernarg_preload_length 0
		.amdhsa_user_sgpr_kernarg_preload_offset 0
		.amdhsa_user_sgpr_private_segment_size 0
		.amdhsa_uses_dynamic_stack 0
		.amdhsa_enable_private_segment 0
		.amdhsa_system_sgpr_workgroup_id_x 1
		.amdhsa_system_sgpr_workgroup_id_y 0
		.amdhsa_system_sgpr_workgroup_id_z 0
		.amdhsa_system_sgpr_workgroup_info 0
		.amdhsa_system_vgpr_workitem_id 0
		.amdhsa_next_free_vgpr 54
		.amdhsa_next_free_sgpr 60
		.amdhsa_accum_offset 56
		.amdhsa_reserve_vcc 1
		.amdhsa_float_round_mode_32 0
		.amdhsa_float_round_mode_16_64 0
		.amdhsa_float_denorm_mode_32 3
		.amdhsa_float_denorm_mode_16_64 3
		.amdhsa_dx10_clamp 1
		.amdhsa_ieee_mode 1
		.amdhsa_fp16_overflow 0
		.amdhsa_tg_split 0
		.amdhsa_exception_fp_ieee_invalid_op 0
		.amdhsa_exception_fp_denorm_src 0
		.amdhsa_exception_fp_ieee_div_zero 0
		.amdhsa_exception_fp_ieee_overflow 0
		.amdhsa_exception_fp_ieee_underflow 0
		.amdhsa_exception_fp_ieee_inexact 0
		.amdhsa_exception_int_div_zero 0
	.end_amdhsa_kernel
	.section	.text._ZN9rocsparseL22csrmvn_adaptive_kernelIii21rocsparse_complex_numIfES1_IdES3_S3_EEvbT_PKS4_PjPKT0_NS_24const_host_device_scalarIT4_EES6_SA_PKT1_PKT2_SD_PT3_21rocsparse_index_base_b,"axG",@progbits,_ZN9rocsparseL22csrmvn_adaptive_kernelIii21rocsparse_complex_numIfES1_IdES3_S3_EEvbT_PKS4_PjPKT0_NS_24const_host_device_scalarIT4_EES6_SA_PKT1_PKT2_SD_PT3_21rocsparse_index_base_b,comdat
.Lfunc_end109:
	.size	_ZN9rocsparseL22csrmvn_adaptive_kernelIii21rocsparse_complex_numIfES1_IdES3_S3_EEvbT_PKS4_PjPKT0_NS_24const_host_device_scalarIT4_EES6_SA_PKT1_PKT2_SD_PT3_21rocsparse_index_base_b, .Lfunc_end109-_ZN9rocsparseL22csrmvn_adaptive_kernelIii21rocsparse_complex_numIfES1_IdES3_S3_EEvbT_PKS4_PjPKT0_NS_24const_host_device_scalarIT4_EES6_SA_PKT1_PKT2_SD_PT3_21rocsparse_index_base_b
                                        ; -- End function
	.set _ZN9rocsparseL22csrmvn_adaptive_kernelIii21rocsparse_complex_numIfES1_IdES3_S3_EEvbT_PKS4_PjPKT0_NS_24const_host_device_scalarIT4_EES6_SA_PKT1_PKT2_SD_PT3_21rocsparse_index_base_b.num_vgpr, 54
	.set _ZN9rocsparseL22csrmvn_adaptive_kernelIii21rocsparse_complex_numIfES1_IdES3_S3_EEvbT_PKS4_PjPKT0_NS_24const_host_device_scalarIT4_EES6_SA_PKT1_PKT2_SD_PT3_21rocsparse_index_base_b.num_agpr, 0
	.set _ZN9rocsparseL22csrmvn_adaptive_kernelIii21rocsparse_complex_numIfES1_IdES3_S3_EEvbT_PKS4_PjPKT0_NS_24const_host_device_scalarIT4_EES6_SA_PKT1_PKT2_SD_PT3_21rocsparse_index_base_b.numbered_sgpr, 60
	.set _ZN9rocsparseL22csrmvn_adaptive_kernelIii21rocsparse_complex_numIfES1_IdES3_S3_EEvbT_PKS4_PjPKT0_NS_24const_host_device_scalarIT4_EES6_SA_PKT1_PKT2_SD_PT3_21rocsparse_index_base_b.num_named_barrier, 0
	.set _ZN9rocsparseL22csrmvn_adaptive_kernelIii21rocsparse_complex_numIfES1_IdES3_S3_EEvbT_PKS4_PjPKT0_NS_24const_host_device_scalarIT4_EES6_SA_PKT1_PKT2_SD_PT3_21rocsparse_index_base_b.private_seg_size, 0
	.set _ZN9rocsparseL22csrmvn_adaptive_kernelIii21rocsparse_complex_numIfES1_IdES3_S3_EEvbT_PKS4_PjPKT0_NS_24const_host_device_scalarIT4_EES6_SA_PKT1_PKT2_SD_PT3_21rocsparse_index_base_b.uses_vcc, 1
	.set _ZN9rocsparseL22csrmvn_adaptive_kernelIii21rocsparse_complex_numIfES1_IdES3_S3_EEvbT_PKS4_PjPKT0_NS_24const_host_device_scalarIT4_EES6_SA_PKT1_PKT2_SD_PT3_21rocsparse_index_base_b.uses_flat_scratch, 0
	.set _ZN9rocsparseL22csrmvn_adaptive_kernelIii21rocsparse_complex_numIfES1_IdES3_S3_EEvbT_PKS4_PjPKT0_NS_24const_host_device_scalarIT4_EES6_SA_PKT1_PKT2_SD_PT3_21rocsparse_index_base_b.has_dyn_sized_stack, 0
	.set _ZN9rocsparseL22csrmvn_adaptive_kernelIii21rocsparse_complex_numIfES1_IdES3_S3_EEvbT_PKS4_PjPKT0_NS_24const_host_device_scalarIT4_EES6_SA_PKT1_PKT2_SD_PT3_21rocsparse_index_base_b.has_recursion, 0
	.set _ZN9rocsparseL22csrmvn_adaptive_kernelIii21rocsparse_complex_numIfES1_IdES3_S3_EEvbT_PKS4_PjPKT0_NS_24const_host_device_scalarIT4_EES6_SA_PKT1_PKT2_SD_PT3_21rocsparse_index_base_b.has_indirect_call, 0
	.section	.AMDGPU.csdata,"",@progbits
; Kernel info:
; codeLenInByte = 4580
; TotalNumSgprs: 66
; NumVgprs: 54
; NumAgprs: 0
; TotalNumVgprs: 54
; ScratchSize: 0
; MemoryBound: 0
; FloatMode: 240
; IeeeMode: 1
; LDSByteSize: 16384 bytes/workgroup (compile time only)
; SGPRBlocks: 8
; VGPRBlocks: 6
; NumSGPRsForWavesPerEU: 66
; NumVGPRsForWavesPerEU: 54
; AccumOffset: 56
; Occupancy: 8
; WaveLimiterHint : 1
; COMPUTE_PGM_RSRC2:SCRATCH_EN: 0
; COMPUTE_PGM_RSRC2:USER_SGPR: 2
; COMPUTE_PGM_RSRC2:TRAP_HANDLER: 0
; COMPUTE_PGM_RSRC2:TGID_X_EN: 1
; COMPUTE_PGM_RSRC2:TGID_Y_EN: 0
; COMPUTE_PGM_RSRC2:TGID_Z_EN: 0
; COMPUTE_PGM_RSRC2:TIDIG_COMP_CNT: 0
; COMPUTE_PGM_RSRC3_GFX90A:ACCUM_OFFSET: 13
; COMPUTE_PGM_RSRC3_GFX90A:TG_SPLIT: 0
	.section	.text._ZN9rocsparseL27csrmvn_symm_adaptive_kernelIii21rocsparse_complex_numIfES1_IdES3_S3_EEvbT_S4_PKS4_NS_24const_host_device_scalarIT4_EES6_PKT0_PKT1_PKT2_S9_PT3_21rocsparse_index_base_b,"axG",@progbits,_ZN9rocsparseL27csrmvn_symm_adaptive_kernelIii21rocsparse_complex_numIfES1_IdES3_S3_EEvbT_S4_PKS4_NS_24const_host_device_scalarIT4_EES6_PKT0_PKT1_PKT2_S9_PT3_21rocsparse_index_base_b,comdat
	.globl	_ZN9rocsparseL27csrmvn_symm_adaptive_kernelIii21rocsparse_complex_numIfES1_IdES3_S3_EEvbT_S4_PKS4_NS_24const_host_device_scalarIT4_EES6_PKT0_PKT1_PKT2_S9_PT3_21rocsparse_index_base_b ; -- Begin function _ZN9rocsparseL27csrmvn_symm_adaptive_kernelIii21rocsparse_complex_numIfES1_IdES3_S3_EEvbT_S4_PKS4_NS_24const_host_device_scalarIT4_EES6_PKT0_PKT1_PKT2_S9_PT3_21rocsparse_index_base_b
	.p2align	8
	.type	_ZN9rocsparseL27csrmvn_symm_adaptive_kernelIii21rocsparse_complex_numIfES1_IdES3_S3_EEvbT_S4_PKS4_NS_24const_host_device_scalarIT4_EES6_PKT0_PKT1_PKT2_S9_PT3_21rocsparse_index_base_b,@function
_ZN9rocsparseL27csrmvn_symm_adaptive_kernelIii21rocsparse_complex_numIfES1_IdES3_S3_EEvbT_S4_PKS4_NS_24const_host_device_scalarIT4_EES6_PKT0_PKT1_PKT2_S9_PT3_21rocsparse_index_base_b: ; @_ZN9rocsparseL27csrmvn_symm_adaptive_kernelIii21rocsparse_complex_numIfES1_IdES3_S3_EEvbT_S4_PKS4_NS_24const_host_device_scalarIT4_EES6_PKT0_PKT1_PKT2_S9_PT3_21rocsparse_index_base_b
; %bb.0:
	s_load_dwordx2 s[26:27], s[0:1], 0x60
	s_load_dwordx2 s[4:5], s[0:1], 0x18
	s_add_u32 s3, s0, 24
	s_addc_u32 s10, s1, 0
	s_waitcnt lgkmcnt(0)
	s_bitcmp1_b32 s27, 0
	s_cselect_b64 s[8:9], -1, 0
	s_and_b64 s[6:7], s[8:9], exec
	s_cselect_b32 s5, s10, s5
	s_cselect_b32 s3, s3, s4
	v_mov_b32_e32 v2, s3
	v_mov_b32_e32 v3, s5
	flat_load_dwordx4 v[2:5], v[2:3]
	s_waitcnt vmcnt(0) lgkmcnt(0)
	v_cmp_eq_f64_e32 vcc, 0, v[2:3]
	v_cmp_eq_f64_e64 s[4:5], 0, v[4:5]
	s_and_b64 s[10:11], vcc, s[4:5]
	s_mov_b64 s[4:5], -1
	s_and_saveexec_b64 s[6:7], s[10:11]
	s_cbranch_execz .LBB110_2
; %bb.1:
	s_load_dwordx2 s[4:5], s[0:1], 0x48
	s_add_u32 s3, s0, 0x48
	s_addc_u32 s10, s1, 0
	s_and_b64 s[8:9], s[8:9], exec
	s_waitcnt lgkmcnt(0)
	s_cselect_b32 s5, s10, s5
	s_cselect_b32 s3, s3, s4
	v_mov_b32_e32 v6, s3
	v_mov_b32_e32 v7, s5
	flat_load_dwordx4 v[6:9], v[6:7]
	s_waitcnt vmcnt(0) lgkmcnt(0)
	v_cmp_neq_f64_e32 vcc, 1.0, v[6:7]
	v_cmp_neq_f64_e64 s[4:5], 0, v[8:9]
	s_or_b64 s[4:5], vcc, s[4:5]
	s_orn2_b64 s[4:5], s[4:5], exec
.LBB110_2:
	s_or_b64 exec, exec, s[6:7]
	s_and_saveexec_b64 s[6:7], s[4:5]
	s_cbranch_execz .LBB110_145
; %bb.3:
	s_load_dwordx4 s[20:23], s[0:1], 0x0
	s_load_dwordx2 s[8:9], s[0:1], 0x10
	s_mov_b32 s4, 0
	s_mov_b32 s6, s4
	;; [unrolled: 1-line block ×3, first 2 shown]
	s_waitcnt lgkmcnt(0)
	s_bitcmp1_b32 s20, 0
	s_cselect_b64 s[28:29], -1, 0
	s_ashr_i32 s3, s2, 31
	s_lshl_b64 s[2:3], s[2:3], 2
	s_mov_b32 s5, s4
	v_mov_b64_e32 v[8:9], s[6:7]
	s_add_u32 s2, s8, s2
	v_lshlrev_b32_e32 v1, 4, v0
	v_mov_b64_e32 v[6:7], s[4:5]
	s_addc_u32 s3, s9, s3
	ds_write_b128 v1, v[6:9]
	ds_write_b128 v1, v[6:9] offset:4096
	ds_write_b128 v1, v[6:9] offset:8192
	;; [unrolled: 1-line block ×3, first 2 shown]
	s_waitcnt lgkmcnt(0)
	s_barrier
	s_load_dwordx2 s[24:25], s[2:3], 0x0
	s_load_dwordx2 s[10:11], s[0:1], 0x58
	s_load_dwordx8 s[12:19], s[0:1], 0x28
	s_mov_b64 s[2:3], -1
	v_subrev_u32_e32 v16, s26, v0
	s_waitcnt lgkmcnt(0)
	s_sub_i32 s23, s25, s24
	s_cmp_gt_i32 s23, 2
	s_cbranch_scc1 .LBB110_38
; %bb.4:
	s_cmp_le_i32 s25, s24
	s_cbranch_scc1 .LBB110_28
; %bb.5:
	s_add_u32 s30, s16, 4
	v_cmp_gt_u32_e32 vcc, 64, v0
	v_cmp_gt_u32_e64 s[2:3], 16, v0
	v_cmp_gt_u32_e64 s[4:5], 4, v0
	v_cmp_eq_u32_e64 s[6:7], 0, v0
	s_addc_u32 s31, s17, 0
	s_mov_b64 s[34:35], 0x400
	s_mov_b64 s[36:37], 0x800
	v_mov_b32_e32 v17, 0
	s_mov_b32 s38, s24
	s_branch .LBB110_7
.LBB110_6:                              ;   in Loop: Header=BB110_7 Depth=1
	s_or_b64 exec, exec, s[40:41]
	s_add_i32 s38, s38, 1
	s_cmp_ge_i32 s38, s25
	s_cbranch_scc1 .LBB110_28
.LBB110_7:                              ; =>This Loop Header: Depth=1
                                        ;     Child Loop BB110_9 Depth 2
                                        ;     Child Loop BB110_21 Depth 2
	;; [unrolled: 1-line block ×3, first 2 shown]
	s_ashr_i32 s39, s38, 31
	s_lshl_b64 s[8:9], s[38:39], 2
	s_add_u32 s8, s12, s8
	s_addc_u32 s9, s13, s9
	s_load_dwordx2 s[40:41], s[8:9], 0x0
	v_mov_b64_e32 v[8:9], 0
	v_mov_b64_e32 v[6:7], 0
	s_waitcnt lgkmcnt(0)
	v_add_u32_e32 v10, s40, v16
	s_sub_i32 s20, s41, s26
	v_cmp_gt_i32_e64 s[8:9], s20, v10
	s_and_saveexec_b64 s[40:41], s[8:9]
	s_cbranch_execz .LBB110_11
; %bb.8:                                ;   in Loop: Header=BB110_7 Depth=1
	v_ashrrev_i32_e32 v11, 31, v10
	v_mov_b64_e32 v[8:9], 0
	v_lshl_add_u64 v[12:13], v[10:11], 2, s[14:15]
	v_lshl_add_u64 v[14:15], v[10:11], 3, s[30:31]
	s_mov_b64 s[42:43], 0
	v_mov_b64_e32 v[6:7], v[8:9]
.LBB110_9:                              ;   Parent Loop BB110_7 Depth=1
                                        ; =>  This Inner Loop Header: Depth=2
	global_load_dword v11, v[12:13], off
	global_load_dwordx2 v[22:23], v[14:15], off offset:-4
	v_add_u32_e32 v10, 0x100, v10
	v_cmp_le_i32_e64 s[8:9], s20, v10
	v_lshl_add_u64 v[12:13], v[12:13], 0, s[34:35]
	v_lshl_add_u64 v[14:15], v[14:15], 0, s[36:37]
	s_or_b64 s[42:43], s[8:9], s[42:43]
	s_waitcnt vmcnt(1)
	v_subrev_u32_e32 v18, s26, v11
	v_ashrrev_i32_e32 v19, 31, v18
	v_lshl_add_u64 v[18:19], v[18:19], 4, s[18:19]
	global_load_dwordx4 v[18:21], v[18:19], off
	s_waitcnt vmcnt(1)
	v_cndmask_b32_e64 v11, v23, -v23, s[28:29]
	v_cvt_f64_f32_e32 v[22:23], v22
	v_cvt_f64_f32_e32 v[24:25], v11
	s_waitcnt vmcnt(0)
	v_fmac_f64_e32 v[6:7], v[22:23], v[18:19]
	v_fmac_f64_e32 v[8:9], v[24:25], v[18:19]
	v_fma_f64 v[6:7], -v[24:25], v[20:21], v[6:7]
	v_fmac_f64_e32 v[8:9], v[22:23], v[20:21]
	s_andn2_b64 exec, exec, s[42:43]
	s_cbranch_execnz .LBB110_9
; %bb.10:                               ;   in Loop: Header=BB110_7 Depth=1
	s_or_b64 exec, exec, s[42:43]
.LBB110_11:                             ;   in Loop: Header=BB110_7 Depth=1
	s_or_b64 exec, exec, s[40:41]
	ds_write_b128 v1, v[6:9]
	s_waitcnt lgkmcnt(0)
	s_barrier
	ds_read_b128 v[6:9], v1 offset:4096
	ds_read_b128 v[10:13], v1 offset:8192
	;; [unrolled: 1-line block ×3, first 2 shown]
	ds_read_b128 v[22:25], v1
	s_waitcnt lgkmcnt(2)
	v_add_f64 v[6:7], v[10:11], v[6:7]
	v_add_f64 v[8:9], v[12:13], v[8:9]
	s_waitcnt lgkmcnt(1)
	v_add_f64 v[6:7], v[6:7], v[18:19]
	v_add_f64 v[8:9], v[8:9], v[20:21]
	;; [unrolled: 3-line block ×3, first 2 shown]
	ds_write_b128 v1, v[6:9]
	s_waitcnt lgkmcnt(0)
	s_barrier
	s_and_saveexec_b64 s[8:9], vcc
	s_cbranch_execz .LBB110_13
; %bb.12:                               ;   in Loop: Header=BB110_7 Depth=1
	ds_read_b128 v[6:9], v1 offset:1024
	ds_read_b128 v[10:13], v1 offset:2048
	ds_read_b128 v[18:21], v1 offset:3072
	ds_read_b128 v[22:25], v1
	s_waitcnt lgkmcnt(2)
	v_add_f64 v[6:7], v[10:11], v[6:7]
	v_add_f64 v[8:9], v[12:13], v[8:9]
	s_waitcnt lgkmcnt(1)
	v_add_f64 v[6:7], v[6:7], v[18:19]
	v_add_f64 v[8:9], v[8:9], v[20:21]
	s_waitcnt lgkmcnt(0)
	v_add_f64 v[6:7], v[6:7], v[22:23]
	v_add_f64 v[8:9], v[8:9], v[24:25]
	ds_write_b128 v1, v[6:9]
.LBB110_13:                             ;   in Loop: Header=BB110_7 Depth=1
	s_or_b64 exec, exec, s[8:9]
	s_waitcnt lgkmcnt(0)
	s_barrier
	s_and_saveexec_b64 s[8:9], s[2:3]
	s_cbranch_execz .LBB110_15
; %bb.14:                               ;   in Loop: Header=BB110_7 Depth=1
	ds_read_b128 v[6:9], v1 offset:256
	ds_read_b128 v[10:13], v1 offset:512
	ds_read_b128 v[18:21], v1 offset:768
	ds_read_b128 v[22:25], v1
	s_waitcnt lgkmcnt(2)
	v_add_f64 v[6:7], v[10:11], v[6:7]
	v_add_f64 v[8:9], v[12:13], v[8:9]
	s_waitcnt lgkmcnt(1)
	v_add_f64 v[6:7], v[6:7], v[18:19]
	v_add_f64 v[8:9], v[8:9], v[20:21]
	s_waitcnt lgkmcnt(0)
	v_add_f64 v[6:7], v[6:7], v[22:23]
	v_add_f64 v[8:9], v[8:9], v[24:25]
	ds_write_b128 v1, v[6:9]
.LBB110_15:                             ;   in Loop: Header=BB110_7 Depth=1
	s_or_b64 exec, exec, s[8:9]
	s_waitcnt lgkmcnt(0)
	s_barrier
	s_and_saveexec_b64 s[8:9], s[4:5]
	;; [unrolled: 21-line block ×4, first 2 shown]
	s_cbranch_execz .LBB110_6
; %bb.20:                               ;   in Loop: Header=BB110_7 Depth=1
	ds_read_b128 v[6:9], v17
	v_mov_b32_e32 v10, 0
	s_mov_b64 s[8:9], exec
	v_bfrev_b32_e32 v11, 1
	s_waitcnt lgkmcnt(0)
	v_mul_f64 v[12:13], v[8:9], -v[4:5]
	v_fmac_f64_e32 v[12:13], v[2:3], v[6:7]
.LBB110_21:                             ;   Parent Loop BB110_7 Depth=1
                                        ; =>  This Inner Loop Header: Depth=2
	s_ff1_i32_b64 s20, s[8:9]
	s_lshl_b64 s[44:45], 1, s20
	v_readlane_b32 s43, v13, s20
	v_readlane_b32 s42, v12, s20
	s_andn2_b64 s[8:9], s[8:9], s[44:45]
	s_cmp_lg_u64 s[8:9], 0
	v_add_f64 v[10:11], v[10:11], s[42:43]
	s_cbranch_scc1 .LBB110_21
; %bb.22:                               ;   in Loop: Header=BB110_7 Depth=1
	s_lshl_b64 s[8:9], s[38:39], 4
	v_mbcnt_lo_u32_b32 v12, exec_lo, 0
	s_add_u32 s42, s10, s8
	v_mbcnt_hi_u32_b32 v12, exec_hi, v12
	s_addc_u32 s43, s11, s9
	v_cmp_eq_u32_e64 s[8:9], 0, v12
	s_and_saveexec_b64 s[44:45], s[8:9]
	s_xor_b64 s[8:9], exec, s[44:45]
	s_cbranch_execz .LBB110_24
; %bb.23:                               ;   in Loop: Header=BB110_7 Depth=1
	global_atomic_add_f64 v17, v[10:11], s[42:43]
.LBB110_24:                             ;   in Loop: Header=BB110_7 Depth=1
	s_or_b64 exec, exec, s[8:9]
	v_mul_f64 v[8:9], v[2:3], v[8:9]
	v_fmac_f64_e32 v[8:9], v[4:5], v[6:7]
	v_mov_b32_e32 v6, 0
	s_mov_b64 s[8:9], exec
	v_bfrev_b32_e32 v7, 1
.LBB110_25:                             ;   Parent Loop BB110_7 Depth=1
                                        ; =>  This Inner Loop Header: Depth=2
	s_ff1_i32_b64 s20, s[8:9]
	s_lshl_b64 s[46:47], 1, s20
	v_readlane_b32 s45, v9, s20
	v_readlane_b32 s44, v8, s20
	s_andn2_b64 s[8:9], s[8:9], s[46:47]
	s_cmp_lg_u64 s[8:9], 0
	v_add_f64 v[6:7], v[6:7], s[44:45]
	s_cbranch_scc1 .LBB110_25
; %bb.26:                               ;   in Loop: Header=BB110_7 Depth=1
	v_mbcnt_lo_u32_b32 v8, exec_lo, 0
	v_mbcnt_hi_u32_b32 v8, exec_hi, v8
	v_cmp_eq_u32_e64 s[8:9], 0, v8
	s_and_saveexec_b64 s[44:45], s[8:9]
	s_xor_b64 s[44:45], exec, s[44:45]
	s_cbranch_execz .LBB110_6
; %bb.27:                               ;   in Loop: Header=BB110_7 Depth=1
	global_atomic_add_f64 v17, v[6:7], s[42:43] offset:8
	s_branch .LBB110_6
.LBB110_28:
	s_ashr_i32 s3, s24, 31
	s_mov_b32 s2, s24
	s_lshl_b64 s[2:3], s[2:3], 2
	s_add_u32 s2, s12, s2
	s_addc_u32 s3, s13, s3
	s_ashr_i32 s5, s25, 31
	s_mov_b32 s4, s25
	s_lshl_b64 s[4:5], s[4:5], 2
	s_add_u32 s4, s12, s4
	s_addc_u32 s5, s13, s5
	s_load_dword s6, s[4:5], 0x0
	s_load_dword s7, s[2:3], 0x0
	s_waitcnt lgkmcnt(0)
	s_sub_i32 s20, s6, s26
	v_add_u32_e32 v6, s7, v16
	v_cmp_gt_i32_e32 vcc, s20, v6
	s_and_saveexec_b64 s[6:7], vcc
	s_cbranch_execz .LBB110_37
; %bb.29:
	s_add_i32 s27, s25, -1
	s_cmp_lt_i32 s24, s27
	s_cselect_b64 s[2:3], -1, 0
	s_add_i32 s4, s25, -2
	s_cmp_lg_u32 s24, s4
	s_cselect_b64 s[4:5], -1, 0
	s_and_b64 s[2:3], s[2:3], s[4:5]
	v_cndmask_b32_e64 v7, 0, 1, s[2:3]
	s_mov_b64 s[8:9], 0
	v_cmp_ne_u32_e64 s[2:3], 1, v7
	s_branch .LBB110_31
.LBB110_30:                             ;   in Loop: Header=BB110_31 Depth=1
	s_or_b64 exec, exec, s[4:5]
	v_add_u32_e32 v6, 0x100, v6
	v_cmp_le_i32_e32 vcc, s20, v6
	s_or_b64 s[8:9], vcc, s[8:9]
	s_andn2_b64 exec, exec, s[8:9]
	s_cbranch_execz .LBB110_37
.LBB110_31:                             ; =>This Loop Header: Depth=1
                                        ;     Child Loop BB110_33 Depth 2
	s_and_b64 vcc, exec, s[2:3]
	v_mov_b32_e32 v10, s24
	v_mov_b32_e32 v8, s27
	s_cbranch_vccnz .LBB110_35
; %bb.32:                               ;   in Loop: Header=BB110_31 Depth=1
	s_mov_b64 s[30:31], 0
	v_mov_b32_e32 v10, s24
	v_mov_b32_e32 v8, s27
.LBB110_33:                             ;   Parent Loop BB110_31 Depth=1
                                        ; =>  This Inner Loop Header: Depth=2
	v_add_u32_e32 v7, v8, v10
	v_lshrrev_b32_e32 v9, 31, v7
	v_add_u32_e32 v7, v7, v9
	v_ashrrev_i32_e32 v12, 1, v7
	v_ashrrev_i32_e32 v13, 31, v12
	v_lshl_add_u64 v[14:15], v[12:13], 2, s[12:13]
	global_load_dword v7, v[14:15], off
	s_waitcnt vmcnt(0)
	v_subrev_u32_e32 v7, s26, v7
	v_cmp_lt_i32_e32 vcc, v6, v7
	s_nop 1
	v_cndmask_b32_e32 v8, v8, v12, vcc
	v_cndmask_b32_e32 v10, v12, v10, vcc
	v_add_u32_e32 v7, -1, v8
	v_cmp_ge_i32_e32 vcc, v10, v8
	v_cmp_eq_u32_e64 s[4:5], v10, v7
	s_or_b64 s[4:5], vcc, s[4:5]
	s_and_b64 s[4:5], exec, s[4:5]
	s_or_b64 s[30:31], s[4:5], s[30:31]
	s_andn2_b64 exec, exec, s[30:31]
	s_cbranch_execnz .LBB110_33
; %bb.34:                               ;   in Loop: Header=BB110_31 Depth=1
	s_or_b64 exec, exec, s[30:31]
.LBB110_35:                             ;   in Loop: Header=BB110_31 Depth=1
	v_ashrrev_i32_e32 v9, 31, v8
	v_lshl_add_u64 v[12:13], v[8:9], 2, s[12:13]
	global_load_dword v9, v[12:13], off
	v_ashrrev_i32_e32 v7, 31, v6
	v_lshl_add_u64 v[12:13], v[6:7], 2, s[14:15]
	global_load_dword v11, v[12:13], off
	s_waitcnt vmcnt(1)
	v_subrev_u32_e32 v9, s26, v9
	v_cmp_lt_i32_e32 vcc, v6, v9
	s_nop 1
	v_cndmask_b32_e32 v10, v8, v10, vcc
	s_waitcnt vmcnt(0)
	v_subrev_u32_e32 v8, s26, v11
	v_cmp_ne_u32_e32 vcc, v8, v10
	s_and_saveexec_b64 s[4:5], vcc
	s_cbranch_execz .LBB110_30
; %bb.36:                               ;   in Loop: Header=BB110_31 Depth=1
	v_lshl_add_u64 v[12:13], v[6:7], 3, s[16:17]
	global_load_dwordx2 v[14:15], v[12:13], off
	v_ashrrev_i32_e32 v11, 31, v10
	v_lshl_add_u64 v[10:11], v[10:11], 4, s[18:19]
	global_load_dwordx4 v[10:13], v[10:11], off
	v_ashrrev_i32_e32 v9, 31, v8
	v_lshl_add_u64 v[8:9], v[8:9], 4, s[10:11]
	s_waitcnt vmcnt(1)
	v_cndmask_b32_e64 v7, v15, -v15, s[28:29]
	v_cvt_f64_f32_e32 v[18:19], v7
	v_cvt_f64_f32_e32 v[14:15], v14
	v_mul_f64 v[20:21], -v[4:5], v[18:19]
	v_mul_f64 v[18:19], v[2:3], v[18:19]
	v_fmac_f64_e32 v[18:19], v[4:5], v[14:15]
	v_fmac_f64_e32 v[20:21], v[2:3], v[14:15]
	s_waitcnt vmcnt(0)
	v_mul_f64 v[14:15], v[12:13], -v[18:19]
	v_mul_f64 v[12:13], v[12:13], v[20:21]
	v_fmac_f64_e32 v[14:15], v[20:21], v[10:11]
	v_fmac_f64_e32 v[12:13], v[18:19], v[10:11]
	global_atomic_add_f64 v[8:9], v[14:15], off
	global_atomic_add_f64 v[8:9], v[12:13], off offset:8
	s_branch .LBB110_30
.LBB110_37:
	s_or_b64 exec, exec, s[6:7]
	s_mov_b64 s[2:3], 0
.LBB110_38:
	s_and_b64 vcc, exec, s[2:3]
	s_cbranch_vccz .LBB110_145
; %bb.39:
	v_cvt_f32_u32_e32 v6, s23
	s_ashr_i32 s3, s24, 31
	s_mov_b32 s2, s24
	s_sub_i32 s6, 0, s23
	v_rcp_iflag_f32_e32 v6, v6
	s_lshl_b64 s[2:3], s[2:3], 2
	s_add_u32 s4, s12, s2
	s_addc_u32 s5, s13, s3
	s_load_dword s27, s[4:5], 0x0
	v_mul_f32_e32 v6, 0x4f7ffffe, v6
	v_cvt_u32_f32_e32 v7, v6
	s_load_dword s20, s[0:1], 0x74
	s_waitcnt lgkmcnt(0)
	v_add_u32_e32 v6, s27, v16
	v_readfirstlane_b32 s31, v7
	s_mul_i32 s6, s6, s31
	v_add_u32_e32 v16, 0x300, v6
	s_mul_hi_u32 s33, s31, s6
	v_cmp_le_i32_e32 vcc, s21, v16
	s_and_saveexec_b64 s[0:1], vcc
	s_xor_b64 s[2:3], exec, s[0:1]
	s_cbranch_execz .LBB110_44
; %bb.40:
	s_ashr_i32 s1, s25, 31
	s_mov_b32 s0, s25
	s_lshl_b64 s[0:1], s[0:1], 2
	s_add_u32 s0, s12, s0
	s_addc_u32 s1, s13, s1
	s_load_dword s0, s[0:1], 0x0
	s_waitcnt lgkmcnt(0)
	s_sub_i32 s21, s0, s27
	v_cmp_gt_i32_e64 s[0:1], s21, v0
	s_and_saveexec_b64 s[6:7], s[0:1]
	s_cbranch_execz .LBB110_43
; %bb.41:
	s_sub_i32 s30, s27, s26
	s_mov_b64 s[8:9], 0
	v_mov_b32_e32 v7, v1
	v_mov_b32_e32 v8, v0
.LBB110_42:                             ; =>This Inner Loop Header: Depth=1
	v_add_u32_e32 v10, s30, v8
	v_ashrrev_i32_e32 v11, 31, v10
	v_lshl_add_u64 v[10:11], v[10:11], 3, s[16:17]
	global_load_dwordx2 v[10:11], v[10:11], off
	v_add_u32_e32 v8, 0x100, v8
	v_cmp_le_i32_e64 s[0:1], s21, v8
	s_or_b64 s[8:9], s[0:1], s[8:9]
	s_waitcnt vmcnt(0)
	v_cndmask_b32_e64 v9, v11, -v11, s[28:29]
	v_cvt_f64_f32_e32 v[12:13], v9
	v_cvt_f64_f32_e32 v[14:15], v10
	v_mul_f64 v[10:11], -v[4:5], v[12:13]
	v_mul_f64 v[12:13], v[2:3], v[12:13]
	v_fmac_f64_e32 v[10:11], v[2:3], v[14:15]
	v_fmac_f64_e32 v[12:13], v[4:5], v[14:15]
	ds_write_b128 v7, v[10:13]
	v_add_u32_e32 v7, 0x1000, v7
	s_andn2_b64 exec, exec, s[8:9]
	s_cbranch_execnz .LBB110_42
.LBB110_43:
	s_or_b64 exec, exec, s[6:7]
                                        ; implicit-def: $vgpr4_vgpr5
.LBB110_44:
	s_or_saveexec_b64 s[2:3], s[2:3]
	s_and_b32 s30, s20, 0xffff
	s_add_i32 s6, s31, s33
	v_ashrrev_i32_e32 v7, 31, v6
	s_xor_b64 exec, exec, s[2:3]
	s_cbranch_execz .LBB110_46
; %bb.45:
	v_lshl_add_u64 v[8:9], v[6:7], 3, s[16:17]
	s_movk_i32 s0, 0x1000
	global_load_dwordx2 v[10:11], v[8:9], off
	global_load_dwordx2 v[12:13], v[8:9], off offset:2048
	v_add_co_u32_e64 v8, s[0:1], s0, v8
	s_waitcnt vmcnt(1)
	v_cvt_f64_f32_e32 v[20:21], v10
	v_addc_co_u32_e64 v9, s[0:1], 0, v9, s[0:1]
	global_load_dwordx2 v[14:15], v[8:9], off
	global_load_dwordx2 v[18:19], v[8:9], off offset:2048
	v_cndmask_b32_e64 v8, v11, -v11, s[28:29]
	s_waitcnt vmcnt(2)
	v_cndmask_b32_e64 v9, v13, -v13, s[28:29]
	v_cvt_f64_f32_e32 v[10:11], v8
	v_cvt_f64_f32_e32 v[24:25], v9
	;; [unrolled: 1-line block ×3, first 2 shown]
	v_mul_f64 v[8:9], -v[4:5], v[10:11]
	v_mul_f64 v[10:11], v[2:3], v[10:11]
	v_mul_f64 v[12:13], -v[4:5], v[24:25]
	v_fmac_f64_e32 v[8:9], v[2:3], v[20:21]
	v_fmac_f64_e32 v[10:11], v[4:5], v[20:21]
	;; [unrolled: 1-line block ×3, first 2 shown]
	s_waitcnt vmcnt(1)
	v_cndmask_b32_e64 v17, v15, -v15, s[28:29]
	v_cvt_f64_f32_e32 v[26:27], v14
	s_waitcnt vmcnt(0)
	v_cndmask_b32_e64 v19, v19, -v19, s[28:29]
	v_mul_f64 v[14:15], v[2:3], v[24:25]
	v_cvt_f64_f32_e32 v[24:25], v17
	v_cvt_f64_f32_e32 v[28:29], v18
	;; [unrolled: 1-line block ×3, first 2 shown]
	v_mul_f64 v[18:19], -v[4:5], v[24:25]
	v_mul_f64 v[20:21], v[2:3], v[24:25]
	v_fmac_f64_e32 v[14:15], v[4:5], v[22:23]
	v_mul_f64 v[22:23], -v[4:5], v[30:31]
	v_mul_f64 v[24:25], v[2:3], v[30:31]
	v_fmac_f64_e32 v[18:19], v[2:3], v[26:27]
	v_fmac_f64_e32 v[20:21], v[4:5], v[26:27]
	ds_write_b128 v1, v[8:11]
	ds_write_b128 v1, v[12:15] offset:4096
	v_fmac_f64_e32 v[22:23], v[2:3], v[28:29]
	v_fmac_f64_e32 v[24:25], v[4:5], v[28:29]
	ds_write_b128 v1, v[18:21] offset:8192
	ds_write_b128 v1, v[22:25] offset:12288
.LBB110_46:
	s_or_b64 exec, exec, s[2:3]
	s_mul_hi_u32 s28, s30, s6
	v_cmp_gt_i32_e64 s[0:1], s22, v0
	s_and_saveexec_b64 s[2:3], s[0:1]
	s_cbranch_execz .LBB110_49
; %bb.47:
	s_mov_b32 s0, 0
	v_mov_b32_e32 v2, 0x4000
	s_mov_b32 s1, s0
	s_mov_b32 s8, s0
	;; [unrolled: 1-line block ×3, first 2 shown]
	v_lshl_add_u32 v8, v0, 4, v2
	s_mov_b64 s[6:7], 0
	v_mov_b64_e32 v[2:3], s[0:1]
	v_mov_b64_e32 v[4:5], s[8:9]
	v_mov_b32_e32 v9, v0
.LBB110_48:                             ; =>This Inner Loop Header: Depth=1
	v_add_u32_e32 v9, 0x100, v9
	v_cmp_le_i32_e64 s[0:1], s22, v9
	ds_write2_b64 v8, v[2:3], v[4:5] offset1:1
	s_or_b64 s[6:7], s[0:1], s[6:7]
	v_add_u32_e32 v8, 0x1000, v8
	s_andn2_b64 exec, exec, s[6:7]
	s_cbranch_execnz .LBB110_48
.LBB110_49:
	s_or_b64 exec, exec, s[2:3]
	s_sub_i32 s0, s25, s22
	s_cmp_ge_i32 s25, s22
	s_cselect_b32 s29, s0, 0
	s_waitcnt lgkmcnt(0)
	s_barrier
	s_and_saveexec_b64 s[0:1], vcc
	s_xor_b64 s[6:7], exec, s[0:1]
	s_cbranch_execz .LBB110_66
; %bb.50:
	s_ashr_i32 s1, s25, 31
	s_mov_b32 s0, s25
	s_lshl_b64 s[0:1], s[0:1], 2
	s_add_u32 s0, s12, s0
	s_addc_u32 s1, s13, s1
	s_load_dword s0, s[0:1], 0x0
	s_waitcnt lgkmcnt(0)
	s_sub_i32 s31, s0, s27
	v_cmp_gt_i32_e32 vcc, s31, v0
	s_and_saveexec_b64 s[8:9], vcc
	s_cbranch_execz .LBB110_65
; %bb.51:
	s_add_i32 s33, s25, -1
	s_add_i32 s1, s25, -2
	s_cmp_lg_u32 s24, s1
	s_cselect_b64 s[2:3], -1, 0
	v_cndmask_b32_e64 v2, 0, 1, s[2:3]
	s_sub_i32 s34, s0, s26
	s_mov_b32 s35, 0
	s_mov_b64 s[16:17], 0
	v_cmp_ne_u32_e64 s[0:1], 1, v2
	v_mov_b32_e32 v7, 0x4000
	s_branch .LBB110_54
.LBB110_52:                             ;   in Loop: Header=BB110_54 Depth=1
	s_or_b64 exec, exec, s[2:3]
	v_xor_b32_e32 v11, 0x80000000, v5
	v_mov_b32_e32 v10, v4
.LBB110_53:                             ;   in Loop: Header=BB110_54 Depth=1
	s_or_b64 exec, exec, s[20:21]
	v_ashrrev_i32_e32 v9, 31, v8
	v_lshl_add_u64 v[8:9], v[8:9], 4, s[18:19]
	global_load_dwordx4 v[16:19], v[8:9], off
	s_addk_i32 s35, 0x100
	v_add_u32_e32 v8, s35, v0
	v_cmp_le_i32_e32 vcc, s31, v8
	s_or_b64 s[16:17], vcc, s[16:17]
	s_waitcnt vmcnt(0)
	v_mul_f64 v[8:9], v[18:19], v[10:11]
	v_mul_f64 v[10:11], v[18:19], v[2:3]
	v_fmac_f64_e32 v[8:9], v[2:3], v[16:17]
	v_fmac_f64_e32 v[10:11], v[4:5], v[16:17]
	ds_write_b128 v14, v[8:11]
	s_andn2_b64 exec, exec, s[16:17]
	s_cbranch_execz .LBB110_65
.LBB110_54:                             ; =>This Loop Header: Depth=1
                                        ;     Child Loop BB110_56 Depth 2
	v_add_u32_e32 v2, s35, v6
	s_and_b64 vcc, exec, s[0:1]
	v_mov_b32_e32 v9, s24
	v_mov_b32_e32 v4, s33
	s_cbranch_vccnz .LBB110_58
; %bb.55:                               ;   in Loop: Header=BB110_54 Depth=1
	s_mov_b64 s[20:21], 0
	v_mov_b32_e32 v9, s24
	v_mov_b32_e32 v4, s33
.LBB110_56:                             ;   Parent Loop BB110_54 Depth=1
                                        ; =>  This Inner Loop Header: Depth=2
	v_add_u32_e32 v3, v4, v9
	v_lshrrev_b32_e32 v5, 31, v3
	v_add_u32_e32 v3, v3, v5
	v_ashrrev_i32_e32 v10, 1, v3
	v_ashrrev_i32_e32 v11, 31, v10
	v_lshl_add_u64 v[12:13], v[10:11], 2, s[12:13]
	global_load_dword v3, v[12:13], off
	s_waitcnt vmcnt(0)
	v_subrev_u32_e32 v3, s26, v3
	v_cmp_lt_i32_e32 vcc, v2, v3
	s_nop 1
	v_cndmask_b32_e32 v4, v4, v10, vcc
	v_cndmask_b32_e32 v9, v10, v9, vcc
	v_add_u32_e32 v3, -1, v4
	v_cmp_ge_i32_e32 vcc, v9, v4
	v_cmp_eq_u32_e64 s[2:3], v9, v3
	s_or_b64 s[2:3], vcc, s[2:3]
	s_and_b64 s[2:3], exec, s[2:3]
	s_or_b64 s[20:21], s[2:3], s[20:21]
	s_andn2_b64 exec, exec, s[20:21]
	s_cbranch_execnz .LBB110_56
; %bb.57:                               ;   in Loop: Header=BB110_54 Depth=1
	s_or_b64 exec, exec, s[20:21]
.LBB110_58:                             ;   in Loop: Header=BB110_54 Depth=1
	v_ashrrev_i32_e32 v5, 31, v4
	v_lshl_add_u64 v[10:11], v[4:5], 2, s[12:13]
	global_load_dword v5, v[10:11], off
	v_ashrrev_i32_e32 v3, 31, v2
	v_lshl_add_u64 v[10:11], v[2:3], 2, s[14:15]
	global_load_dword v3, v[10:11], off
	v_cmp_le_i32_e32 vcc, s34, v2
	v_lshl_add_u32 v14, s35, 4, v1
                                        ; implicit-def: $vgpr10_vgpr11
	s_waitcnt vmcnt(1)
	v_subrev_u32_e32 v5, s26, v5
	v_cmp_lt_i32_e64 s[2:3], v2, v5
	s_waitcnt vmcnt(0)
	v_subrev_u32_e32 v8, s26, v3
	v_cndmask_b32_e64 v12, v4, v9, s[2:3]
	v_cmp_eq_u32_e64 s[2:3], v8, v12
	s_or_b64 s[2:3], s[2:3], vcc
                                        ; implicit-def: $vgpr2_vgpr3
	s_and_saveexec_b64 s[20:21], s[2:3]
	s_xor_b64 s[2:3], exec, s[20:21]
	s_cbranch_execz .LBB110_60
; %bb.59:                               ;   in Loop: Header=BB110_54 Depth=1
	ds_read_b128 v[2:5], v14
                                        ; implicit-def: $vgpr12
	s_waitcnt lgkmcnt(0)
	v_xor_b32_e32 v11, 0x80000000, v5
	v_mov_b32_e32 v10, v4
.LBB110_60:                             ;   in Loop: Header=BB110_54 Depth=1
	s_andn2_saveexec_b64 s[20:21], s[2:3]
	s_cbranch_execz .LBB110_53
; %bb.61:                               ;   in Loop: Header=BB110_54 Depth=1
	v_ashrrev_i32_e32 v13, 31, v12
	v_lshl_add_u64 v[2:3], v[12:13], 4, s[18:19]
	global_load_dwordx4 v[16:19], v[2:3], off
	ds_read_b128 v[2:5], v14
	v_cmp_gt_i32_e32 vcc, s29, v8
	v_cmp_le_i32_e64 s[2:3], s25, v8
	s_or_b64 s[2:3], vcc, s[2:3]
	s_waitcnt vmcnt(0) lgkmcnt(0)
	v_mul_f64 v[10:11], v[18:19], -v[4:5]
	v_mul_f64 v[12:13], v[18:19], v[2:3]
	v_fmac_f64_e32 v[10:11], v[2:3], v[16:17]
	v_fmac_f64_e32 v[12:13], v[4:5], v[16:17]
	s_and_saveexec_b64 s[36:37], s[2:3]
	s_xor_b64 s[2:3], exec, s[36:37]
	s_cbranch_execz .LBB110_63
; %bb.62:                               ;   in Loop: Header=BB110_54 Depth=1
	v_ashrrev_i32_e32 v9, 31, v8
	v_lshl_add_u64 v[16:17], v[8:9], 4, s[10:11]
	global_atomic_add_f64 v[16:17], v[10:11], off
	global_atomic_add_f64 v[16:17], v[12:13], off offset:8
                                        ; implicit-def: $vgpr10_vgpr11
                                        ; implicit-def: $vgpr12_vgpr13
.LBB110_63:                             ;   in Loop: Header=BB110_54 Depth=1
	s_andn2_saveexec_b64 s[2:3], s[2:3]
	s_cbranch_execz .LBB110_52
; %bb.64:                               ;   in Loop: Header=BB110_54 Depth=1
	v_subrev_u32_e32 v9, s29, v8
	v_lshl_add_u32 v9, v9, 4, v7
	ds_add_f64 v9, v[10:11]
	ds_add_f64 v9, v[12:13] offset:8
	s_branch .LBB110_52
.LBB110_65:
	s_or_b64 exec, exec, s[8:9]
                                        ; implicit-def: $vgpr16
                                        ; implicit-def: $vgpr6
.LBB110_66:
	s_andn2_saveexec_b64 s[6:7], s[6:7]
	s_cbranch_execz .LBB110_120
; %bb.67:
	s_add_i32 s20, s25, -1
	s_add_i32 s0, s25, -2
	s_cmp_lg_u32 s24, s0
	s_cselect_b64 s[2:3], -1, 0
	s_cmp_eq_u32 s24, s0
	v_mov_b32_e32 v4, s24
	v_mov_b32_e32 v2, s20
	s_cbranch_scc1 .LBB110_71
; %bb.68:
	s_mov_b64 s[8:9], 0
	v_mov_b32_e32 v4, s24
	v_mov_b32_e32 v2, s20
.LBB110_69:                             ; =>This Inner Loop Header: Depth=1
	v_add_u32_e32 v3, v2, v4
	v_lshrrev_b32_e32 v5, 31, v3
	v_add_u32_e32 v3, v3, v5
	v_ashrrev_i32_e32 v8, 1, v3
	v_ashrrev_i32_e32 v9, 31, v8
	v_lshl_add_u64 v[10:11], v[8:9], 2, s[12:13]
	global_load_dword v3, v[10:11], off
	s_waitcnt vmcnt(0)
	v_subrev_u32_e32 v3, s26, v3
	v_cmp_lt_i32_e32 vcc, v6, v3
	s_nop 1
	v_cndmask_b32_e32 v2, v2, v8, vcc
	v_cndmask_b32_e32 v4, v8, v4, vcc
	v_add_u32_e32 v3, -1, v2
	v_cmp_ge_i32_e32 vcc, v4, v2
	v_cmp_eq_u32_e64 s[0:1], v4, v3
	s_or_b64 s[0:1], vcc, s[0:1]
	s_and_b64 s[0:1], exec, s[0:1]
	s_or_b64 s[8:9], s[0:1], s[8:9]
	s_andn2_b64 exec, exec, s[8:9]
	s_cbranch_execnz .LBB110_69
; %bb.70:
	s_or_b64 exec, exec, s[8:9]
.LBB110_71:
	v_ashrrev_i32_e32 v3, 31, v2
	v_lshl_add_u64 v[8:9], v[2:3], 2, s[12:13]
	global_load_dword v3, v[8:9], off
	v_lshl_add_u64 v[8:9], v[6:7], 2, s[14:15]
	global_load_dword v5, v[8:9], off
	s_ashr_i32 s1, s25, 31
	s_mov_b32 s0, s25
	s_lshl_b64 s[0:1], s[0:1], 2
	s_add_u32 s8, s12, s0
	s_addc_u32 s9, s13, s1
	s_waitcnt vmcnt(1)
	v_subrev_u32_e32 v3, s26, v3
	v_cmp_lt_i32_e32 vcc, v6, v3
	s_waitcnt vmcnt(0)
	v_subrev_u32_e32 v10, s26, v5
	v_cndmask_b32_e32 v12, v2, v4, vcc
	v_cmp_ne_u32_e32 vcc, v10, v12
                                        ; implicit-def: $vgpr2_vgpr3
	s_and_saveexec_b64 s[0:1], vcc
	s_xor_b64 s[14:15], exec, s[0:1]
	s_cbranch_execz .LBB110_78
; %bb.72:
	s_load_dword s0, s[8:9], 0x0
	ds_read_b128 v[2:5], v1
	s_waitcnt lgkmcnt(0)
	s_sub_i32 s0, s0, s26
	v_cmp_gt_i32_e32 vcc, s0, v6
	s_and_saveexec_b64 s[16:17], vcc
	s_cbranch_execz .LBB110_77
; %bb.73:
	v_ashrrev_i32_e32 v13, 31, v12
	v_lshl_add_u64 v[12:13], v[12:13], 4, s[18:19]
	global_load_dwordx4 v[18:21], v[12:13], off
	v_cmp_gt_i32_e32 vcc, s29, v10
	v_cmp_le_i32_e64 s[0:1], s25, v10
	s_or_b64 s[0:1], vcc, s[0:1]
	s_waitcnt vmcnt(0)
	v_mul_f64 v[12:13], v[20:21], -v[4:5]
	v_mul_f64 v[14:15], v[20:21], v[2:3]
	v_fmac_f64_e32 v[12:13], v[2:3], v[18:19]
	v_fmac_f64_e32 v[14:15], v[4:5], v[18:19]
	s_and_saveexec_b64 s[34:35], s[0:1]
	s_xor_b64 s[0:1], exec, s[34:35]
	s_cbranch_execz .LBB110_75
; %bb.74:
	v_ashrrev_i32_e32 v11, 31, v10
	v_lshl_add_u64 v[18:19], v[10:11], 4, s[10:11]
	global_atomic_add_f64 v[18:19], v[12:13], off
	global_atomic_add_f64 v[18:19], v[14:15], off offset:8
                                        ; implicit-def: $vgpr12_vgpr13
                                        ; implicit-def: $vgpr14_vgpr15
.LBB110_75:
	s_andn2_saveexec_b64 s[0:1], s[0:1]
	s_cbranch_execz .LBB110_77
; %bb.76:
	v_subrev_u32_e32 v7, s29, v10
	v_mov_b32_e32 v11, 0x4000
	v_lshl_add_u32 v7, v7, 4, v11
	ds_add_f64 v7, v[12:13]
	ds_add_f64 v7, v[14:15] offset:8
.LBB110_77:
	s_or_b64 exec, exec, s[16:17]
.LBB110_78:
	s_andn2_saveexec_b64 s[0:1], s[14:15]
; %bb.79:
	ds_read_b128 v[2:5], v1
; %bb.80:
	s_or_b64 exec, exec, s[0:1]
	v_ashrrev_i32_e32 v11, 31, v10
	v_lshl_add_u64 v[10:11], v[10:11], 4, s[18:19]
	global_load_dwordx4 v[12:15], v[10:11], off
	v_cndmask_b32_e64 v11, 0, 1, s[2:3]
	v_add_u32_e32 v7, 0x100, v6
	v_mov_b32_e32 v10, s24
	v_cmp_ne_u32_e64 s[0:1], 1, v11
	s_andn2_b64 vcc, exec, s[2:3]
	s_waitcnt vmcnt(0) lgkmcnt(0)
	v_mul_f64 v[18:19], v[14:15], -v[4:5]
	v_mul_f64 v[20:21], v[14:15], v[2:3]
	v_fmac_f64_e32 v[18:19], v[2:3], v[12:13]
	v_fmac_f64_e32 v[20:21], v[4:5], v[12:13]
	v_mov_b32_e32 v2, s20
	ds_write_b128 v1, v[18:21]
	s_cbranch_vccnz .LBB110_84
; %bb.81:
	s_mov_b64 s[14:15], 0
	v_mov_b32_e32 v10, s24
	v_mov_b32_e32 v2, s20
.LBB110_82:                             ; =>This Inner Loop Header: Depth=1
	v_add_u32_e32 v3, v2, v10
	v_lshrrev_b32_e32 v4, 31, v3
	v_add_u32_e32 v3, v3, v4
	v_ashrrev_i32_e32 v4, 1, v3
	v_ashrrev_i32_e32 v5, 31, v4
	v_lshl_add_u64 v[12:13], v[4:5], 2, s[12:13]
	global_load_dword v3, v[12:13], off
	s_waitcnt vmcnt(0)
	v_subrev_u32_e32 v3, s26, v3
	v_cmp_lt_i32_e32 vcc, v7, v3
	s_nop 1
	v_cndmask_b32_e32 v2, v2, v4, vcc
	v_cndmask_b32_e32 v10, v4, v10, vcc
	v_add_u32_e32 v3, -1, v2
	v_cmp_ge_i32_e32 vcc, v10, v2
	v_cmp_eq_u32_e64 s[2:3], v10, v3
	s_or_b64 s[2:3], vcc, s[2:3]
	s_and_b64 s[2:3], exec, s[2:3]
	s_or_b64 s[14:15], s[2:3], s[14:15]
	s_andn2_b64 exec, exec, s[14:15]
	s_cbranch_execnz .LBB110_82
; %bb.83:
	s_or_b64 exec, exec, s[14:15]
.LBB110_84:
	v_ashrrev_i32_e32 v3, 31, v2
	v_lshl_add_u64 v[4:5], v[2:3], 2, s[12:13]
	global_load_dword v3, v[4:5], off
	global_load_dword v11, v[8:9], off offset:1024
	s_waitcnt vmcnt(1)
	v_subrev_u32_e32 v3, s26, v3
	v_cmp_lt_i32_e32 vcc, v7, v3
	s_nop 1
	v_cndmask_b32_e32 v12, v2, v10, vcc
	s_waitcnt vmcnt(0)
	v_subrev_u32_e32 v10, s26, v11
	v_cmp_ne_u32_e32 vcc, v10, v12
                                        ; implicit-def: $vgpr2_vgpr3
	s_and_saveexec_b64 s[2:3], vcc
	s_xor_b64 s[14:15], exec, s[2:3]
	s_cbranch_execz .LBB110_91
; %bb.85:
	s_load_dword s2, s[8:9], 0x0
	ds_read_b128 v[2:5], v1 offset:4096
	s_waitcnt lgkmcnt(0)
	s_sub_i32 s2, s2, s26
	v_cmp_gt_i32_e32 vcc, s2, v7
	s_and_saveexec_b64 s[16:17], vcc
	s_cbranch_execz .LBB110_90
; %bb.86:
	v_ashrrev_i32_e32 v13, 31, v12
	v_lshl_add_u64 v[12:13], v[12:13], 4, s[18:19]
	global_load_dwordx4 v[18:21], v[12:13], off
	v_cmp_gt_i32_e32 vcc, s29, v10
	v_cmp_le_i32_e64 s[2:3], s25, v10
	s_or_b64 s[2:3], vcc, s[2:3]
	s_waitcnt vmcnt(0)
	v_mul_f64 v[12:13], v[20:21], -v[4:5]
	v_mul_f64 v[14:15], v[20:21], v[2:3]
	v_fmac_f64_e32 v[12:13], v[2:3], v[18:19]
	v_fmac_f64_e32 v[14:15], v[4:5], v[18:19]
	s_and_saveexec_b64 s[34:35], s[2:3]
	s_xor_b64 s[2:3], exec, s[34:35]
	s_cbranch_execz .LBB110_88
; %bb.87:
	v_ashrrev_i32_e32 v11, 31, v10
	v_lshl_add_u64 v[18:19], v[10:11], 4, s[10:11]
	global_atomic_add_f64 v[18:19], v[12:13], off
	global_atomic_add_f64 v[18:19], v[14:15], off offset:8
                                        ; implicit-def: $vgpr12_vgpr13
                                        ; implicit-def: $vgpr14_vgpr15
.LBB110_88:
	s_andn2_saveexec_b64 s[2:3], s[2:3]
	s_cbranch_execz .LBB110_90
; %bb.89:
	v_subrev_u32_e32 v7, s29, v10
	v_mov_b32_e32 v11, 0x4000
	v_lshl_add_u32 v7, v7, 4, v11
	ds_add_f64 v7, v[12:13]
	ds_add_f64 v7, v[14:15] offset:8
.LBB110_90:
	s_or_b64 exec, exec, s[16:17]
.LBB110_91:
	s_andn2_saveexec_b64 s[2:3], s[14:15]
; %bb.92:
	ds_read_b128 v[2:5], v1 offset:4096
; %bb.93:
	s_or_b64 exec, exec, s[2:3]
	v_ashrrev_i32_e32 v11, 31, v10
	v_lshl_add_u64 v[10:11], v[10:11], 4, s[18:19]
	global_load_dwordx4 v[10:13], v[10:11], off
	v_add_u32_e32 v7, 0x200, v6
	s_and_b64 vcc, exec, s[0:1]
	v_mov_b32_e32 v6, s24
	s_waitcnt vmcnt(0) lgkmcnt(0)
	v_mul_f64 v[18:19], v[12:13], -v[4:5]
	v_mul_f64 v[20:21], v[12:13], v[2:3]
	v_fmac_f64_e32 v[18:19], v[2:3], v[10:11]
	v_fmac_f64_e32 v[20:21], v[4:5], v[10:11]
	v_mov_b32_e32 v2, s20
	ds_write_b128 v1, v[18:21] offset:4096
	s_cbranch_vccnz .LBB110_97
; %bb.94:
	s_mov_b64 s[14:15], 0
	v_mov_b32_e32 v6, s24
	v_mov_b32_e32 v2, s20
.LBB110_95:                             ; =>This Inner Loop Header: Depth=1
	v_add_u32_e32 v3, v2, v6
	v_lshrrev_b32_e32 v4, 31, v3
	v_add_u32_e32 v3, v3, v4
	v_ashrrev_i32_e32 v4, 1, v3
	v_ashrrev_i32_e32 v5, 31, v4
	v_lshl_add_u64 v[10:11], v[4:5], 2, s[12:13]
	global_load_dword v3, v[10:11], off
	s_waitcnt vmcnt(0)
	v_subrev_u32_e32 v3, s26, v3
	v_cmp_lt_i32_e32 vcc, v7, v3
	s_nop 1
	v_cndmask_b32_e32 v2, v2, v4, vcc
	v_cndmask_b32_e32 v6, v4, v6, vcc
	v_add_u32_e32 v3, -1, v2
	v_cmp_ge_i32_e32 vcc, v6, v2
	v_cmp_eq_u32_e64 s[2:3], v6, v3
	s_or_b64 s[2:3], vcc, s[2:3]
	s_and_b64 s[2:3], exec, s[2:3]
	s_or_b64 s[14:15], s[2:3], s[14:15]
	s_andn2_b64 exec, exec, s[14:15]
	s_cbranch_execnz .LBB110_95
; %bb.96:
	s_or_b64 exec, exec, s[14:15]
.LBB110_97:
	v_ashrrev_i32_e32 v3, 31, v2
	v_lshl_add_u64 v[4:5], v[2:3], 2, s[12:13]
	global_load_dword v3, v[4:5], off
	global_load_dword v11, v[8:9], off offset:2048
	s_waitcnt vmcnt(1)
	v_subrev_u32_e32 v3, s26, v3
	v_cmp_lt_i32_e32 vcc, v7, v3
	s_nop 1
	v_cndmask_b32_e32 v10, v2, v6, vcc
	s_waitcnt vmcnt(0)
	v_subrev_u32_e32 v6, s26, v11
	v_cmp_ne_u32_e32 vcc, v6, v10
                                        ; implicit-def: $vgpr2_vgpr3
	s_and_saveexec_b64 s[2:3], vcc
	s_xor_b64 s[14:15], exec, s[2:3]
	s_cbranch_execz .LBB110_104
; %bb.98:
	s_load_dword s2, s[8:9], 0x0
	ds_read_b128 v[2:5], v1 offset:8192
	s_waitcnt lgkmcnt(0)
	s_sub_i32 s2, s2, s26
	v_cmp_gt_i32_e32 vcc, s2, v7
	s_and_saveexec_b64 s[16:17], vcc
	s_cbranch_execz .LBB110_103
; %bb.99:
	v_ashrrev_i32_e32 v11, 31, v10
	v_lshl_add_u64 v[10:11], v[10:11], 4, s[18:19]
	global_load_dwordx4 v[18:21], v[10:11], off
	v_cmp_gt_i32_e32 vcc, s29, v6
	v_cmp_le_i32_e64 s[2:3], s25, v6
	s_or_b64 s[2:3], vcc, s[2:3]
	s_waitcnt vmcnt(0)
	v_mul_f64 v[10:11], v[20:21], -v[4:5]
	v_mul_f64 v[12:13], v[20:21], v[2:3]
	v_fmac_f64_e32 v[10:11], v[2:3], v[18:19]
	v_fmac_f64_e32 v[12:13], v[4:5], v[18:19]
	s_and_saveexec_b64 s[34:35], s[2:3]
	s_xor_b64 s[2:3], exec, s[34:35]
	s_cbranch_execz .LBB110_101
; %bb.100:
	v_ashrrev_i32_e32 v7, 31, v6
	v_lshl_add_u64 v[14:15], v[6:7], 4, s[10:11]
	global_atomic_add_f64 v[14:15], v[10:11], off
	global_atomic_add_f64 v[14:15], v[12:13], off offset:8
                                        ; implicit-def: $vgpr10_vgpr11
                                        ; implicit-def: $vgpr12_vgpr13
.LBB110_101:
	s_andn2_saveexec_b64 s[2:3], s[2:3]
	s_cbranch_execz .LBB110_103
; %bb.102:
	v_subrev_u32_e32 v7, s29, v6
	v_mov_b32_e32 v14, 0x4000
	v_lshl_add_u32 v7, v7, 4, v14
	ds_add_f64 v7, v[10:11]
	ds_add_f64 v7, v[12:13] offset:8
.LBB110_103:
	s_or_b64 exec, exec, s[16:17]
.LBB110_104:
	s_andn2_saveexec_b64 s[2:3], s[14:15]
; %bb.105:
	ds_read_b128 v[2:5], v1 offset:8192
; %bb.106:
	s_or_b64 exec, exec, s[2:3]
	v_ashrrev_i32_e32 v7, 31, v6
	v_lshl_add_u64 v[6:7], v[6:7], 4, s[18:19]
	global_load_dwordx4 v[10:13], v[6:7], off
	s_and_b64 vcc, exec, s[0:1]
	v_mov_b32_e32 v6, s24
	s_waitcnt vmcnt(0) lgkmcnt(0)
	v_mul_f64 v[18:19], v[12:13], -v[4:5]
	v_mul_f64 v[20:21], v[12:13], v[2:3]
	v_fmac_f64_e32 v[18:19], v[2:3], v[10:11]
	v_fmac_f64_e32 v[20:21], v[4:5], v[10:11]
	v_mov_b32_e32 v2, s20
	ds_write_b128 v1, v[18:21] offset:8192
	s_cbranch_vccnz .LBB110_110
; %bb.107:
	s_mov_b64 s[2:3], 0
	v_mov_b32_e32 v6, s24
	v_mov_b32_e32 v2, s20
.LBB110_108:                            ; =>This Inner Loop Header: Depth=1
	v_add_u32_e32 v3, v2, v6
	v_lshrrev_b32_e32 v4, 31, v3
	v_add_u32_e32 v3, v3, v4
	v_ashrrev_i32_e32 v4, 1, v3
	v_ashrrev_i32_e32 v5, 31, v4
	v_lshl_add_u64 v[10:11], v[4:5], 2, s[12:13]
	global_load_dword v3, v[10:11], off
	s_waitcnt vmcnt(0)
	v_subrev_u32_e32 v3, s26, v3
	v_cmp_lt_i32_e32 vcc, v16, v3
	s_nop 1
	v_cndmask_b32_e32 v2, v2, v4, vcc
	v_cndmask_b32_e32 v6, v4, v6, vcc
	v_add_u32_e32 v3, -1, v2
	v_cmp_ge_i32_e32 vcc, v6, v2
	v_cmp_eq_u32_e64 s[0:1], v6, v3
	s_or_b64 s[0:1], vcc, s[0:1]
	s_and_b64 s[0:1], exec, s[0:1]
	s_or_b64 s[2:3], s[0:1], s[2:3]
	s_andn2_b64 exec, exec, s[2:3]
	s_cbranch_execnz .LBB110_108
; %bb.109:
	s_or_b64 exec, exec, s[2:3]
.LBB110_110:
	v_ashrrev_i32_e32 v3, 31, v2
	v_lshl_add_u64 v[4:5], v[2:3], 2, s[12:13]
	global_load_dword v3, v[4:5], off
	global_load_dword v7, v[8:9], off offset:3072
	s_waitcnt vmcnt(1)
	v_subrev_u32_e32 v3, s26, v3
	v_cmp_lt_i32_e32 vcc, v16, v3
	s_nop 1
	v_cndmask_b32_e32 v8, v2, v6, vcc
	s_waitcnt vmcnt(0)
	v_subrev_u32_e32 v6, s26, v7
	v_cmp_ne_u32_e32 vcc, v6, v8
                                        ; implicit-def: $vgpr2_vgpr3
	s_and_saveexec_b64 s[0:1], vcc
	s_xor_b64 s[2:3], exec, s[0:1]
	s_cbranch_execz .LBB110_117
; %bb.111:
	s_load_dword s0, s[8:9], 0x0
	ds_read_b128 v[2:5], v1 offset:12288
	s_waitcnt lgkmcnt(0)
	s_sub_i32 s0, s0, s26
	v_cmp_gt_i32_e32 vcc, s0, v16
	s_and_saveexec_b64 s[8:9], vcc
	s_cbranch_execz .LBB110_116
; %bb.112:
	v_ashrrev_i32_e32 v9, 31, v8
	v_lshl_add_u64 v[8:9], v[8:9], 4, s[18:19]
	global_load_dwordx4 v[12:15], v[8:9], off
	v_cmp_gt_i32_e32 vcc, s29, v6
	v_cmp_le_i32_e64 s[0:1], s25, v6
	s_or_b64 s[0:1], vcc, s[0:1]
	s_waitcnt vmcnt(0)
	v_mul_f64 v[8:9], v[14:15], -v[4:5]
	v_mul_f64 v[10:11], v[14:15], v[2:3]
	v_fmac_f64_e32 v[8:9], v[2:3], v[12:13]
	v_fmac_f64_e32 v[10:11], v[4:5], v[12:13]
	s_and_saveexec_b64 s[14:15], s[0:1]
	s_xor_b64 s[0:1], exec, s[14:15]
	s_cbranch_execz .LBB110_114
; %bb.113:
	v_ashrrev_i32_e32 v7, 31, v6
	v_lshl_add_u64 v[12:13], v[6:7], 4, s[10:11]
	global_atomic_add_f64 v[12:13], v[8:9], off
	global_atomic_add_f64 v[12:13], v[10:11], off offset:8
                                        ; implicit-def: $vgpr8_vgpr9
                                        ; implicit-def: $vgpr10_vgpr11
.LBB110_114:
	s_andn2_saveexec_b64 s[0:1], s[0:1]
	s_cbranch_execz .LBB110_116
; %bb.115:
	v_subrev_u32_e32 v7, s29, v6
	v_mov_b32_e32 v12, 0x4000
	v_lshl_add_u32 v7, v7, 4, v12
	ds_add_f64 v7, v[8:9]
	ds_add_f64 v7, v[10:11] offset:8
.LBB110_116:
	s_or_b64 exec, exec, s[8:9]
.LBB110_117:
	s_andn2_saveexec_b64 s[0:1], s[2:3]
; %bb.118:
	ds_read_b128 v[2:5], v1 offset:12288
; %bb.119:
	s_or_b64 exec, exec, s[0:1]
	v_ashrrev_i32_e32 v7, 31, v6
	v_lshl_add_u64 v[6:7], v[6:7], 4, s[18:19]
	global_load_dwordx4 v[6:9], v[6:7], off
	s_waitcnt vmcnt(0) lgkmcnt(0)
	v_mul_f64 v[10:11], v[8:9], -v[4:5]
	v_mul_f64 v[12:13], v[8:9], v[2:3]
	v_fmac_f64_e32 v[10:11], v[2:3], v[6:7]
	v_fmac_f64_e32 v[12:13], v[4:5], v[6:7]
	ds_write_b128 v1, v[10:13] offset:12288
.LBB110_120:
	s_or_b64 exec, exec, s[6:7]
	s_min_i32 s6, s25, s22
	s_sub_i32 s14, s6, s23
	v_cmp_gt_i32_e32 vcc, s14, v0
	s_waitcnt lgkmcnt(0)
	s_barrier
	s_and_saveexec_b64 s[0:1], vcc
	s_cbranch_execz .LBB110_123
; %bb.121:
	v_mov_b32_e32 v2, 0x4000
	v_lshl_add_u32 v2, v0, 4, v2
	s_mov_b64 s[2:3], 0
	v_mov_b32_e32 v3, v0
.LBB110_122:                            ; =>This Inner Loop Header: Depth=1
	ds_read2_b64 v[6:9], v2 offset1:1
	v_add_u32_e32 v4, s29, v3
	v_ashrrev_i32_e32 v5, 31, v4
	v_lshl_add_u64 v[4:5], v[4:5], 4, s[10:11]
	v_add_u32_e32 v3, 0x100, v3
	s_waitcnt lgkmcnt(0)
	global_atomic_add_f64 v[4:5], v[6:7], off
	global_atomic_add_f64 v[4:5], v[8:9], off offset:8
	v_cmp_le_i32_e32 vcc, s14, v3
	s_or_b64 s[2:3], vcc, s[2:3]
	v_add_u32_e32 v2, 0x1000, v2
	s_andn2_b64 exec, exec, s[2:3]
	s_cbranch_execnz .LBB110_122
.LBB110_123:
	s_or_b64 exec, exec, s[0:1]
	s_mul_i32 s0, s28, s23
	s_sub_i32 s0, s30, s0
	s_add_i32 s1, s28, 1
	s_sub_i32 s2, s0, s23
	s_cmp_ge_u32 s0, s23
	s_cselect_b32 s1, s1, s28
	s_cselect_b32 s0, s2, s0
	s_add_i32 s2, s1, 1
	s_cmp_ge_u32 s0, s23
	s_cselect_b32 s0, s2, s1
	s_add_i32 s0, s0, -1
	s_ashr_i32 s1, s0, 1
	s_or_b32 s0, s1, s0
	s_ashr_i32 s1, s0, 2
	s_or_b32 s0, s1, s0
	s_ashr_i32 s1, s0, 4
	s_or_b32 s0, s1, s0
	s_ashr_i32 s1, s0, 8
	s_or_b32 s0, s1, s0
	s_ashr_i32 s1, s0, 16
	s_or_b32 s0, s1, s0
	s_add_i32 s0, s0, 1
	s_ashr_i32 s15, s0, 1
	v_add_u32_e32 v6, s24, v0
	s_cmp_gt_i32 s15, 1
	s_mov_b64 s[0:1], -1
	s_barrier
	s_cbranch_scc1 .LBB110_132
; %bb.124:
	v_cmp_gt_i32_e32 vcc, s25, v6
	s_and_saveexec_b64 s[0:1], vcc
	s_cbranch_execz .LBB110_131
; %bb.125:
	s_sub_i32 s2, s6, s25
	s_lshl_b32 s2, s2, 4
	s_add_i32 s16, s2, 0x4000
	s_lshl_b32 s2, s27, 4
	s_sub_i32 s17, 0, s2
	s_mov_b64 s[2:3], 0
	v_mov_b32_e32 v2, v6
	s_branch .LBB110_127
.LBB110_126:                            ;   in Loop: Header=BB110_127 Depth=1
	s_or_b64 exec, exec, s[6:7]
	v_lshl_add_u32 v7, v2, 4, s16
	ds_read2_b64 v[10:13], v7 offset1:1
	s_waitcnt lgkmcnt(0)
	v_add_f64 v[8:9], v[8:9], v[10:11]
	v_lshl_add_u64 v[10:11], v[2:3], 4, s[10:11]
	v_add_f64 v[4:5], v[4:5], v[12:13]
	global_atomic_add_f64 v[10:11], v[8:9], off
	global_atomic_add_f64 v[10:11], v[4:5], off offset:8
	v_add_u32_e32 v2, s30, v2
	v_cmp_le_i32_e32 vcc, s25, v2
	s_or_b64 s[2:3], vcc, s[2:3]
	s_andn2_b64 exec, exec, s[2:3]
	s_cbranch_execz .LBB110_131
.LBB110_127:                            ; =>This Loop Header: Depth=1
                                        ;     Child Loop BB110_129 Depth 2
	v_ashrrev_i32_e32 v3, 31, v2
	v_lshl_add_u64 v[4:5], v[2:3], 2, s[12:13]
	global_load_dwordx2 v[10:11], v[4:5], off
	v_mov_b64_e32 v[4:5], 0
	v_mov_b64_e32 v[8:9], 0
	s_waitcnt vmcnt(0)
	v_cmp_lt_i32_e32 vcc, v10, v11
	s_and_saveexec_b64 s[6:7], vcc
	s_cbranch_execz .LBB110_126
; %bb.128:                              ;   in Loop: Header=BB110_127 Depth=1
	v_subrev_u32_e32 v7, s27, v11
	v_subrev_u32_e32 v11, s27, v10
	v_lshl_add_u32 v10, v10, 4, s17
	v_mov_b64_e32 v[4:5], 0
	s_mov_b64 s[8:9], 0
	v_mov_b64_e32 v[8:9], 0
.LBB110_129:                            ;   Parent Loop BB110_127 Depth=1
                                        ; =>  This Inner Loop Header: Depth=2
	ds_read_b128 v[12:15], v10
	v_add_u32_e32 v11, 1, v11
	v_cmp_ge_i32_e32 vcc, v11, v7
	v_add_u32_e32 v10, 16, v10
	s_or_b64 s[8:9], vcc, s[8:9]
	s_waitcnt lgkmcnt(0)
	v_add_f64 v[8:9], v[8:9], v[12:13]
	v_add_f64 v[4:5], v[4:5], v[14:15]
	s_andn2_b64 exec, exec, s[8:9]
	s_cbranch_execnz .LBB110_129
; %bb.130:                              ;   in Loop: Header=BB110_127 Depth=1
	s_or_b64 exec, exec, s[8:9]
	s_branch .LBB110_126
.LBB110_131:
	s_or_b64 exec, exec, s[0:1]
	s_mov_b64 s[0:1], 0
.LBB110_132:
	s_andn2_b64 vcc, exec, s[0:1]
	s_cbranch_vccnz .LBB110_145
; %bb.133:
	v_cvt_f32_u32_e32 v2, s15
	s_sub_i32 s0, 0, s15
	v_rcp_iflag_f32_e32 v2, v2
	s_nop 0
	v_mul_f32_e32 v2, 0x4f7ffffe, v2
	v_cvt_u32_f32_e32 v2, v2
	v_mul_lo_u32 v3, s0, v2
	v_mul_hi_u32 v3, v2, v3
	v_add_u32_e32 v2, v2, v3
	v_mul_hi_u32 v2, v0, v2
	v_mul_lo_u32 v3, v2, s15
	v_sub_u32_e32 v3, v0, v3
	v_add_u32_e32 v4, 1, v2
	v_cmp_le_u32_e32 vcc, s15, v3
	s_nop 1
	v_cndmask_b32_e32 v2, v2, v4, vcc
	v_subrev_u32_e32 v4, s15, v3
	v_cndmask_b32_e32 v3, v3, v4, vcc
	v_add_u32_e32 v4, 1, v2
	v_cmp_le_u32_e32 vcc, s15, v3
	s_nop 1
	v_cndmask_b32_e32 v2, v2, v4, vcc
	v_lshlrev_b32_e32 v3, 2, v2
	global_load_dwordx2 v[8:9], v3, s[4:5]
	v_cmp_gt_i32_e32 vcc, s23, v2
	v_mov_b64_e32 v[4:5], 0
	v_mov_b64_e32 v[2:3], 0
	s_and_saveexec_b64 s[0:1], vcc
	s_cbranch_execz .LBB110_141
; %bb.134:
	s_abs_i32 s4, s15
	v_cvt_f32_u32_e32 v2, s4
	s_waitcnt vmcnt(0)
	v_subrev_u32_e32 v8, s27, v8
	v_subrev_u32_e32 v7, s27, v9
	v_sub_u32_e32 v3, v7, v8
	v_rcp_iflag_f32_e32 v2, v2
	s_sub_i32 s2, 0, s4
	v_sub_u32_e32 v5, 0, v3
	v_ashrrev_i32_e32 v4, 31, v3
	v_mul_f32_e32 v2, 0x4f7ffffe, v2
	v_cvt_u32_f32_e32 v2, v2
	v_max_i32_e32 v5, v3, v5
	s_ashr_i32 s5, s15, 31
	v_mul_lo_u32 v3, s2, v2
	v_mul_hi_u32 v3, v2, v3
	v_add_u32_e32 v2, v2, v3
	v_mad_u64_u32 v[2:3], s[2:3], v5, v2, 0
	v_xor_b32_e32 v2, s5, v4
	v_mul_lo_u32 v4, v3, s4
	v_sub_u32_e32 v4, v5, v4
	v_add_u32_e32 v5, 1, v3
	v_cmp_le_u32_e32 vcc, s4, v4
	s_add_i32 s2, s15, -1
	v_and_b32_e32 v11, s2, v0
	v_cndmask_b32_e32 v3, v3, v5, vcc
	v_subrev_u32_e32 v5, s4, v4
	v_cndmask_b32_e32 v4, v4, v5, vcc
	v_add_u32_e32 v5, 1, v3
	v_cmp_le_u32_e32 vcc, s4, v4
	v_lshlrev_b32_e32 v10, 4, v11
	s_nop 0
	v_cndmask_b32_e32 v3, v3, v5, vcc
	v_xor_b32_e32 v3, v3, v2
	v_sub_u32_e32 v9, v3, v2
	v_cmp_lt_i32_e32 vcc, 0, v9
	v_mov_b64_e32 v[4:5], 0
	v_mov_b64_e32 v[2:3], 0
	s_and_saveexec_b64 s[2:3], vcc
	s_cbranch_execz .LBB110_138
; %bb.135:
	v_mov_b64_e32 v[4:5], 0
	v_lshl_add_u32 v12, v8, 4, v10
	s_lshl_b32 s6, s15, 4
	s_mov_b64 s[4:5], 0
	v_mov_b32_e32 v13, v9
	v_mov_b64_e32 v[2:3], v[4:5]
.LBB110_136:                            ; =>This Inner Loop Header: Depth=1
	ds_read_b128 v[14:17], v12
	v_add_u32_e32 v13, -1, v13
	v_cmp_eq_u32_e32 vcc, 0, v13
	v_add_u32_e32 v12, s6, v12
	s_or_b64 s[4:5], vcc, s[4:5]
	s_waitcnt lgkmcnt(0)
	v_add_f64 v[2:3], v[2:3], v[14:15]
	v_add_f64 v[4:5], v[4:5], v[16:17]
	s_andn2_b64 exec, exec, s[4:5]
	s_cbranch_execnz .LBB110_136
; %bb.137:
	s_or_b64 exec, exec, s[4:5]
.LBB110_138:
	s_or_b64 exec, exec, s[2:3]
	v_mad_u64_u32 v[8:9], s[2:3], v9, s15, v[8:9]
	v_sub_u32_e32 v7, v7, v8
	v_cmp_lt_i32_e32 vcc, v11, v7
	s_and_saveexec_b64 s[2:3], vcc
	s_cbranch_execz .LBB110_140
; %bb.139:
	v_lshl_add_u32 v7, v8, 4, v10
	ds_read_b128 v[8:11], v7
	s_waitcnt lgkmcnt(0)
	v_add_f64 v[2:3], v[2:3], v[8:9]
	v_add_f64 v[4:5], v[4:5], v[10:11]
.LBB110_140:
	s_or_b64 exec, exec, s[2:3]
.LBB110_141:
	s_or_b64 exec, exec, s[0:1]
	v_cmp_gt_i32_e32 vcc, s23, v0
	s_barrier
	ds_write_b128 v1, v[2:5]
	s_waitcnt lgkmcnt(0)
	s_barrier
	s_and_b64 exec, exec, vcc
	s_cbranch_execz .LBB110_145
; %bb.142:
	v_mul_lo_u32 v1, s15, v0
	v_lshlrev_b32_e32 v1, 4, v1
	v_mov_b64_e32 v[2:3], 0
	v_mov_b64_e32 v[4:5], 0
.LBB110_143:                            ; =>This Inner Loop Header: Depth=1
	s_waitcnt vmcnt(0)
	ds_read_b128 v[8:11], v1
	s_add_i32 s15, s15, -1
	v_add_u32_e32 v1, 16, v1
	s_cmp_eq_u32 s15, 0
	s_waitcnt lgkmcnt(0)
	v_add_f64 v[4:5], v[4:5], v[8:9]
	v_add_f64 v[2:3], v[2:3], v[10:11]
	s_cbranch_scc0 .LBB110_143
; %bb.144:
	s_lshl_b32 s0, s14, 4
	s_addk_i32 s0, 0x4000
	v_lshl_add_u32 v0, v0, 4, s0
	ds_read2_b64 v[8:11], v0 offset1:1
	v_ashrrev_i32_e32 v7, 31, v6
	s_waitcnt lgkmcnt(0)
	v_add_f64 v[0:1], v[4:5], v[8:9]
	v_lshl_add_u64 v[4:5], v[6:7], 4, s[10:11]
	v_add_f64 v[2:3], v[2:3], v[10:11]
	global_atomic_add_f64 v[4:5], v[0:1], off
	global_atomic_add_f64 v[4:5], v[2:3], off offset:8
.LBB110_145:
	s_endpgm
	.section	.rodata,"a",@progbits
	.p2align	6, 0x0
	.amdhsa_kernel _ZN9rocsparseL27csrmvn_symm_adaptive_kernelIii21rocsparse_complex_numIfES1_IdES3_S3_EEvbT_S4_PKS4_NS_24const_host_device_scalarIT4_EES6_PKT0_PKT1_PKT2_S9_PT3_21rocsparse_index_base_b
		.amdhsa_group_segment_fixed_size 16384
		.amdhsa_private_segment_fixed_size 0
		.amdhsa_kernarg_size 360
		.amdhsa_user_sgpr_count 2
		.amdhsa_user_sgpr_dispatch_ptr 0
		.amdhsa_user_sgpr_queue_ptr 0
		.amdhsa_user_sgpr_kernarg_segment_ptr 1
		.amdhsa_user_sgpr_dispatch_id 0
		.amdhsa_user_sgpr_kernarg_preload_length 0
		.amdhsa_user_sgpr_kernarg_preload_offset 0
		.amdhsa_user_sgpr_private_segment_size 0
		.amdhsa_uses_dynamic_stack 0
		.amdhsa_enable_private_segment 0
		.amdhsa_system_sgpr_workgroup_id_x 1
		.amdhsa_system_sgpr_workgroup_id_y 0
		.amdhsa_system_sgpr_workgroup_id_z 0
		.amdhsa_system_sgpr_workgroup_info 0
		.amdhsa_system_vgpr_workitem_id 0
		.amdhsa_next_free_vgpr 32
		.amdhsa_next_free_sgpr 48
		.amdhsa_accum_offset 32
		.amdhsa_reserve_vcc 1
		.amdhsa_float_round_mode_32 0
		.amdhsa_float_round_mode_16_64 0
		.amdhsa_float_denorm_mode_32 3
		.amdhsa_float_denorm_mode_16_64 3
		.amdhsa_dx10_clamp 1
		.amdhsa_ieee_mode 1
		.amdhsa_fp16_overflow 0
		.amdhsa_tg_split 0
		.amdhsa_exception_fp_ieee_invalid_op 0
		.amdhsa_exception_fp_denorm_src 0
		.amdhsa_exception_fp_ieee_div_zero 0
		.amdhsa_exception_fp_ieee_overflow 0
		.amdhsa_exception_fp_ieee_underflow 0
		.amdhsa_exception_fp_ieee_inexact 0
		.amdhsa_exception_int_div_zero 0
	.end_amdhsa_kernel
	.section	.text._ZN9rocsparseL27csrmvn_symm_adaptive_kernelIii21rocsparse_complex_numIfES1_IdES3_S3_EEvbT_S4_PKS4_NS_24const_host_device_scalarIT4_EES6_PKT0_PKT1_PKT2_S9_PT3_21rocsparse_index_base_b,"axG",@progbits,_ZN9rocsparseL27csrmvn_symm_adaptive_kernelIii21rocsparse_complex_numIfES1_IdES3_S3_EEvbT_S4_PKS4_NS_24const_host_device_scalarIT4_EES6_PKT0_PKT1_PKT2_S9_PT3_21rocsparse_index_base_b,comdat
.Lfunc_end110:
	.size	_ZN9rocsparseL27csrmvn_symm_adaptive_kernelIii21rocsparse_complex_numIfES1_IdES3_S3_EEvbT_S4_PKS4_NS_24const_host_device_scalarIT4_EES6_PKT0_PKT1_PKT2_S9_PT3_21rocsparse_index_base_b, .Lfunc_end110-_ZN9rocsparseL27csrmvn_symm_adaptive_kernelIii21rocsparse_complex_numIfES1_IdES3_S3_EEvbT_S4_PKS4_NS_24const_host_device_scalarIT4_EES6_PKT0_PKT1_PKT2_S9_PT3_21rocsparse_index_base_b
                                        ; -- End function
	.set _ZN9rocsparseL27csrmvn_symm_adaptive_kernelIii21rocsparse_complex_numIfES1_IdES3_S3_EEvbT_S4_PKS4_NS_24const_host_device_scalarIT4_EES6_PKT0_PKT1_PKT2_S9_PT3_21rocsparse_index_base_b.num_vgpr, 32
	.set _ZN9rocsparseL27csrmvn_symm_adaptive_kernelIii21rocsparse_complex_numIfES1_IdES3_S3_EEvbT_S4_PKS4_NS_24const_host_device_scalarIT4_EES6_PKT0_PKT1_PKT2_S9_PT3_21rocsparse_index_base_b.num_agpr, 0
	.set _ZN9rocsparseL27csrmvn_symm_adaptive_kernelIii21rocsparse_complex_numIfES1_IdES3_S3_EEvbT_S4_PKS4_NS_24const_host_device_scalarIT4_EES6_PKT0_PKT1_PKT2_S9_PT3_21rocsparse_index_base_b.numbered_sgpr, 48
	.set _ZN9rocsparseL27csrmvn_symm_adaptive_kernelIii21rocsparse_complex_numIfES1_IdES3_S3_EEvbT_S4_PKS4_NS_24const_host_device_scalarIT4_EES6_PKT0_PKT1_PKT2_S9_PT3_21rocsparse_index_base_b.num_named_barrier, 0
	.set _ZN9rocsparseL27csrmvn_symm_adaptive_kernelIii21rocsparse_complex_numIfES1_IdES3_S3_EEvbT_S4_PKS4_NS_24const_host_device_scalarIT4_EES6_PKT0_PKT1_PKT2_S9_PT3_21rocsparse_index_base_b.private_seg_size, 0
	.set _ZN9rocsparseL27csrmvn_symm_adaptive_kernelIii21rocsparse_complex_numIfES1_IdES3_S3_EEvbT_S4_PKS4_NS_24const_host_device_scalarIT4_EES6_PKT0_PKT1_PKT2_S9_PT3_21rocsparse_index_base_b.uses_vcc, 1
	.set _ZN9rocsparseL27csrmvn_symm_adaptive_kernelIii21rocsparse_complex_numIfES1_IdES3_S3_EEvbT_S4_PKS4_NS_24const_host_device_scalarIT4_EES6_PKT0_PKT1_PKT2_S9_PT3_21rocsparse_index_base_b.uses_flat_scratch, 0
	.set _ZN9rocsparseL27csrmvn_symm_adaptive_kernelIii21rocsparse_complex_numIfES1_IdES3_S3_EEvbT_S4_PKS4_NS_24const_host_device_scalarIT4_EES6_PKT0_PKT1_PKT2_S9_PT3_21rocsparse_index_base_b.has_dyn_sized_stack, 0
	.set _ZN9rocsparseL27csrmvn_symm_adaptive_kernelIii21rocsparse_complex_numIfES1_IdES3_S3_EEvbT_S4_PKS4_NS_24const_host_device_scalarIT4_EES6_PKT0_PKT1_PKT2_S9_PT3_21rocsparse_index_base_b.has_recursion, 0
	.set _ZN9rocsparseL27csrmvn_symm_adaptive_kernelIii21rocsparse_complex_numIfES1_IdES3_S3_EEvbT_S4_PKS4_NS_24const_host_device_scalarIT4_EES6_PKT0_PKT1_PKT2_S9_PT3_21rocsparse_index_base_b.has_indirect_call, 0
	.section	.AMDGPU.csdata,"",@progbits
; Kernel info:
; codeLenInByte = 6524
; TotalNumSgprs: 54
; NumVgprs: 32
; NumAgprs: 0
; TotalNumVgprs: 32
; ScratchSize: 0
; MemoryBound: 0
; FloatMode: 240
; IeeeMode: 1
; LDSByteSize: 16384 bytes/workgroup (compile time only)
; SGPRBlocks: 6
; VGPRBlocks: 3
; NumSGPRsForWavesPerEU: 54
; NumVGPRsForWavesPerEU: 32
; AccumOffset: 32
; Occupancy: 8
; WaveLimiterHint : 1
; COMPUTE_PGM_RSRC2:SCRATCH_EN: 0
; COMPUTE_PGM_RSRC2:USER_SGPR: 2
; COMPUTE_PGM_RSRC2:TRAP_HANDLER: 0
; COMPUTE_PGM_RSRC2:TGID_X_EN: 1
; COMPUTE_PGM_RSRC2:TGID_Y_EN: 0
; COMPUTE_PGM_RSRC2:TGID_Z_EN: 0
; COMPUTE_PGM_RSRC2:TIDIG_COMP_CNT: 0
; COMPUTE_PGM_RSRC3_GFX90A:ACCUM_OFFSET: 7
; COMPUTE_PGM_RSRC3_GFX90A:TG_SPLIT: 0
	.section	.text._ZL33csrmvn_symm_large_adaptive_kernelIii21rocsparse_complex_numIfES0_IdES2_S2_EvbT_PKS3_N9rocsparse24const_host_device_scalarIT4_EES5_PKT0_PKT1_PKT2_S9_PT3_21rocsparse_index_base_b,"axG",@progbits,_ZL33csrmvn_symm_large_adaptive_kernelIii21rocsparse_complex_numIfES0_IdES2_S2_EvbT_PKS3_N9rocsparse24const_host_device_scalarIT4_EES5_PKT0_PKT1_PKT2_S9_PT3_21rocsparse_index_base_b,comdat
	.globl	_ZL33csrmvn_symm_large_adaptive_kernelIii21rocsparse_complex_numIfES0_IdES2_S2_EvbT_PKS3_N9rocsparse24const_host_device_scalarIT4_EES5_PKT0_PKT1_PKT2_S9_PT3_21rocsparse_index_base_b ; -- Begin function _ZL33csrmvn_symm_large_adaptive_kernelIii21rocsparse_complex_numIfES0_IdES2_S2_EvbT_PKS3_N9rocsparse24const_host_device_scalarIT4_EES5_PKT0_PKT1_PKT2_S9_PT3_21rocsparse_index_base_b
	.p2align	8
	.type	_ZL33csrmvn_symm_large_adaptive_kernelIii21rocsparse_complex_numIfES0_IdES2_S2_EvbT_PKS3_N9rocsparse24const_host_device_scalarIT4_EES5_PKT0_PKT1_PKT2_S9_PT3_21rocsparse_index_base_b,@function
_ZL33csrmvn_symm_large_adaptive_kernelIii21rocsparse_complex_numIfES0_IdES2_S2_EvbT_PKS3_N9rocsparse24const_host_device_scalarIT4_EES5_PKT0_PKT1_PKT2_S9_PT3_21rocsparse_index_base_b: ; @_ZL33csrmvn_symm_large_adaptive_kernelIii21rocsparse_complex_numIfES0_IdES2_S2_EvbT_PKS3_N9rocsparse24const_host_device_scalarIT4_EES5_PKT0_PKT1_PKT2_S9_PT3_21rocsparse_index_base_b
; %bb.0:
	s_load_dwordx2 s[16:17], s[0:1], 0x58
	s_load_dwordx2 s[4:5], s[0:1], 0x10
	s_add_u32 s3, s0, 16
	s_addc_u32 s10, s1, 0
	s_waitcnt lgkmcnt(0)
	s_bitcmp1_b32 s17, 0
	s_cselect_b64 s[8:9], -1, 0
	s_and_b64 s[6:7], s[8:9], exec
	s_cselect_b32 s5, s10, s5
	s_cselect_b32 s3, s3, s4
	v_mov_b32_e32 v2, s3
	v_mov_b32_e32 v3, s5
	flat_load_dwordx4 v[2:5], v[2:3]
	s_waitcnt vmcnt(0) lgkmcnt(0)
	v_cmp_eq_f64_e32 vcc, 0, v[2:3]
	v_cmp_eq_f64_e64 s[4:5], 0, v[4:5]
	s_and_b64 s[10:11], vcc, s[4:5]
	s_mov_b64 s[4:5], -1
	s_and_saveexec_b64 s[6:7], s[10:11]
	s_cbranch_execz .LBB111_2
; %bb.1:
	s_load_dwordx2 s[4:5], s[0:1], 0x40
	s_add_u32 s3, s0, 64
	s_addc_u32 s10, s1, 0
	s_and_b64 s[8:9], s[8:9], exec
	s_waitcnt lgkmcnt(0)
	s_cselect_b32 s5, s10, s5
	s_cselect_b32 s3, s3, s4
	v_mov_b32_e32 v6, s3
	v_mov_b32_e32 v7, s5
	flat_load_dwordx4 v[6:9], v[6:7]
	s_waitcnt vmcnt(0) lgkmcnt(0)
	v_cmp_neq_f64_e32 vcc, 1.0, v[6:7]
	v_cmp_neq_f64_e64 s[4:5], 0, v[8:9]
	s_or_b64 s[4:5], vcc, s[4:5]
	s_orn2_b64 s[4:5], s[4:5], exec
.LBB111_2:
	s_or_b64 exec, exec, s[6:7]
	s_and_saveexec_b64 s[6:7], s[4:5]
	s_cbranch_execz .LBB111_36
; %bb.3:
	s_load_dword s3, s[0:1], 0x0
	s_load_dwordx2 s[8:9], s[0:1], 0x8
	s_mov_b32 s4, 0
	s_mov_b32 s6, s4
	;; [unrolled: 1-line block ×3, first 2 shown]
	s_waitcnt lgkmcnt(0)
	s_bitcmp1_b32 s3, 0
	s_cselect_b64 s[18:19], -1, 0
	s_ashr_i32 s3, s2, 31
	s_lshl_b64 s[2:3], s[2:3], 2
	s_mov_b32 s5, s4
	v_mov_b64_e32 v[8:9], s[6:7]
	s_add_u32 s2, s8, s2
	v_lshlrev_b32_e32 v14, 4, v0
	v_mov_b64_e32 v[6:7], s[4:5]
	s_addc_u32 s3, s9, s3
	ds_write_b128 v14, v[6:9]
	ds_write_b128 v14, v[6:9] offset:4096
	ds_write_b128 v14, v[6:9] offset:8192
	;; [unrolled: 1-line block ×3, first 2 shown]
	s_waitcnt lgkmcnt(0)
	s_barrier
	s_load_dwordx2 s[20:21], s[2:3], 0x0
	s_load_dwordx2 s[22:23], s[0:1], 0x50
	s_load_dwordx8 s[8:15], s[0:1], 0x20
	v_subrev_u32_e32 v15, s16, v0
	s_waitcnt lgkmcnt(0)
	s_cmp_ge_i32 s20, s21
	s_cbranch_scc1 .LBB111_27
; %bb.4:
	s_add_u32 s24, s12, 4
	v_cmp_gt_u32_e32 vcc, 64, v0
	v_cmp_gt_u32_e64 s[0:1], 16, v0
	v_cmp_gt_u32_e64 s[2:3], 4, v0
	v_cmp_eq_u32_e64 s[4:5], 0, v0
	s_addc_u32 s25, s13, 0
	s_mov_b64 s[26:27], 0x400
	s_mov_b64 s[28:29], 0x800
	v_mov_b32_e32 v16, 0
	s_mov_b32 s30, s20
	s_branch .LBB111_6
.LBB111_5:                              ;   in Loop: Header=BB111_6 Depth=1
	s_or_b64 exec, exec, s[34:35]
	s_add_i32 s30, s30, 1
	s_cmp_ge_i32 s30, s21
	s_cbranch_scc1 .LBB111_27
.LBB111_6:                              ; =>This Loop Header: Depth=1
                                        ;     Child Loop BB111_8 Depth 2
                                        ;     Child Loop BB111_20 Depth 2
                                        ;     Child Loop BB111_24 Depth 2
	s_ashr_i32 s31, s30, 31
	s_lshl_b64 s[6:7], s[30:31], 2
	s_add_u32 s6, s8, s6
	s_addc_u32 s7, s9, s7
	s_load_dwordx2 s[34:35], s[6:7], 0x0
	v_mov_b64_e32 v[8:9], 0
	v_mov_b64_e32 v[6:7], 0
	s_waitcnt lgkmcnt(0)
	v_add_u32_e32 v0, s34, v15
	s_sub_i32 s17, s35, s16
	v_cmp_gt_i32_e64 s[6:7], s17, v0
	s_and_saveexec_b64 s[34:35], s[6:7]
	s_cbranch_execz .LBB111_10
; %bb.7:                                ;   in Loop: Header=BB111_6 Depth=1
	v_ashrrev_i32_e32 v1, 31, v0
	v_mov_b64_e32 v[8:9], 0
	v_lshl_add_u64 v[10:11], v[0:1], 2, s[10:11]
	v_lshl_add_u64 v[12:13], v[0:1], 3, s[24:25]
	s_mov_b64 s[36:37], 0
	v_mov_b64_e32 v[6:7], v[8:9]
.LBB111_8:                              ;   Parent Loop BB111_6 Depth=1
                                        ; =>  This Inner Loop Header: Depth=2
	global_load_dword v1, v[10:11], off
	global_load_dwordx2 v[22:23], v[12:13], off offset:-4
	v_add_u32_e32 v0, 0x100, v0
	v_cmp_le_i32_e64 s[6:7], s17, v0
	v_lshl_add_u64 v[10:11], v[10:11], 0, s[26:27]
	v_lshl_add_u64 v[12:13], v[12:13], 0, s[28:29]
	s_or_b64 s[36:37], s[6:7], s[36:37]
	s_waitcnt vmcnt(1)
	v_subrev_u32_e32 v18, s16, v1
	v_ashrrev_i32_e32 v19, 31, v18
	v_lshl_add_u64 v[18:19], v[18:19], 4, s[14:15]
	global_load_dwordx4 v[18:21], v[18:19], off
	s_waitcnt vmcnt(1)
	v_cndmask_b32_e64 v1, v23, -v23, s[18:19]
	v_cvt_f64_f32_e32 v[22:23], v22
	v_cvt_f64_f32_e32 v[24:25], v1
	s_waitcnt vmcnt(0)
	v_fmac_f64_e32 v[6:7], v[22:23], v[18:19]
	v_fmac_f64_e32 v[8:9], v[24:25], v[18:19]
	v_fma_f64 v[6:7], -v[24:25], v[20:21], v[6:7]
	v_fmac_f64_e32 v[8:9], v[22:23], v[20:21]
	s_andn2_b64 exec, exec, s[36:37]
	s_cbranch_execnz .LBB111_8
; %bb.9:                                ;   in Loop: Header=BB111_6 Depth=1
	s_or_b64 exec, exec, s[36:37]
.LBB111_10:                             ;   in Loop: Header=BB111_6 Depth=1
	s_or_b64 exec, exec, s[34:35]
	ds_write_b128 v14, v[6:9]
	s_waitcnt lgkmcnt(0)
	s_barrier
	ds_read_b128 v[6:9], v14 offset:4096
	ds_read_b128 v[10:13], v14 offset:8192
	;; [unrolled: 1-line block ×3, first 2 shown]
	ds_read_b128 v[22:25], v14
	s_waitcnt lgkmcnt(2)
	v_add_f64 v[0:1], v[10:11], v[6:7]
	v_add_f64 v[6:7], v[12:13], v[8:9]
	s_waitcnt lgkmcnt(1)
	v_add_f64 v[0:1], v[0:1], v[18:19]
	v_add_f64 v[8:9], v[6:7], v[20:21]
	;; [unrolled: 3-line block ×3, first 2 shown]
	ds_write_b128 v14, v[6:9]
	s_waitcnt lgkmcnt(0)
	s_barrier
	s_and_saveexec_b64 s[6:7], vcc
	s_cbranch_execz .LBB111_12
; %bb.11:                               ;   in Loop: Header=BB111_6 Depth=1
	ds_read_b128 v[6:9], v14 offset:1024
	ds_read_b128 v[10:13], v14 offset:2048
	ds_read_b128 v[18:21], v14 offset:3072
	ds_read_b128 v[22:25], v14
	s_waitcnt lgkmcnt(2)
	v_add_f64 v[0:1], v[10:11], v[6:7]
	v_add_f64 v[6:7], v[12:13], v[8:9]
	s_waitcnt lgkmcnt(1)
	v_add_f64 v[0:1], v[0:1], v[18:19]
	v_add_f64 v[8:9], v[6:7], v[20:21]
	s_waitcnt lgkmcnt(0)
	v_add_f64 v[6:7], v[0:1], v[22:23]
	v_add_f64 v[8:9], v[8:9], v[24:25]
	ds_write_b128 v14, v[6:9]
.LBB111_12:                             ;   in Loop: Header=BB111_6 Depth=1
	s_or_b64 exec, exec, s[6:7]
	s_waitcnt lgkmcnt(0)
	s_barrier
	s_and_saveexec_b64 s[6:7], s[0:1]
	s_cbranch_execz .LBB111_14
; %bb.13:                               ;   in Loop: Header=BB111_6 Depth=1
	ds_read_b128 v[6:9], v14 offset:256
	ds_read_b128 v[10:13], v14 offset:512
	ds_read_b128 v[18:21], v14 offset:768
	ds_read_b128 v[22:25], v14
	s_waitcnt lgkmcnt(2)
	v_add_f64 v[0:1], v[10:11], v[6:7]
	v_add_f64 v[6:7], v[12:13], v[8:9]
	s_waitcnt lgkmcnt(1)
	v_add_f64 v[0:1], v[0:1], v[18:19]
	v_add_f64 v[8:9], v[6:7], v[20:21]
	s_waitcnt lgkmcnt(0)
	v_add_f64 v[6:7], v[0:1], v[22:23]
	v_add_f64 v[8:9], v[8:9], v[24:25]
	ds_write_b128 v14, v[6:9]
.LBB111_14:                             ;   in Loop: Header=BB111_6 Depth=1
	s_or_b64 exec, exec, s[6:7]
	s_waitcnt lgkmcnt(0)
	s_barrier
	s_and_saveexec_b64 s[6:7], s[2:3]
	;; [unrolled: 21-line block ×4, first 2 shown]
	s_cbranch_execz .LBB111_5
; %bb.19:                               ;   in Loop: Header=BB111_6 Depth=1
	ds_read_b128 v[6:9], v16
	v_mov_b32_e32 v0, 0
	s_mov_b64 s[6:7], exec
	v_bfrev_b32_e32 v1, 1
	s_waitcnt lgkmcnt(0)
	v_mul_f64 v[10:11], v[8:9], -v[4:5]
	v_fmac_f64_e32 v[10:11], v[2:3], v[6:7]
.LBB111_20:                             ;   Parent Loop BB111_6 Depth=1
                                        ; =>  This Inner Loop Header: Depth=2
	s_ff1_i32_b64 s17, s[6:7]
	s_lshl_b64 s[38:39], 1, s17
	v_readlane_b32 s37, v11, s17
	v_readlane_b32 s36, v10, s17
	s_andn2_b64 s[6:7], s[6:7], s[38:39]
	s_cmp_lg_u64 s[6:7], 0
	v_add_f64 v[0:1], v[0:1], s[36:37]
	s_cbranch_scc1 .LBB111_20
; %bb.21:                               ;   in Loop: Header=BB111_6 Depth=1
	s_lshl_b64 s[6:7], s[30:31], 4
	v_mbcnt_lo_u32_b32 v10, exec_lo, 0
	s_add_u32 s36, s22, s6
	v_mbcnt_hi_u32_b32 v10, exec_hi, v10
	s_addc_u32 s37, s23, s7
	v_cmp_eq_u32_e64 s[6:7], 0, v10
	s_and_saveexec_b64 s[38:39], s[6:7]
	s_xor_b64 s[6:7], exec, s[38:39]
	s_cbranch_execz .LBB111_23
; %bb.22:                               ;   in Loop: Header=BB111_6 Depth=1
	global_atomic_add_f64 v16, v[0:1], s[36:37]
.LBB111_23:                             ;   in Loop: Header=BB111_6 Depth=1
	s_or_b64 exec, exec, s[6:7]
	v_mul_f64 v[8:9], v[2:3], v[8:9]
	v_mov_b32_e32 v0, 0
	s_mov_b64 s[6:7], exec
	v_fmac_f64_e32 v[8:9], v[4:5], v[6:7]
	v_bfrev_b32_e32 v1, 1
.LBB111_24:                             ;   Parent Loop BB111_6 Depth=1
                                        ; =>  This Inner Loop Header: Depth=2
	s_ff1_i32_b64 s17, s[6:7]
	s_lshl_b64 s[40:41], 1, s17
	v_readlane_b32 s39, v9, s17
	v_readlane_b32 s38, v8, s17
	s_andn2_b64 s[6:7], s[6:7], s[40:41]
	s_cmp_lg_u64 s[6:7], 0
	v_add_f64 v[0:1], v[0:1], s[38:39]
	s_cbranch_scc1 .LBB111_24
; %bb.25:                               ;   in Loop: Header=BB111_6 Depth=1
	v_mbcnt_lo_u32_b32 v6, exec_lo, 0
	v_mbcnt_hi_u32_b32 v6, exec_hi, v6
	v_cmp_eq_u32_e64 s[6:7], 0, v6
	s_and_saveexec_b64 s[38:39], s[6:7]
	s_xor_b64 s[38:39], exec, s[38:39]
	s_cbranch_execz .LBB111_5
; %bb.26:                               ;   in Loop: Header=BB111_6 Depth=1
	global_atomic_add_f64 v16, v[0:1], s[36:37] offset:8
	s_branch .LBB111_5
.LBB111_27:
	s_ashr_i32 s1, s20, 31
	s_mov_b32 s0, s20
	s_lshl_b64 s[0:1], s[0:1], 2
	s_add_u32 s0, s8, s0
	s_addc_u32 s1, s9, s1
	s_ashr_i32 s3, s21, 31
	s_mov_b32 s2, s21
	s_lshl_b64 s[2:3], s[2:3], 2
	s_add_u32 s2, s8, s2
	s_addc_u32 s3, s9, s3
	s_load_dword s4, s[2:3], 0x0
	s_load_dword s5, s[0:1], 0x0
	s_waitcnt lgkmcnt(0)
	s_sub_i32 s17, s4, s16
	v_add_u32_e32 v0, s5, v15
	v_cmp_gt_i32_e32 vcc, s17, v0
	s_and_b64 exec, exec, vcc
	s_cbranch_execz .LBB111_36
; %bb.28:
	s_add_i32 s24, s21, -1
	s_cmp_lt_i32 s20, s24
	s_cselect_b64 s[0:1], -1, 0
	s_add_i32 s2, s21, -2
	s_cmp_lg_u32 s20, s2
	s_cselect_b64 s[2:3], -1, 0
	s_and_b64 s[0:1], s[0:1], s[2:3]
	v_cndmask_b32_e64 v1, 0, 1, s[0:1]
	s_mov_b64 s[4:5], 0
	v_cmp_ne_u32_e64 s[0:1], 1, v1
	s_branch .LBB111_30
.LBB111_29:                             ;   in Loop: Header=BB111_30 Depth=1
	s_or_b64 exec, exec, s[2:3]
	v_add_u32_e32 v0, 0x100, v0
	v_cmp_le_i32_e32 vcc, s17, v0
	s_or_b64 s[4:5], vcc, s[4:5]
	s_andn2_b64 exec, exec, s[4:5]
	s_cbranch_execz .LBB111_36
.LBB111_30:                             ; =>This Loop Header: Depth=1
                                        ;     Child Loop BB111_32 Depth 2
	s_and_b64 vcc, exec, s[0:1]
	v_mov_b32_e32 v8, s20
	v_mov_b32_e32 v6, s24
	s_cbranch_vccnz .LBB111_34
; %bb.31:                               ;   in Loop: Header=BB111_30 Depth=1
	s_mov_b64 s[6:7], 0
	v_mov_b32_e32 v8, s20
	v_mov_b32_e32 v6, s24
.LBB111_32:                             ;   Parent Loop BB111_30 Depth=1
                                        ; =>  This Inner Loop Header: Depth=2
	v_add_u32_e32 v1, v6, v8
	v_lshrrev_b32_e32 v7, 31, v1
	v_add_u32_e32 v1, v1, v7
	v_ashrrev_i32_e32 v10, 1, v1
	v_ashrrev_i32_e32 v11, 31, v10
	v_lshl_add_u64 v[12:13], v[10:11], 2, s[8:9]
	global_load_dword v1, v[12:13], off
	s_waitcnt vmcnt(0)
	v_subrev_u32_e32 v1, s16, v1
	v_cmp_lt_i32_e32 vcc, v0, v1
	s_nop 1
	v_cndmask_b32_e32 v6, v6, v10, vcc
	v_cndmask_b32_e32 v8, v10, v8, vcc
	v_add_u32_e32 v1, -1, v6
	v_cmp_ge_i32_e32 vcc, v8, v6
	v_cmp_eq_u32_e64 s[2:3], v8, v1
	s_or_b64 s[2:3], vcc, s[2:3]
	s_and_b64 s[2:3], exec, s[2:3]
	s_or_b64 s[6:7], s[2:3], s[6:7]
	s_andn2_b64 exec, exec, s[6:7]
	s_cbranch_execnz .LBB111_32
; %bb.33:                               ;   in Loop: Header=BB111_30 Depth=1
	s_or_b64 exec, exec, s[6:7]
.LBB111_34:                             ;   in Loop: Header=BB111_30 Depth=1
	v_ashrrev_i32_e32 v7, 31, v6
	v_lshl_add_u64 v[10:11], v[6:7], 2, s[8:9]
	global_load_dword v7, v[10:11], off
	v_ashrrev_i32_e32 v1, 31, v0
	v_lshl_add_u64 v[10:11], v[0:1], 2, s[10:11]
	global_load_dword v9, v[10:11], off
	s_waitcnt vmcnt(1)
	v_subrev_u32_e32 v7, s16, v7
	v_cmp_lt_i32_e32 vcc, v0, v7
	s_nop 1
	v_cndmask_b32_e32 v8, v6, v8, vcc
	s_waitcnt vmcnt(0)
	v_subrev_u32_e32 v6, s16, v9
	v_cmp_ne_u32_e32 vcc, v6, v8
	s_and_saveexec_b64 s[2:3], vcc
	s_cbranch_execz .LBB111_29
; %bb.35:                               ;   in Loop: Header=BB111_30 Depth=1
	v_lshl_add_u64 v[10:11], v[0:1], 3, s[12:13]
	global_load_dwordx2 v[12:13], v[10:11], off
	v_ashrrev_i32_e32 v9, 31, v8
	v_lshl_add_u64 v[8:9], v[8:9], 4, s[14:15]
	global_load_dwordx4 v[8:11], v[8:9], off
	v_ashrrev_i32_e32 v7, 31, v6
	v_lshl_add_u64 v[6:7], v[6:7], 4, s[22:23]
	s_waitcnt vmcnt(1)
	v_cndmask_b32_e64 v1, v13, -v13, s[18:19]
	v_cvt_f64_f32_e32 v[14:15], v1
	v_cvt_f64_f32_e32 v[12:13], v12
	v_mul_f64 v[16:17], -v[4:5], v[14:15]
	v_mul_f64 v[14:15], v[2:3], v[14:15]
	v_fmac_f64_e32 v[14:15], v[4:5], v[12:13]
	v_fmac_f64_e32 v[16:17], v[2:3], v[12:13]
	s_waitcnt vmcnt(0)
	v_mul_f64 v[12:13], v[10:11], -v[14:15]
	v_mul_f64 v[10:11], v[10:11], v[16:17]
	v_fmac_f64_e32 v[12:13], v[16:17], v[8:9]
	v_fmac_f64_e32 v[10:11], v[14:15], v[8:9]
	global_atomic_add_f64 v[6:7], v[12:13], off
	global_atomic_add_f64 v[6:7], v[10:11], off offset:8
	s_branch .LBB111_29
.LBB111_36:
	s_endpgm
	.section	.rodata,"a",@progbits
	.p2align	6, 0x0
	.amdhsa_kernel _ZL33csrmvn_symm_large_adaptive_kernelIii21rocsparse_complex_numIfES0_IdES2_S2_EvbT_PKS3_N9rocsparse24const_host_device_scalarIT4_EES5_PKT0_PKT1_PKT2_S9_PT3_21rocsparse_index_base_b
		.amdhsa_group_segment_fixed_size 16384
		.amdhsa_private_segment_fixed_size 0
		.amdhsa_kernarg_size 96
		.amdhsa_user_sgpr_count 2
		.amdhsa_user_sgpr_dispatch_ptr 0
		.amdhsa_user_sgpr_queue_ptr 0
		.amdhsa_user_sgpr_kernarg_segment_ptr 1
		.amdhsa_user_sgpr_dispatch_id 0
		.amdhsa_user_sgpr_kernarg_preload_length 0
		.amdhsa_user_sgpr_kernarg_preload_offset 0
		.amdhsa_user_sgpr_private_segment_size 0
		.amdhsa_uses_dynamic_stack 0
		.amdhsa_enable_private_segment 0
		.amdhsa_system_sgpr_workgroup_id_x 1
		.amdhsa_system_sgpr_workgroup_id_y 0
		.amdhsa_system_sgpr_workgroup_id_z 0
		.amdhsa_system_sgpr_workgroup_info 0
		.amdhsa_system_vgpr_workitem_id 0
		.amdhsa_next_free_vgpr 26
		.amdhsa_next_free_sgpr 42
		.amdhsa_accum_offset 28
		.amdhsa_reserve_vcc 1
		.amdhsa_float_round_mode_32 0
		.amdhsa_float_round_mode_16_64 0
		.amdhsa_float_denorm_mode_32 3
		.amdhsa_float_denorm_mode_16_64 3
		.amdhsa_dx10_clamp 1
		.amdhsa_ieee_mode 1
		.amdhsa_fp16_overflow 0
		.amdhsa_tg_split 0
		.amdhsa_exception_fp_ieee_invalid_op 0
		.amdhsa_exception_fp_denorm_src 0
		.amdhsa_exception_fp_ieee_div_zero 0
		.amdhsa_exception_fp_ieee_overflow 0
		.amdhsa_exception_fp_ieee_underflow 0
		.amdhsa_exception_fp_ieee_inexact 0
		.amdhsa_exception_int_div_zero 0
	.end_amdhsa_kernel
	.section	.text._ZL33csrmvn_symm_large_adaptive_kernelIii21rocsparse_complex_numIfES0_IdES2_S2_EvbT_PKS3_N9rocsparse24const_host_device_scalarIT4_EES5_PKT0_PKT1_PKT2_S9_PT3_21rocsparse_index_base_b,"axG",@progbits,_ZL33csrmvn_symm_large_adaptive_kernelIii21rocsparse_complex_numIfES0_IdES2_S2_EvbT_PKS3_N9rocsparse24const_host_device_scalarIT4_EES5_PKT0_PKT1_PKT2_S9_PT3_21rocsparse_index_base_b,comdat
.Lfunc_end111:
	.size	_ZL33csrmvn_symm_large_adaptive_kernelIii21rocsparse_complex_numIfES0_IdES2_S2_EvbT_PKS3_N9rocsparse24const_host_device_scalarIT4_EES5_PKT0_PKT1_PKT2_S9_PT3_21rocsparse_index_base_b, .Lfunc_end111-_ZL33csrmvn_symm_large_adaptive_kernelIii21rocsparse_complex_numIfES0_IdES2_S2_EvbT_PKS3_N9rocsparse24const_host_device_scalarIT4_EES5_PKT0_PKT1_PKT2_S9_PT3_21rocsparse_index_base_b
                                        ; -- End function
	.set _ZL33csrmvn_symm_large_adaptive_kernelIii21rocsparse_complex_numIfES0_IdES2_S2_EvbT_PKS3_N9rocsparse24const_host_device_scalarIT4_EES5_PKT0_PKT1_PKT2_S9_PT3_21rocsparse_index_base_b.num_vgpr, 26
	.set _ZL33csrmvn_symm_large_adaptive_kernelIii21rocsparse_complex_numIfES0_IdES2_S2_EvbT_PKS3_N9rocsparse24const_host_device_scalarIT4_EES5_PKT0_PKT1_PKT2_S9_PT3_21rocsparse_index_base_b.num_agpr, 0
	.set _ZL33csrmvn_symm_large_adaptive_kernelIii21rocsparse_complex_numIfES0_IdES2_S2_EvbT_PKS3_N9rocsparse24const_host_device_scalarIT4_EES5_PKT0_PKT1_PKT2_S9_PT3_21rocsparse_index_base_b.numbered_sgpr, 42
	.set _ZL33csrmvn_symm_large_adaptive_kernelIii21rocsparse_complex_numIfES0_IdES2_S2_EvbT_PKS3_N9rocsparse24const_host_device_scalarIT4_EES5_PKT0_PKT1_PKT2_S9_PT3_21rocsparse_index_base_b.num_named_barrier, 0
	.set _ZL33csrmvn_symm_large_adaptive_kernelIii21rocsparse_complex_numIfES0_IdES2_S2_EvbT_PKS3_N9rocsparse24const_host_device_scalarIT4_EES5_PKT0_PKT1_PKT2_S9_PT3_21rocsparse_index_base_b.private_seg_size, 0
	.set _ZL33csrmvn_symm_large_adaptive_kernelIii21rocsparse_complex_numIfES0_IdES2_S2_EvbT_PKS3_N9rocsparse24const_host_device_scalarIT4_EES5_PKT0_PKT1_PKT2_S9_PT3_21rocsparse_index_base_b.uses_vcc, 1
	.set _ZL33csrmvn_symm_large_adaptive_kernelIii21rocsparse_complex_numIfES0_IdES2_S2_EvbT_PKS3_N9rocsparse24const_host_device_scalarIT4_EES5_PKT0_PKT1_PKT2_S9_PT3_21rocsparse_index_base_b.uses_flat_scratch, 0
	.set _ZL33csrmvn_symm_large_adaptive_kernelIii21rocsparse_complex_numIfES0_IdES2_S2_EvbT_PKS3_N9rocsparse24const_host_device_scalarIT4_EES5_PKT0_PKT1_PKT2_S9_PT3_21rocsparse_index_base_b.has_dyn_sized_stack, 0
	.set _ZL33csrmvn_symm_large_adaptive_kernelIii21rocsparse_complex_numIfES0_IdES2_S2_EvbT_PKS3_N9rocsparse24const_host_device_scalarIT4_EES5_PKT0_PKT1_PKT2_S9_PT3_21rocsparse_index_base_b.has_recursion, 0
	.set _ZL33csrmvn_symm_large_adaptive_kernelIii21rocsparse_complex_numIfES0_IdES2_S2_EvbT_PKS3_N9rocsparse24const_host_device_scalarIT4_EES5_PKT0_PKT1_PKT2_S9_PT3_21rocsparse_index_base_b.has_indirect_call, 0
	.section	.AMDGPU.csdata,"",@progbits
; Kernel info:
; codeLenInByte = 2024
; TotalNumSgprs: 48
; NumVgprs: 26
; NumAgprs: 0
; TotalNumVgprs: 26
; ScratchSize: 0
; MemoryBound: 0
; FloatMode: 240
; IeeeMode: 1
; LDSByteSize: 16384 bytes/workgroup (compile time only)
; SGPRBlocks: 5
; VGPRBlocks: 3
; NumSGPRsForWavesPerEU: 48
; NumVGPRsForWavesPerEU: 26
; AccumOffset: 28
; Occupancy: 8
; WaveLimiterHint : 1
; COMPUTE_PGM_RSRC2:SCRATCH_EN: 0
; COMPUTE_PGM_RSRC2:USER_SGPR: 2
; COMPUTE_PGM_RSRC2:TRAP_HANDLER: 0
; COMPUTE_PGM_RSRC2:TGID_X_EN: 1
; COMPUTE_PGM_RSRC2:TGID_Y_EN: 0
; COMPUTE_PGM_RSRC2:TGID_Z_EN: 0
; COMPUTE_PGM_RSRC2:TIDIG_COMP_CNT: 0
; COMPUTE_PGM_RSRC3_GFX90A:ACCUM_OFFSET: 6
; COMPUTE_PGM_RSRC3_GFX90A:TG_SPLIT: 0
	.section	.text._ZN9rocsparseL22csrmvn_adaptive_kernelIli21rocsparse_complex_numIfES1_IdES3_S3_EEvbT_PKS4_PjPKT0_NS_24const_host_device_scalarIT4_EES6_SA_PKT1_PKT2_SD_PT3_21rocsparse_index_base_b,"axG",@progbits,_ZN9rocsparseL22csrmvn_adaptive_kernelIli21rocsparse_complex_numIfES1_IdES3_S3_EEvbT_PKS4_PjPKT0_NS_24const_host_device_scalarIT4_EES6_SA_PKT1_PKT2_SD_PT3_21rocsparse_index_base_b,comdat
	.globl	_ZN9rocsparseL22csrmvn_adaptive_kernelIli21rocsparse_complex_numIfES1_IdES3_S3_EEvbT_PKS4_PjPKT0_NS_24const_host_device_scalarIT4_EES6_SA_PKT1_PKT2_SD_PT3_21rocsparse_index_base_b ; -- Begin function _ZN9rocsparseL22csrmvn_adaptive_kernelIli21rocsparse_complex_numIfES1_IdES3_S3_EEvbT_PKS4_PjPKT0_NS_24const_host_device_scalarIT4_EES6_SA_PKT1_PKT2_SD_PT3_21rocsparse_index_base_b
	.p2align	8
	.type	_ZN9rocsparseL22csrmvn_adaptive_kernelIli21rocsparse_complex_numIfES1_IdES3_S3_EEvbT_PKS4_PjPKT0_NS_24const_host_device_scalarIT4_EES6_SA_PKT1_PKT2_SD_PT3_21rocsparse_index_base_b,@function
_ZN9rocsparseL22csrmvn_adaptive_kernelIli21rocsparse_complex_numIfES1_IdES3_S3_EEvbT_PKS4_PjPKT0_NS_24const_host_device_scalarIT4_EES6_SA_PKT1_PKT2_SD_PT3_21rocsparse_index_base_b: ; @_ZN9rocsparseL22csrmvn_adaptive_kernelIli21rocsparse_complex_numIfES1_IdES3_S3_EEvbT_PKS4_PjPKT0_NS_24const_host_device_scalarIT4_EES6_SA_PKT1_PKT2_SD_PT3_21rocsparse_index_base_b
; %bb.0:
	s_load_dwordx2 s[4:5], s[0:1], 0x28
	s_load_dwordx2 s[42:43], s[0:1], 0x70
	s_add_u32 s3, s0, 40
	s_addc_u32 s8, s1, 0
	s_add_u32 s9, s0, 0x58
	s_load_dwordx2 s[6:7], s[0:1], 0x58
	s_addc_u32 s10, s1, 0
	s_waitcnt lgkmcnt(0)
	s_bitcmp1_b32 s43, 0
	s_cselect_b32 s5, s8, s5
	s_cselect_b32 s3, s3, s4
	v_mov_b32_e32 v2, s3
	v_mov_b32_e32 v3, s5
	flat_load_dwordx4 v[6:9], v[2:3]
	s_cselect_b32 s3, s10, s7
	s_cselect_b32 s4, s9, s6
	v_mov_b32_e32 v2, s4
	v_mov_b32_e32 v3, s3
	flat_load_dwordx4 v[2:5], v[2:3]
	s_waitcnt vmcnt(0) lgkmcnt(0)
	v_cmp_eq_f64_e32 vcc, 0, v[6:7]
	v_cmp_eq_f64_e64 s[4:5], 0, v[8:9]
	s_and_b64 s[8:9], vcc, s[4:5]
	s_mov_b64 s[4:5], -1
	s_and_saveexec_b64 s[6:7], s[8:9]
; %bb.1:
	v_cmp_neq_f64_e32 vcc, 1.0, v[2:3]
	v_cmp_neq_f64_e64 s[4:5], 0, v[4:5]
	s_or_b64 s[4:5], vcc, s[4:5]
	s_orn2_b64 s[4:5], s[4:5], exec
; %bb.2:
	s_or_b64 exec, exec, s[6:7]
	s_and_saveexec_b64 s[6:7], s[4:5]
	s_cbranch_execz .LBB112_115
; %bb.3:
	s_load_dwordx2 s[4:5], s[0:1], 0x20
	s_load_dword s3, s[0:1], 0x0
	s_load_dwordx2 s[6:7], s[0:1], 0x10
	s_waitcnt lgkmcnt(0)
	s_bitcmp1_b32 s3, 0
	s_cselect_b64 s[44:45], -1, 0
	s_ashr_i32 s3, s2, 31
	s_lshl_b64 s[8:9], s[2:3], 3
	s_add_u32 s6, s6, s8
	s_addc_u32 s7, s7, s9
	s_load_dwordx4 s[36:39], s[6:7], 0x0
	s_load_dwordx2 s[22:23], s[0:1], 0x68
	s_load_dwordx8 s[24:31], s[0:1], 0x38
	s_lshl_b64 s[46:47], s[2:3], 2
	s_waitcnt lgkmcnt(0)
	s_sub_i32 s3, s38, s36
	s_add_u32 s4, s4, s46
	s_addc_u32 s5, s5, s47
	s_lshl_b64 s[6:7], s[36:37], 3
	s_add_u32 s40, s24, s6
	s_addc_u32 s41, s25, s7
	s_load_dword s33, s[4:5], 0x0
	s_load_dwordx2 s[34:35], s[40:41], 0x0
	s_cmp_lt_i32 s3, 2
	s_mov_b64 s[4:5], -1
	s_cbranch_scc0 .LBB112_71
; %bb.4:
	s_cmp_lg_u32 s3, 1
	s_cselect_b64 s[4:5], -1, 0
	s_waitcnt lgkmcnt(0)
	s_cmp_lg_u32 s33, 0
	s_cselect_b64 s[6:7], -1, 0
	s_or_b64 s[6:7], s[4:5], s[6:7]
	s_mov_b64 s[4:5], -1
	s_and_b64 vcc, exec, s[6:7]
	s_cbranch_vccnz .LBB112_33
; %bb.5:
	v_mov_b64_e32 v[10:11], s[36:37]
	v_cmp_le_i64_e32 vcc, s[38:39], v[10:11]
	s_cbranch_vccnz .LBB112_32
; %bb.6:
	v_subrev_co_u32_e32 v14, vcc, s42, v0
	v_cmp_neq_f64_e64 s[20:21], 0, v[4:5]
	s_nop 0
	v_subb_co_u32_e64 v15, s[4:5], 0, 0, vcc
	v_cmp_neq_f64_e32 vcc, 0, v[2:3]
	s_or_b64 s[20:21], vcc, s[20:21]
	s_movk_i32 s3, 0x80
	s_add_u32 s48, s28, 4
	v_mov_b32_e32 v1, 0
	v_lshlrev_b32_e32 v24, 4, v0
	v_cmp_gt_u32_e64 s[4:5], s3, v0
	v_cmp_gt_u32_e64 s[6:7], 64, v0
	;; [unrolled: 1-line block ×7, first 2 shown]
	v_cmp_eq_u32_e64 s[18:19], 0, v0
	s_addc_u32 s49, s29, 0
	s_mov_b64 s[50:51], 0x100
	s_mov_b64 s[52:53], 0x800
	;; [unrolled: 1-line block ×3, first 2 shown]
	v_mov_b64_e32 v[16:17], s[38:39]
	s_mov_b64 s[56:57], s[36:37]
	s_branch .LBB112_9
.LBB112_7:                              ;   in Loop: Header=BB112_9 Depth=1
	s_or_b64 exec, exec, s[60:61]
	s_lshl_b64 s[60:61], s[56:57], 4
	s_add_u32 s60, s22, s60
	s_addc_u32 s61, s23, s61
	s_waitcnt lgkmcnt(0)
	global_store_dwordx4 v1, v[10:13], s[60:61]
.LBB112_8:                              ;   in Loop: Header=BB112_9 Depth=1
	s_or_b64 exec, exec, s[58:59]
	s_add_u32 s56, s56, 1
	s_addc_u32 s57, s57, 0
	v_cmp_ge_i64_e32 vcc, s[56:57], v[16:17]
	s_cbranch_vccnz .LBB112_32
.LBB112_9:                              ; =>This Loop Header: Depth=1
                                        ;     Child Loop BB112_11 Depth 2
	s_lshl_b64 s[58:59], s[56:57], 3
	s_add_u32 s58, s24, s58
	s_addc_u32 s59, s25, s59
	s_load_dwordx4 s[64:67], s[58:59], 0x0
	v_mov_b64_e32 v[12:13], 0
	v_mov_b64_e32 v[10:11], 0
	s_waitcnt lgkmcnt(0)
	s_sub_u32 s60, s66, s42
	v_lshl_add_u64 v[18:19], s[64:65], 0, v[14:15]
	s_subb_u32 s61, s67, 0
	v_cmp_gt_i64_e32 vcc, s[60:61], v[18:19]
	s_and_saveexec_b64 s[58:59], vcc
	s_cbranch_execz .LBB112_13
; %bb.10:                               ;   in Loop: Header=BB112_9 Depth=1
	v_mov_b64_e32 v[12:13], 0
	v_lshl_add_u64 v[20:21], v[18:19], 3, s[48:49]
	v_lshl_add_u64 v[22:23], v[18:19], 2, s[26:27]
	s_mov_b64 s[62:63], 0
	v_mov_b64_e32 v[10:11], v[12:13]
.LBB112_11:                             ;   Parent Loop BB112_9 Depth=1
                                        ; =>  This Inner Loop Header: Depth=2
	global_load_dword v25, v[22:23], off
	global_load_dwordx2 v[30:31], v[20:21], off offset:-4
	v_lshl_add_u64 v[18:19], v[18:19], 0, s[50:51]
	v_cmp_le_i64_e32 vcc, s[60:61], v[18:19]
	v_lshl_add_u64 v[20:21], v[20:21], 0, s[52:53]
	v_lshl_add_u64 v[22:23], v[22:23], 0, s[54:55]
	s_or_b64 s[62:63], vcc, s[62:63]
	s_waitcnt vmcnt(1)
	v_subrev_u32_e32 v26, s42, v25
	v_ashrrev_i32_e32 v27, 31, v26
	v_lshl_add_u64 v[26:27], v[26:27], 4, s[30:31]
	global_load_dwordx4 v[26:29], v[26:27], off
	s_waitcnt vmcnt(1)
	v_cndmask_b32_e64 v25, v31, -v31, s[44:45]
	v_cvt_f64_f32_e32 v[32:33], v25
	v_cvt_f64_f32_e32 v[30:31], v30
	v_mul_f64 v[34:35], -v[8:9], v[32:33]
	v_mul_f64 v[32:33], v[6:7], v[32:33]
	v_fmac_f64_e32 v[34:35], v[6:7], v[30:31]
	v_fmac_f64_e32 v[32:33], v[8:9], v[30:31]
	s_waitcnt vmcnt(0)
	v_fmac_f64_e32 v[10:11], v[34:35], v[26:27]
	v_fmac_f64_e32 v[12:13], v[32:33], v[26:27]
	v_fma_f64 v[10:11], -v[32:33], v[28:29], v[10:11]
	v_fmac_f64_e32 v[12:13], v[34:35], v[28:29]
	s_andn2_b64 exec, exec, s[62:63]
	s_cbranch_execnz .LBB112_11
; %bb.12:                               ;   in Loop: Header=BB112_9 Depth=1
	s_or_b64 exec, exec, s[62:63]
.LBB112_13:                             ;   in Loop: Header=BB112_9 Depth=1
	s_or_b64 exec, exec, s[58:59]
	ds_write_b128 v24, v[10:13]
	s_waitcnt lgkmcnt(0)
	s_barrier
	s_and_saveexec_b64 s[58:59], s[4:5]
	s_cbranch_execz .LBB112_15
; %bb.14:                               ;   in Loop: Header=BB112_9 Depth=1
	ds_read_b128 v[10:13], v24 offset:2048
	ds_read_b128 v[18:21], v24
	s_waitcnt lgkmcnt(0)
	v_add_f64 v[10:11], v[10:11], v[18:19]
	v_add_f64 v[12:13], v[12:13], v[20:21]
	ds_write_b128 v24, v[10:13]
.LBB112_15:                             ;   in Loop: Header=BB112_9 Depth=1
	s_or_b64 exec, exec, s[58:59]
	s_waitcnt lgkmcnt(0)
	s_barrier
	s_and_saveexec_b64 s[58:59], s[6:7]
	s_cbranch_execz .LBB112_17
; %bb.16:                               ;   in Loop: Header=BB112_9 Depth=1
	ds_read_b128 v[10:13], v24 offset:1024
	ds_read_b128 v[18:21], v24
	s_waitcnt lgkmcnt(0)
	v_add_f64 v[10:11], v[10:11], v[18:19]
	v_add_f64 v[12:13], v[12:13], v[20:21]
	ds_write_b128 v24, v[10:13]
.LBB112_17:                             ;   in Loop: Header=BB112_9 Depth=1
	s_or_b64 exec, exec, s[58:59]
	;; [unrolled: 13-line block ×6, first 2 shown]
	s_waitcnt lgkmcnt(0)
	s_barrier
	s_and_saveexec_b64 s[58:59], s[16:17]
	s_cbranch_execz .LBB112_27
; %bb.26:                               ;   in Loop: Header=BB112_9 Depth=1
	ds_read_b128 v[10:13], v24
	ds_read_b128 v[18:21], v24 offset:32
	s_waitcnt lgkmcnt(0)
	v_add_f64 v[10:11], v[18:19], v[10:11]
	v_add_f64 v[12:13], v[20:21], v[12:13]
	ds_write_b128 v24, v[10:13]
.LBB112_27:                             ;   in Loop: Header=BB112_9 Depth=1
	s_or_b64 exec, exec, s[58:59]
	s_waitcnt lgkmcnt(0)
	s_barrier
	s_and_saveexec_b64 s[58:59], s[18:19]
	s_cbranch_execz .LBB112_29
; %bb.28:                               ;   in Loop: Header=BB112_9 Depth=1
	ds_read_b128 v[10:13], v1
	ds_read_b128 v[18:21], v1 offset:16
	s_waitcnt lgkmcnt(0)
	v_add_f64 v[10:11], v[18:19], v[10:11]
	v_add_f64 v[12:13], v[20:21], v[12:13]
	ds_write_b128 v1, v[10:13]
.LBB112_29:                             ;   in Loop: Header=BB112_9 Depth=1
	s_or_b64 exec, exec, s[58:59]
	s_waitcnt lgkmcnt(0)
	s_barrier
	s_and_saveexec_b64 s[58:59], s[18:19]
	s_cbranch_execz .LBB112_8
; %bb.30:                               ;   in Loop: Header=BB112_9 Depth=1
	ds_read_b128 v[10:13], v1
	s_and_saveexec_b64 s[60:61], s[20:21]
	s_cbranch_execz .LBB112_7
; %bb.31:                               ;   in Loop: Header=BB112_9 Depth=1
	s_lshl_b64 s[62:63], s[56:57], 4
	s_add_u32 s62, s22, s62
	s_addc_u32 s63, s23, s63
	global_load_dwordx4 v[18:21], v1, s[62:63]
	s_waitcnt vmcnt(0) lgkmcnt(0)
	v_fmac_f64_e32 v[10:11], v[2:3], v[18:19]
	v_fmac_f64_e32 v[12:13], v[4:5], v[18:19]
	v_fma_f64 v[10:11], -v[4:5], v[20:21], v[10:11]
	v_fmac_f64_e32 v[12:13], v[2:3], v[20:21]
	s_branch .LBB112_7
.LBB112_32:
	s_mov_b64 s[4:5], 0
.LBB112_33:
	s_andn2_b64 vcc, exec, s[4:5]
	s_cbranch_vccnz .LBB112_70
; %bb.34:
	s_load_dwordx2 s[4:5], s[0:1], 0x18
	s_sub_i32 s6, s2, s33
	v_mov_b32_e32 v1, 0
	v_or_b32_e32 v10, s33, v0
	v_cmp_eq_u32_e32 vcc, 0, v10
	s_waitcnt lgkmcnt(0)
	s_add_u32 s2, s4, s46
	s_addc_u32 s3, s5, s47
	global_load_dword v20, v1, s[2:3]
	v_mov_b64_e32 v[10:11], 0
	v_mov_b64_e32 v[12:13], 0
	s_and_saveexec_b64 s[8:9], vcc
	s_cbranch_execz .LBB112_38
; %bb.35:
	s_lshl_b64 s[12:13], s[36:37], 4
	s_add_u32 s12, s22, s12
	s_addc_u32 s13, s23, s13
	global_load_dwordx4 v[14:17], v1, s[12:13]
	s_mov_b64 s[10:11], exec
	v_mbcnt_lo_u32_b32 v10, s10, 0
	v_add_f64 v[18:19], v[2:3], -1.0
	v_mbcnt_hi_u32_b32 v21, s11, v10
	v_cmp_eq_u32_e32 vcc, 0, v21
	s_waitcnt vmcnt(0) expcnt(0) lgkmcnt(0)
	v_mul_f64 v[10:11], v[16:17], -v[4:5]
	v_mul_f64 v[12:13], v[18:19], v[16:17]
	s_and_saveexec_b64 s[12:13], vcc
	s_cbranch_execz .LBB112_37
; %bb.36:
	s_ashr_i32 s7, s6, 31
	s_lshl_b64 s[14:15], s[6:7], 2
	s_add_u32 s14, s4, s14
	s_addc_u32 s15, s5, s15
	s_bcnt1_i32_b64 s7, s[10:11]
	s_and_b32 s7, s7, 1
	v_mov_b32_e32 v16, 0
	v_mov_b32_e32 v17, s7
	global_atomic_xor v16, v17, s[14:15]
.LBB112_37:
	s_or_b64 exec, exec, s[12:13]
	v_fmac_f64_e32 v[10:11], v[18:19], v[14:15]
	v_fmac_f64_e32 v[12:13], v[4:5], v[14:15]
.LBB112_38:
	s_or_b64 exec, exec, s[8:9]
	s_load_dwordx2 s[8:9], s[40:41], 0x8
	s_sub_u32 s11, s34, s42
	s_mul_i32 s10, s33, 0xc00
	s_subb_u32 s13, s35, 0
	s_mul_hi_i32 s7, s33, 0xc00
	s_add_u32 s12, s11, s10
	s_addc_u32 s13, s13, s7
	s_waitcnt lgkmcnt(0)
	s_sub_u32 s10, s8, s42
	s_subb_u32 s11, s9, 0
	v_lshl_add_u64 v[14:15], s[12:13], 0, v[0:1]
	v_cmp_gt_i64_e32 vcc, s[10:11], v[14:15]
	s_and_saveexec_b64 s[8:9], vcc
	s_cbranch_execz .LBB112_42
; %bb.39:
	s_add_u32 s12, s12, 0xc00
	s_addc_u32 s13, s13, 0
	v_mov_b64_e32 v[16:17], s[10:11]
	v_cmp_lt_i64_e32 vcc, s[12:13], v[16:17]
	s_and_b64 s[14:15], vcc, exec
	v_lshl_add_u64 v[16:17], v[14:15], 3, s[28:29]
	s_cselect_b32 s11, s13, s11
	s_cselect_b32 s10, s12, s10
	v_lshl_add_u64 v[16:17], v[16:17], 0, 4
	v_lshl_add_u64 v[18:19], v[14:15], 2, s[26:27]
	s_mov_b64 s[12:13], 0
	s_mov_b64 s[14:15], 0x100
	;; [unrolled: 1-line block ×4, first 2 shown]
.LBB112_40:                             ; =>This Inner Loop Header: Depth=1
	global_load_dword v1, v[18:19], off
	global_load_dwordx2 v[26:27], v[16:17], off offset:-4
	v_lshl_add_u64 v[14:15], v[14:15], 0, s[14:15]
	v_cmp_le_i64_e32 vcc, s[10:11], v[14:15]
	v_lshl_add_u64 v[16:17], v[16:17], 0, s[16:17]
	v_lshl_add_u64 v[18:19], v[18:19], 0, s[18:19]
	s_or_b64 s[12:13], vcc, s[12:13]
	s_waitcnt vmcnt(1)
	v_subrev_u32_e32 v22, s42, v1
	v_ashrrev_i32_e32 v23, 31, v22
	v_lshl_add_u64 v[22:23], v[22:23], 4, s[30:31]
	global_load_dwordx4 v[22:25], v[22:23], off
	s_waitcnt vmcnt(1)
	v_cndmask_b32_e64 v1, v27, -v27, s[44:45]
	v_cvt_f64_f32_e32 v[28:29], v1
	v_cvt_f64_f32_e32 v[26:27], v26
	v_mul_f64 v[30:31], -v[8:9], v[28:29]
	v_mul_f64 v[28:29], v[6:7], v[28:29]
	v_fmac_f64_e32 v[30:31], v[6:7], v[26:27]
	v_fmac_f64_e32 v[28:29], v[8:9], v[26:27]
	s_waitcnt vmcnt(0)
	v_fmac_f64_e32 v[10:11], v[30:31], v[22:23]
	v_fmac_f64_e32 v[12:13], v[28:29], v[22:23]
	v_fma_f64 v[10:11], -v[28:29], v[24:25], v[10:11]
	v_fmac_f64_e32 v[12:13], v[30:31], v[24:25]
	s_andn2_b64 exec, exec, s[12:13]
	s_cbranch_execnz .LBB112_40
; %bb.41:
	s_or_b64 exec, exec, s[12:13]
.LBB112_42:
	s_or_b64 exec, exec, s[8:9]
	s_movk_i32 s7, 0x80
	v_lshlrev_b32_e32 v1, 4, v0
	v_cmp_gt_u32_e32 vcc, s7, v0
	ds_write_b128 v1, v[10:13]
	s_waitcnt lgkmcnt(0)
	s_barrier
	s_and_saveexec_b64 s[8:9], vcc
	s_cbranch_execz .LBB112_44
; %bb.43:
	ds_read_b128 v[10:13], v1 offset:2048
	ds_read_b128 v[14:17], v1
	s_waitcnt lgkmcnt(0)
	v_add_f64 v[10:11], v[10:11], v[14:15]
	v_add_f64 v[12:13], v[12:13], v[16:17]
	ds_write_b128 v1, v[10:13]
.LBB112_44:
	s_or_b64 exec, exec, s[8:9]
	v_cmp_gt_u32_e32 vcc, 64, v0
	s_waitcnt lgkmcnt(0)
	s_barrier
	s_and_saveexec_b64 s[8:9], vcc
	s_cbranch_execz .LBB112_46
; %bb.45:
	ds_read_b128 v[10:13], v1 offset:1024
	ds_read_b128 v[14:17], v1
	s_waitcnt lgkmcnt(0)
	v_add_f64 v[10:11], v[10:11], v[14:15]
	v_add_f64 v[12:13], v[12:13], v[16:17]
	ds_write_b128 v1, v[10:13]
.LBB112_46:
	s_or_b64 exec, exec, s[8:9]
	v_cmp_gt_u32_e32 vcc, 32, v0
	;; [unrolled: 14-line block ×6, first 2 shown]
	s_waitcnt lgkmcnt(0)
	s_barrier
	s_and_saveexec_b64 s[8:9], vcc
	s_cbranch_execz .LBB112_56
; %bb.55:
	ds_read_b128 v[10:13], v1
	ds_read_b128 v[14:17], v1 offset:32
	s_waitcnt lgkmcnt(0)
	v_add_f64 v[10:11], v[14:15], v[10:11]
	v_add_f64 v[12:13], v[16:17], v[12:13]
	ds_write_b128 v1, v[10:13]
.LBB112_56:
	s_or_b64 exec, exec, s[8:9]
	v_cmp_eq_u32_e32 vcc, 0, v0
	s_waitcnt lgkmcnt(0)
	s_barrier
	s_and_saveexec_b64 s[8:9], vcc
	s_cbranch_execz .LBB112_58
; %bb.57:
	v_mov_b32_e32 v1, 0
	ds_read_b128 v[10:13], v1
	ds_read_b128 v[14:17], v1 offset:16
	s_waitcnt lgkmcnt(0)
	v_add_f64 v[10:11], v[14:15], v[10:11]
	v_add_f64 v[12:13], v[16:17], v[12:13]
	ds_write_b128 v1, v[10:13]
.LBB112_58:
	s_or_b64 exec, exec, s[8:9]
	s_waitcnt lgkmcnt(0)
	s_barrier
	s_and_saveexec_b64 s[8:9], vcc
	s_cbranch_execz .LBB112_69
; %bb.59:
	s_cmp_eq_u32 s33, 0
	s_cbranch_scc1 .LBB112_65
; %bb.60:
	s_ashr_i32 s7, s6, 31
	s_lshl_b64 s[6:7], s[6:7], 2
	s_add_u32 s4, s4, s6
	s_addc_u32 s5, s5, s7
	v_mov_b32_e32 v1, 0
	s_branch .LBB112_62
.LBB112_61:                             ;   in Loop: Header=BB112_62 Depth=1
	s_or_b64 exec, exec, s[6:7]
	s_waitcnt vmcnt(0)
	v_readfirstlane_b32 s6, v10
	s_nop 1
	v_cmp_eq_u32_e32 vcc, s6, v20
	s_cbranch_vccz .LBB112_64
.LBB112_62:                             ; =>This Inner Loop Header: Depth=1
	v_mbcnt_lo_u32_b32 v10, exec_lo, 0
	v_mbcnt_hi_u32_b32 v10, exec_hi, v10
	v_cmp_eq_u32_e32 vcc, 0, v10
                                        ; implicit-def: $vgpr10
	s_and_saveexec_b64 s[6:7], vcc
	s_cbranch_execz .LBB112_61
; %bb.63:                               ;   in Loop: Header=BB112_62 Depth=1
	global_load_dword v10, v1, s[4:5] sc1
	s_branch .LBB112_61
.LBB112_64:
	v_mov_b32_e32 v1, 0
	global_load_ushort v10, v1, s[2:3]
	s_waitcnt vmcnt(0)
	v_xor_b32_e32 v10, 1, v10
	global_store_short v1, v10, s[2:3]
.LBB112_65:
	v_mov_b32_e32 v1, 0
	ds_read_b128 v[10:13], v1
	s_mov_b64 s[4:5], exec
	s_lshl_b64 s[2:3], s[36:37], 4
	v_mbcnt_lo_u32_b32 v14, s4, 0
	s_add_u32 s2, s22, s2
	v_mbcnt_hi_u32_b32 v14, s5, v14
	s_addc_u32 s3, s23, s3
	v_cmp_eq_u32_e32 vcc, 0, v14
	s_and_saveexec_b64 s[6:7], vcc
	s_cbranch_execz .LBB112_67
; %bb.66:
	s_bcnt1_i32_b64 s4, s[4:5]
	v_cvt_f64_u32_e32 v[14:15], s4
	s_waitcnt lgkmcnt(0)
	v_mul_f64 v[10:11], v[10:11], v[14:15]
	global_atomic_add_f64 v1, v[10:11], s[2:3]
.LBB112_67:
	s_or_b64 exec, exec, s[6:7]
	s_mov_b64 s[4:5], exec
	v_mbcnt_lo_u32_b32 v1, s4, 0
	v_mbcnt_hi_u32_b32 v1, s5, v1
	v_cmp_eq_u32_e32 vcc, 0, v1
	s_and_b64 s[6:7], exec, vcc
	s_mov_b64 exec, s[6:7]
	s_cbranch_execz .LBB112_69
; %bb.68:
	s_bcnt1_i32_b64 s4, s[4:5]
	s_waitcnt lgkmcnt(0)
	v_cvt_f64_u32_e32 v[10:11], s4
	v_mul_f64 v[10:11], v[12:13], v[10:11]
	v_mov_b32_e32 v1, 0
	global_atomic_add_f64 v1, v[10:11], s[2:3] offset:8
.LBB112_69:
	s_or_b64 exec, exec, s[8:9]
.LBB112_70:
	s_mov_b64 s[4:5], 0
.LBB112_71:
	s_andn2_b64 vcc, exec, s[4:5]
	s_cbranch_vccnz .LBB112_115
; %bb.72:
	s_load_dwordx2 s[0:1], s[0:1], 0x8
	s_waitcnt lgkmcnt(0)
	v_subrev_co_u32_e32 v10, vcc, s42, v0
	v_mov_b32_e32 v1, 0
	s_nop 0
	v_subb_co_u32_e64 v11, s[2:3], 0, 0, vcc
	v_lshl_add_u64 v[10:11], s[34:35], 0, v[10:11]
	s_mov_b64 s[2:3], 0x300
	v_lshl_add_u64 v[12:13], v[10:11], 0, s[2:3]
	v_cmp_le_i64_e32 vcc, s[0:1], v[12:13]
	s_and_saveexec_b64 s[0:1], vcc
	s_xor_b64 s[0:1], exec, s[0:1]
	s_cbranch_execz .LBB112_77
; %bb.73:
	s_lshl_b64 s[2:3], s[38:39], 3
	s_add_u32 s2, s24, s2
	s_addc_u32 s3, s25, s3
	s_load_dwordx2 s[2:3], s[2:3], 0x0
	s_waitcnt lgkmcnt(0)
	s_sub_u32 s2, s2, s42
	s_subb_u32 s3, s3, 0
	v_cmp_gt_i64_e32 vcc, s[2:3], v[10:11]
	s_and_saveexec_b64 s[4:5], vcc
	s_cbranch_execz .LBB112_76
; %bb.74:
	v_lshl_add_u64 v[12:13], v[10:11], 3, s[28:29]
	v_lshlrev_b32_e32 v16, 4, v0
	v_lshl_add_u64 v[12:13], v[12:13], 0, 4
	v_lshl_add_u64 v[14:15], v[10:11], 2, s[26:27]
	s_mov_b64 s[6:7], 0
	s_mov_b64 s[8:9], 0x100
	;; [unrolled: 1-line block ×4, first 2 shown]
.LBB112_75:                             ; =>This Inner Loop Header: Depth=1
	global_load_dword v17, v[14:15], off
	global_load_dwordx2 v[22:23], v[12:13], off offset:-4
	v_lshl_add_u64 v[10:11], v[10:11], 0, s[8:9]
	v_cmp_le_i64_e32 vcc, s[2:3], v[10:11]
	v_lshl_add_u64 v[12:13], v[12:13], 0, s[10:11]
	v_lshl_add_u64 v[14:15], v[14:15], 0, s[12:13]
	s_or_b64 s[6:7], vcc, s[6:7]
	s_waitcnt vmcnt(1)
	v_subrev_u32_e32 v18, s42, v17
	v_ashrrev_i32_e32 v19, 31, v18
	v_lshl_add_u64 v[18:19], v[18:19], 4, s[30:31]
	global_load_dwordx4 v[18:21], v[18:19], off
	s_waitcnt vmcnt(1)
	v_cndmask_b32_e64 v17, v23, -v23, s[44:45]
	v_cvt_f64_f32_e32 v[24:25], v17
	v_cvt_f64_f32_e32 v[22:23], v22
	v_mul_f64 v[26:27], -v[8:9], v[24:25]
	v_mul_f64 v[28:29], v[6:7], v[24:25]
	v_fmac_f64_e32 v[26:27], v[6:7], v[22:23]
	v_fmac_f64_e32 v[28:29], v[8:9], v[22:23]
	s_waitcnt vmcnt(0)
	v_mul_f64 v[22:23], v[20:21], -v[28:29]
	v_mul_f64 v[24:25], v[20:21], v[26:27]
	v_fmac_f64_e32 v[22:23], v[26:27], v[18:19]
	v_fmac_f64_e32 v[24:25], v[28:29], v[18:19]
	ds_write_b128 v16, v[22:25]
	v_add_u32_e32 v16, 0x1000, v16
	s_andn2_b64 exec, exec, s[6:7]
	s_cbranch_execnz .LBB112_75
.LBB112_76:
	s_or_b64 exec, exec, s[4:5]
                                        ; implicit-def: $vgpr10_vgpr11
                                        ; implicit-def: $vgpr8_vgpr9
.LBB112_77:
	s_or_saveexec_b64 s[0:1], s[0:1]
	v_lshlrev_b32_e32 v16, 4, v0
	s_xor_b64 exec, exec, s[0:1]
	s_cbranch_execz .LBB112_79
; %bb.78:
	v_lshl_add_u64 v[12:13], v[10:11], 2, s[26:27]
	global_load_dword v17, v[12:13], off
	global_load_dword v18, v[12:13], off offset:1024
	global_load_dword v19, v[12:13], off offset:2048
	;; [unrolled: 1-line block ×3, first 2 shown]
	v_lshl_add_u64 v[10:11], v[10:11], 3, s[28:29]
	s_movk_i32 s2, 0x1000
	global_load_dwordx2 v[14:15], v[10:11], off
	global_load_dwordx2 v[30:31], v[10:11], off offset:2048
	v_add_co_u32_e32 v10, vcc, s2, v10
	s_waitcnt vmcnt(4)
	v_subrev_u32_e32 v18, s42, v18
	v_addc_co_u32_e32 v11, vcc, 0, v11, vcc
	global_load_dwordx2 v[32:33], v[10:11], off
	global_load_dwordx2 v[34:35], v[10:11], off offset:2048
	v_subrev_u32_e32 v10, s42, v17
	s_waitcnt vmcnt(5)
	v_subrev_u32_e32 v22, s42, v19
	s_waitcnt vmcnt(4)
	v_subrev_u32_e32 v26, s42, v20
	v_ashrrev_i32_e32 v11, 31, v10
	v_ashrrev_i32_e32 v19, 31, v18
	;; [unrolled: 1-line block ×4, first 2 shown]
	v_lshl_add_u64 v[10:11], v[10:11], 4, s[30:31]
	global_load_dwordx4 v[10:13], v[10:11], off
	v_lshl_add_u64 v[18:19], v[18:19], 4, s[30:31]
	v_lshl_add_u64 v[22:23], v[22:23], 4, s[30:31]
	;; [unrolled: 1-line block ×3, first 2 shown]
	global_load_dwordx4 v[18:21], v[18:19], off
	s_waitcnt vmcnt(5)
	v_cndmask_b32_e64 v17, v15, -v15, s[44:45]
	global_load_dwordx4 v[22:25], v[22:23], off
	s_waitcnt vmcnt(5)
	v_cndmask_b32_e64 v38, v31, -v31, s[44:45]
	global_load_dwordx4 v[26:29], v[26:27], off
	v_cvt_f64_f32_e32 v[36:37], v17
	v_cvt_f64_f32_e32 v[14:15], v14
	;; [unrolled: 1-line block ×3, first 2 shown]
	v_mul_f64 v[40:41], -v[8:9], v[36:37]
	v_mul_f64 v[42:43], v[6:7], v[36:37]
	v_cvt_f64_f32_e32 v[30:31], v30
	v_mul_f64 v[44:45], -v[8:9], v[38:39]
	v_mul_f64 v[38:39], v[6:7], v[38:39]
	v_fmac_f64_e32 v[40:41], v[6:7], v[14:15]
	v_fmac_f64_e32 v[42:43], v[8:9], v[14:15]
	;; [unrolled: 1-line block ×4, first 2 shown]
	s_waitcnt vmcnt(5)
	v_cndmask_b32_e64 v17, v33, -v33, s[44:45]
	s_waitcnt vmcnt(4)
	v_cndmask_b32_e64 v46, v35, -v35, s[44:45]
	v_cvt_f64_f32_e32 v[36:37], v17
	v_cvt_f64_f32_e32 v[46:47], v46
	;; [unrolled: 1-line block ×4, first 2 shown]
	v_mul_f64 v[48:49], -v[8:9], v[36:37]
	v_mul_f64 v[50:51], v[6:7], v[36:37]
	v_mul_f64 v[52:53], -v[8:9], v[46:47]
	v_mul_f64 v[46:47], v[6:7], v[46:47]
	v_fmac_f64_e32 v[48:49], v[6:7], v[32:33]
	v_fmac_f64_e32 v[50:51], v[8:9], v[32:33]
	;; [unrolled: 1-line block ×4, first 2 shown]
	s_waitcnt vmcnt(3)
	v_mul_f64 v[6:7], v[12:13], -v[42:43]
	v_mul_f64 v[8:9], v[12:13], v[40:41]
	s_waitcnt vmcnt(2)
	v_mul_f64 v[12:13], v[20:21], -v[38:39]
	v_mul_f64 v[14:15], v[20:21], v[44:45]
	;; [unrolled: 3-line block ×4, first 2 shown]
	v_fmac_f64_e32 v[6:7], v[40:41], v[10:11]
	v_fmac_f64_e32 v[8:9], v[42:43], v[10:11]
	;; [unrolled: 1-line block ×8, first 2 shown]
	ds_write_b128 v16, v[6:9]
	ds_write_b128 v16, v[12:15] offset:4096
	ds_write_b128 v16, v[30:33] offset:8192
	;; [unrolled: 1-line block ×3, first 2 shown]
.LBB112_79:
	s_or_b64 exec, exec, s[0:1]
	s_cmp_lt_i32 s33, 2
	s_mov_b64 s[0:1], -1
	s_waitcnt lgkmcnt(0)
	s_barrier
	s_cbranch_scc0 .LBB112_90
; %bb.80:
	v_lshl_add_u64 v[14:15], s[36:37], 0, v[0:1]
	v_cmp_gt_i64_e32 vcc, s[38:39], v[14:15]
	s_and_saveexec_b64 s[2:3], vcc
	s_cbranch_execz .LBB112_89
; %bb.81:
	v_cmp_neq_f64_e32 vcc, 0, v[2:3]
	v_cmp_neq_f64_e64 s[0:1], 0, v[4:5]
	s_lshl_b32 s6, s34, 4
	s_mov_b64 s[4:5], 0
	s_or_b64 s[0:1], vcc, s[0:1]
	s_sub_i32 s12, 0, s6
	s_mov_b64 s[6:7], 0x100
	s_branch .LBB112_83
.LBB112_82:                             ;   in Loop: Header=BB112_83 Depth=1
	s_or_b64 exec, exec, s[8:9]
	v_lshl_add_u64 v[14:15], v[14:15], 0, s[6:7]
	v_cmp_le_i64_e32 vcc, s[38:39], v[14:15]
	s_or_b64 s[4:5], vcc, s[4:5]
	global_store_dwordx4 v[10:11], v[6:9], off
	s_andn2_b64 exec, exec, s[4:5]
	s_cbranch_execz .LBB112_89
.LBB112_83:                             ; =>This Loop Header: Depth=1
                                        ;     Child Loop BB112_85 Depth 2
	v_lshl_add_u64 v[6:7], v[14:15], 3, s[24:25]
	global_load_dwordx4 v[10:13], v[6:7], off
	v_mov_b64_e32 v[8:9], 0
	v_mov_b64_e32 v[6:7], 0
	s_waitcnt vmcnt(0)
	v_subrev_u32_e32 v1, s34, v10
	v_subrev_u32_e32 v11, s34, v12
	v_cmp_lt_i32_e32 vcc, v1, v11
	s_and_saveexec_b64 s[8:9], vcc
	s_cbranch_execz .LBB112_87
; %bb.84:                               ;   in Loop: Header=BB112_83 Depth=1
	v_mov_b64_e32 v[8:9], 0
	v_lshl_add_u32 v10, v10, 4, s12
	s_mov_b64 s[10:11], 0
	v_mov_b64_e32 v[6:7], v[8:9]
.LBB112_85:                             ;   Parent Loop BB112_83 Depth=1
                                        ; =>  This Inner Loop Header: Depth=2
	ds_read_b128 v[18:21], v10
	v_add_u32_e32 v1, 1, v1
	v_cmp_ge_i32_e32 vcc, v1, v11
	v_add_u32_e32 v10, 16, v10
	s_or_b64 s[10:11], vcc, s[10:11]
	s_waitcnt lgkmcnt(0)
	v_add_f64 v[6:7], v[6:7], v[18:19]
	v_add_f64 v[8:9], v[8:9], v[20:21]
	s_andn2_b64 exec, exec, s[10:11]
	s_cbranch_execnz .LBB112_85
; %bb.86:                               ;   in Loop: Header=BB112_83 Depth=1
	s_or_b64 exec, exec, s[10:11]
.LBB112_87:                             ;   in Loop: Header=BB112_83 Depth=1
	s_or_b64 exec, exec, s[8:9]
	v_lshl_add_u64 v[10:11], v[14:15], 4, s[22:23]
	s_and_saveexec_b64 s[8:9], s[0:1]
	s_cbranch_execz .LBB112_82
; %bb.88:                               ;   in Loop: Header=BB112_83 Depth=1
	global_load_dwordx4 v[18:21], v[10:11], off
	s_waitcnt vmcnt(0)
	v_fmac_f64_e32 v[6:7], v[2:3], v[18:19]
	v_fmac_f64_e32 v[8:9], v[4:5], v[18:19]
	v_fma_f64 v[6:7], -v[4:5], v[20:21], v[6:7]
	v_fmac_f64_e32 v[8:9], v[2:3], v[20:21]
	s_branch .LBB112_82
.LBB112_89:
	s_or_b64 exec, exec, s[2:3]
	s_mov_b64 s[0:1], 0
.LBB112_90:
	s_andn2_b64 vcc, exec, s[0:1]
	s_cbranch_vccnz .LBB112_115
; %bb.91:
	s_flbit_i32_b32 s0, s33
	s_xor_b32 s0, s0, 31
	v_lshrrev_b32_e32 v12, s0, v0
	v_mov_b32_e32 v13, 0
	v_lshl_add_u64 v[10:11], s[36:37], 0, v[12:13]
	s_add_i32 s0, s33, -1
	v_mov_b64_e32 v[6:7], 0
	v_and_b32_e32 v0, s0, v0
	v_cmp_le_i64_e32 vcc, s[38:39], v[10:11]
	v_cmp_gt_i64_e64 s[0:1], s[38:39], v[10:11]
	v_mov_b64_e32 v[8:9], v[6:7]
	s_and_saveexec_b64 s[2:3], s[0:1]
	s_cbranch_execz .LBB112_97
; %bb.92:
	v_lshlrev_b32_e32 v1, 3, v12
	global_load_dword v6, v1, s[40:41] offset:8
	global_load_dword v7, v1, s[40:41]
	v_mov_b64_e32 v[8:9], 0
	s_waitcnt vmcnt(1)
	v_subrev_u32_e32 v1, s34, v6
	s_waitcnt vmcnt(0)
	v_subrev_u32_e32 v6, s34, v7
	v_add_u32_e32 v12, v0, v6
	v_cmp_lt_i32_e64 s[0:1], v12, v1
	v_mov_b64_e32 v[6:7], 0
	s_and_saveexec_b64 s[4:5], s[0:1]
	s_cbranch_execz .LBB112_96
; %bb.93:
	v_mov_b64_e32 v[8:9], 0
	v_lshlrev_b32_e32 v13, 4, v12
	s_lshl_b32 s8, s33, 4
	s_mov_b64 s[6:7], 0
	v_mov_b64_e32 v[6:7], v[8:9]
.LBB112_94:                             ; =>This Inner Loop Header: Depth=1
	ds_read_b128 v[18:21], v13
	v_add_u32_e32 v12, s33, v12
	v_cmp_ge_i32_e64 s[0:1], v12, v1
	v_add_u32_e32 v13, s8, v13
	s_or_b64 s[6:7], s[0:1], s[6:7]
	s_waitcnt lgkmcnt(0)
	v_add_f64 v[6:7], v[6:7], v[18:19]
	v_add_f64 v[8:9], v[8:9], v[20:21]
	s_andn2_b64 exec, exec, s[6:7]
	s_cbranch_execnz .LBB112_94
; %bb.95:
	s_or_b64 exec, exec, s[6:7]
.LBB112_96:
	s_or_b64 exec, exec, s[4:5]
.LBB112_97:
	s_or_b64 exec, exec, s[2:3]
	s_cmpk_lt_u32 s33, 0x81
	s_barrier
	ds_write_b128 v16, v[6:9]
	s_waitcnt lgkmcnt(0)
	s_barrier
	s_cbranch_scc1 .LBB112_99
; %bb.98:
	ds_read_b128 v[12:15], v16 offset:2048
	s_waitcnt lgkmcnt(0)
	s_barrier
	v_add_f64 v[6:7], v[6:7], v[12:13]
	v_add_f64 v[8:9], v[8:9], v[14:15]
	ds_write_b128 v16, v[6:9]
.LBB112_99:
	s_cmpk_lt_u32 s33, 0x41
	s_waitcnt lgkmcnt(0)
	s_barrier
	s_cbranch_scc1 .LBB112_101
; %bb.100:
	ds_read_b128 v[12:15], v16 offset:1024
	s_waitcnt lgkmcnt(0)
	s_barrier
	v_add_f64 v[6:7], v[6:7], v[12:13]
	v_add_f64 v[8:9], v[8:9], v[14:15]
	ds_write_b128 v16, v[6:9]
.LBB112_101:
	s_cmp_lt_u32 s33, 33
	s_waitcnt lgkmcnt(0)
	s_barrier
	s_cbranch_scc1 .LBB112_103
; %bb.102:
	ds_read_b128 v[12:15], v16 offset:512
	s_waitcnt lgkmcnt(0)
	s_barrier
	v_add_f64 v[6:7], v[6:7], v[12:13]
	v_add_f64 v[8:9], v[8:9], v[14:15]
	ds_write_b128 v16, v[6:9]
.LBB112_103:
	s_cmp_lt_u32 s33, 17
	;; [unrolled: 12-line block ×4, first 2 shown]
	s_waitcnt lgkmcnt(0)
	s_barrier
	s_cbranch_scc1 .LBB112_109
; %bb.108:
	ds_read_b128 v[12:15], v16 offset:64
	s_waitcnt lgkmcnt(0)
	s_barrier
	v_add_f64 v[6:7], v[6:7], v[12:13]
	v_add_f64 v[8:9], v[8:9], v[14:15]
	ds_write_b128 v16, v[6:9]
.LBB112_109:
	s_cmp_eq_u32 s33, 2
	s_waitcnt lgkmcnt(0)
	s_barrier
	s_cbranch_scc1 .LBB112_111
; %bb.110:
	ds_read_b128 v[12:15], v16 offset:32
	s_waitcnt lgkmcnt(0)
	s_barrier
	v_add_f64 v[6:7], v[6:7], v[12:13]
	v_add_f64 v[8:9], v[8:9], v[14:15]
	ds_write_b128 v16, v[6:9]
.LBB112_111:
	s_waitcnt lgkmcnt(0)
	s_barrier
	ds_read_b128 v[12:15], v16 offset:16
	v_cmp_eq_u32_e64 s[0:1], 0, v0
	s_xor_b64 s[2:3], vcc, -1
	s_and_b64 s[0:1], s[0:1], s[2:3]
	s_waitcnt lgkmcnt(0)
	v_add_f64 v[6:7], v[6:7], v[12:13]
	v_add_f64 v[8:9], v[8:9], v[14:15]
	s_barrier
	ds_write_b128 v16, v[6:9]
	s_and_b64 exec, exec, s[0:1]
	s_cbranch_execz .LBB112_115
; %bb.112:
	v_cmp_neq_f64_e32 vcc, 0, v[2:3]
	v_cmp_neq_f64_e64 s[0:1], 0, v[4:5]
	s_or_b64 s[2:3], vcc, s[0:1]
	v_lshl_add_u64 v[0:1], v[10:11], 4, s[22:23]
	s_and_saveexec_b64 s[0:1], s[2:3]
	s_cbranch_execz .LBB112_114
; %bb.113:
	global_load_dwordx4 v[10:13], v[0:1], off
	s_waitcnt vmcnt(0)
	v_fmac_f64_e32 v[6:7], v[2:3], v[10:11]
	v_fmac_f64_e32 v[8:9], v[4:5], v[10:11]
	v_fma_f64 v[6:7], -v[4:5], v[12:13], v[6:7]
	v_fmac_f64_e32 v[8:9], v[2:3], v[12:13]
.LBB112_114:
	s_or_b64 exec, exec, s[0:1]
	global_store_dwordx4 v[0:1], v[6:9], off
.LBB112_115:
	s_endpgm
	.section	.rodata,"a",@progbits
	.p2align	6, 0x0
	.amdhsa_kernel _ZN9rocsparseL22csrmvn_adaptive_kernelIli21rocsparse_complex_numIfES1_IdES3_S3_EEvbT_PKS4_PjPKT0_NS_24const_host_device_scalarIT4_EES6_SA_PKT1_PKT2_SD_PT3_21rocsparse_index_base_b
		.amdhsa_group_segment_fixed_size 16384
		.amdhsa_private_segment_fixed_size 0
		.amdhsa_kernarg_size 120
		.amdhsa_user_sgpr_count 2
		.amdhsa_user_sgpr_dispatch_ptr 0
		.amdhsa_user_sgpr_queue_ptr 0
		.amdhsa_user_sgpr_kernarg_segment_ptr 1
		.amdhsa_user_sgpr_dispatch_id 0
		.amdhsa_user_sgpr_kernarg_preload_length 0
		.amdhsa_user_sgpr_kernarg_preload_offset 0
		.amdhsa_user_sgpr_private_segment_size 0
		.amdhsa_uses_dynamic_stack 0
		.amdhsa_enable_private_segment 0
		.amdhsa_system_sgpr_workgroup_id_x 1
		.amdhsa_system_sgpr_workgroup_id_y 0
		.amdhsa_system_sgpr_workgroup_id_z 0
		.amdhsa_system_sgpr_workgroup_info 0
		.amdhsa_system_vgpr_workitem_id 0
		.amdhsa_next_free_vgpr 54
		.amdhsa_next_free_sgpr 68
		.amdhsa_accum_offset 56
		.amdhsa_reserve_vcc 1
		.amdhsa_float_round_mode_32 0
		.amdhsa_float_round_mode_16_64 0
		.amdhsa_float_denorm_mode_32 3
		.amdhsa_float_denorm_mode_16_64 3
		.amdhsa_dx10_clamp 1
		.amdhsa_ieee_mode 1
		.amdhsa_fp16_overflow 0
		.amdhsa_tg_split 0
		.amdhsa_exception_fp_ieee_invalid_op 0
		.amdhsa_exception_fp_denorm_src 0
		.amdhsa_exception_fp_ieee_div_zero 0
		.amdhsa_exception_fp_ieee_overflow 0
		.amdhsa_exception_fp_ieee_underflow 0
		.amdhsa_exception_fp_ieee_inexact 0
		.amdhsa_exception_int_div_zero 0
	.end_amdhsa_kernel
	.section	.text._ZN9rocsparseL22csrmvn_adaptive_kernelIli21rocsparse_complex_numIfES1_IdES3_S3_EEvbT_PKS4_PjPKT0_NS_24const_host_device_scalarIT4_EES6_SA_PKT1_PKT2_SD_PT3_21rocsparse_index_base_b,"axG",@progbits,_ZN9rocsparseL22csrmvn_adaptive_kernelIli21rocsparse_complex_numIfES1_IdES3_S3_EEvbT_PKS4_PjPKT0_NS_24const_host_device_scalarIT4_EES6_SA_PKT1_PKT2_SD_PT3_21rocsparse_index_base_b,comdat
.Lfunc_end112:
	.size	_ZN9rocsparseL22csrmvn_adaptive_kernelIli21rocsparse_complex_numIfES1_IdES3_S3_EEvbT_PKS4_PjPKT0_NS_24const_host_device_scalarIT4_EES6_SA_PKT1_PKT2_SD_PT3_21rocsparse_index_base_b, .Lfunc_end112-_ZN9rocsparseL22csrmvn_adaptive_kernelIli21rocsparse_complex_numIfES1_IdES3_S3_EEvbT_PKS4_PjPKT0_NS_24const_host_device_scalarIT4_EES6_SA_PKT1_PKT2_SD_PT3_21rocsparse_index_base_b
                                        ; -- End function
	.set _ZN9rocsparseL22csrmvn_adaptive_kernelIli21rocsparse_complex_numIfES1_IdES3_S3_EEvbT_PKS4_PjPKT0_NS_24const_host_device_scalarIT4_EES6_SA_PKT1_PKT2_SD_PT3_21rocsparse_index_base_b.num_vgpr, 54
	.set _ZN9rocsparseL22csrmvn_adaptive_kernelIli21rocsparse_complex_numIfES1_IdES3_S3_EEvbT_PKS4_PjPKT0_NS_24const_host_device_scalarIT4_EES6_SA_PKT1_PKT2_SD_PT3_21rocsparse_index_base_b.num_agpr, 0
	.set _ZN9rocsparseL22csrmvn_adaptive_kernelIli21rocsparse_complex_numIfES1_IdES3_S3_EEvbT_PKS4_PjPKT0_NS_24const_host_device_scalarIT4_EES6_SA_PKT1_PKT2_SD_PT3_21rocsparse_index_base_b.numbered_sgpr, 68
	.set _ZN9rocsparseL22csrmvn_adaptive_kernelIli21rocsparse_complex_numIfES1_IdES3_S3_EEvbT_PKS4_PjPKT0_NS_24const_host_device_scalarIT4_EES6_SA_PKT1_PKT2_SD_PT3_21rocsparse_index_base_b.num_named_barrier, 0
	.set _ZN9rocsparseL22csrmvn_adaptive_kernelIli21rocsparse_complex_numIfES1_IdES3_S3_EEvbT_PKS4_PjPKT0_NS_24const_host_device_scalarIT4_EES6_SA_PKT1_PKT2_SD_PT3_21rocsparse_index_base_b.private_seg_size, 0
	.set _ZN9rocsparseL22csrmvn_adaptive_kernelIli21rocsparse_complex_numIfES1_IdES3_S3_EEvbT_PKS4_PjPKT0_NS_24const_host_device_scalarIT4_EES6_SA_PKT1_PKT2_SD_PT3_21rocsparse_index_base_b.uses_vcc, 1
	.set _ZN9rocsparseL22csrmvn_adaptive_kernelIli21rocsparse_complex_numIfES1_IdES3_S3_EEvbT_PKS4_PjPKT0_NS_24const_host_device_scalarIT4_EES6_SA_PKT1_PKT2_SD_PT3_21rocsparse_index_base_b.uses_flat_scratch, 0
	.set _ZN9rocsparseL22csrmvn_adaptive_kernelIli21rocsparse_complex_numIfES1_IdES3_S3_EEvbT_PKS4_PjPKT0_NS_24const_host_device_scalarIT4_EES6_SA_PKT1_PKT2_SD_PT3_21rocsparse_index_base_b.has_dyn_sized_stack, 0
	.set _ZN9rocsparseL22csrmvn_adaptive_kernelIli21rocsparse_complex_numIfES1_IdES3_S3_EEvbT_PKS4_PjPKT0_NS_24const_host_device_scalarIT4_EES6_SA_PKT1_PKT2_SD_PT3_21rocsparse_index_base_b.has_recursion, 0
	.set _ZN9rocsparseL22csrmvn_adaptive_kernelIli21rocsparse_complex_numIfES1_IdES3_S3_EEvbT_PKS4_PjPKT0_NS_24const_host_device_scalarIT4_EES6_SA_PKT1_PKT2_SD_PT3_21rocsparse_index_base_b.has_indirect_call, 0
	.section	.AMDGPU.csdata,"",@progbits
; Kernel info:
; codeLenInByte = 4760
; TotalNumSgprs: 74
; NumVgprs: 54
; NumAgprs: 0
; TotalNumVgprs: 54
; ScratchSize: 0
; MemoryBound: 0
; FloatMode: 240
; IeeeMode: 1
; LDSByteSize: 16384 bytes/workgroup (compile time only)
; SGPRBlocks: 9
; VGPRBlocks: 6
; NumSGPRsForWavesPerEU: 74
; NumVGPRsForWavesPerEU: 54
; AccumOffset: 56
; Occupancy: 8
; WaveLimiterHint : 1
; COMPUTE_PGM_RSRC2:SCRATCH_EN: 0
; COMPUTE_PGM_RSRC2:USER_SGPR: 2
; COMPUTE_PGM_RSRC2:TRAP_HANDLER: 0
; COMPUTE_PGM_RSRC2:TGID_X_EN: 1
; COMPUTE_PGM_RSRC2:TGID_Y_EN: 0
; COMPUTE_PGM_RSRC2:TGID_Z_EN: 0
; COMPUTE_PGM_RSRC2:TIDIG_COMP_CNT: 0
; COMPUTE_PGM_RSRC3_GFX90A:ACCUM_OFFSET: 13
; COMPUTE_PGM_RSRC3_GFX90A:TG_SPLIT: 0
	.section	.text._ZN9rocsparseL27csrmvn_symm_adaptive_kernelIli21rocsparse_complex_numIfES1_IdES3_S3_EEvbT_S4_PKS4_NS_24const_host_device_scalarIT4_EES6_PKT0_PKT1_PKT2_S9_PT3_21rocsparse_index_base_b,"axG",@progbits,_ZN9rocsparseL27csrmvn_symm_adaptive_kernelIli21rocsparse_complex_numIfES1_IdES3_S3_EEvbT_S4_PKS4_NS_24const_host_device_scalarIT4_EES6_PKT0_PKT1_PKT2_S9_PT3_21rocsparse_index_base_b,comdat
	.globl	_ZN9rocsparseL27csrmvn_symm_adaptive_kernelIli21rocsparse_complex_numIfES1_IdES3_S3_EEvbT_S4_PKS4_NS_24const_host_device_scalarIT4_EES6_PKT0_PKT1_PKT2_S9_PT3_21rocsparse_index_base_b ; -- Begin function _ZN9rocsparseL27csrmvn_symm_adaptive_kernelIli21rocsparse_complex_numIfES1_IdES3_S3_EEvbT_S4_PKS4_NS_24const_host_device_scalarIT4_EES6_PKT0_PKT1_PKT2_S9_PT3_21rocsparse_index_base_b
	.p2align	8
	.type	_ZN9rocsparseL27csrmvn_symm_adaptive_kernelIli21rocsparse_complex_numIfES1_IdES3_S3_EEvbT_S4_PKS4_NS_24const_host_device_scalarIT4_EES6_PKT0_PKT1_PKT2_S9_PT3_21rocsparse_index_base_b,@function
_ZN9rocsparseL27csrmvn_symm_adaptive_kernelIli21rocsparse_complex_numIfES1_IdES3_S3_EEvbT_S4_PKS4_NS_24const_host_device_scalarIT4_EES6_PKT0_PKT1_PKT2_S9_PT3_21rocsparse_index_base_b: ; @_ZN9rocsparseL27csrmvn_symm_adaptive_kernelIli21rocsparse_complex_numIfES1_IdES3_S3_EEvbT_S4_PKS4_NS_24const_host_device_scalarIT4_EES6_PKT0_PKT1_PKT2_S9_PT3_21rocsparse_index_base_b
; %bb.0:
	s_load_dwordx2 s[28:29], s[0:1], 0x68
	s_load_dwordx2 s[4:5], s[0:1], 0x20
	s_add_u32 s3, s0, 32
	s_addc_u32 s10, s1, 0
	s_waitcnt lgkmcnt(0)
	s_bitcmp1_b32 s29, 0
	s_cselect_b64 s[8:9], -1, 0
	s_and_b64 s[6:7], s[8:9], exec
	s_cselect_b32 s5, s10, s5
	s_cselect_b32 s3, s3, s4
	v_mov_b32_e32 v2, s3
	v_mov_b32_e32 v3, s5
	flat_load_dwordx4 v[2:5], v[2:3]
	s_waitcnt vmcnt(0) lgkmcnt(0)
	v_cmp_eq_f64_e32 vcc, 0, v[2:3]
	v_cmp_eq_f64_e64 s[4:5], 0, v[4:5]
	s_and_b64 s[10:11], vcc, s[4:5]
	s_mov_b64 s[4:5], -1
	s_and_saveexec_b64 s[6:7], s[10:11]
	s_cbranch_execz .LBB113_2
; %bb.1:
	s_load_dwordx2 s[4:5], s[0:1], 0x50
	s_add_u32 s3, s0, 0x50
	s_addc_u32 s10, s1, 0
	s_and_b64 s[8:9], s[8:9], exec
	s_waitcnt lgkmcnt(0)
	s_cselect_b32 s5, s10, s5
	s_cselect_b32 s3, s3, s4
	v_mov_b32_e32 v6, s3
	v_mov_b32_e32 v7, s5
	flat_load_dwordx4 v[6:9], v[6:7]
	s_waitcnt vmcnt(0) lgkmcnt(0)
	v_cmp_neq_f64_e32 vcc, 1.0, v[6:7]
	v_cmp_neq_f64_e64 s[4:5], 0, v[8:9]
	s_or_b64 s[4:5], vcc, s[4:5]
	s_orn2_b64 s[4:5], s[4:5], exec
.LBB113_2:
	s_or_b64 exec, exec, s[6:7]
	s_and_saveexec_b64 s[6:7], s[4:5]
	s_cbranch_execz .LBB113_141
; %bb.3:
	s_load_dword s3, s[0:1], 0x0
	s_load_dwordx2 s[8:9], s[0:1], 0x18
	s_mov_b32 s4, 0
	s_mov_b32 s6, s4
	;; [unrolled: 1-line block ×3, first 2 shown]
	s_waitcnt lgkmcnt(0)
	s_bitcmp1_b32 s3, 0
	s_cselect_b64 s[36:37], -1, 0
	s_ashr_i32 s3, s2, 31
	s_lshl_b64 s[2:3], s[2:3], 3
	s_mov_b32 s5, s4
	v_mov_b64_e32 v[8:9], s[6:7]
	s_add_u32 s2, s8, s2
	v_lshlrev_b32_e32 v20, 4, v0
	v_mov_b64_e32 v[6:7], s[4:5]
	s_addc_u32 s3, s9, s3
	ds_write_b128 v20, v[6:9]
	ds_write_b128 v20, v[6:9] offset:4096
	ds_write_b128 v20, v[6:9] offset:8192
	;; [unrolled: 1-line block ×3, first 2 shown]
	s_waitcnt lgkmcnt(0)
	s_barrier
	s_load_dwordx4 s[20:23], s[2:3], 0x0
	s_load_dwordx2 s[24:25], s[0:1], 0x60
	s_load_dwordx8 s[12:19], s[0:1], 0x30
	s_mov_b64 s[2:3], -1
	s_waitcnt lgkmcnt(0)
	s_sub_u32 s26, s22, s20
	s_subb_u32 s27, s23, s21
	v_cmp_gt_i64_e64 s[4:5], s[26:27], 2
	s_and_b64 vcc, exec, s[4:5]
	s_cbranch_vccnz .LBB113_40
; %bb.4:
	v_mov_b64_e32 v[6:7], s[20:21]
	v_cmp_le_i64_e32 vcc, s[22:23], v[6:7]
	v_subrev_co_u32_e64 v10, s[2:3], s28, v0
	v_mov_b32_e32 v1, 0
	s_nop 0
	v_subb_co_u32_e64 v11, s[2:3], 0, 0, s[2:3]
	s_cbranch_vccnz .LBB113_30
; %bb.5:
	s_movk_i32 s2, 0x100
	s_add_u32 s30, s16, 4
	v_cmp_gt_u32_e64 s[2:3], s2, v0
	v_cmp_gt_u32_e64 s[4:5], 64, v0
	;; [unrolled: 1-line block ×4, first 2 shown]
	v_cmp_eq_u32_e64 s[10:11], 0, v0
	s_addc_u32 s31, s17, 0
	s_mov_b64 s[34:35], 0x100
	s_mov_b64 s[38:39], 0x400
	;; [unrolled: 1-line block ×3, first 2 shown]
	v_mov_b64_e32 v[12:13], s[22:23]
	s_mov_b64 s[42:43], s[20:21]
	s_branch .LBB113_7
.LBB113_6:                              ;   in Loop: Header=BB113_7 Depth=1
	s_or_b64 exec, exec, s[44:45]
	s_add_u32 s42, s42, 1
	s_addc_u32 s43, s43, 0
	v_cmp_ge_i64_e32 vcc, s[42:43], v[12:13]
	s_cbranch_vccnz .LBB113_30
.LBB113_7:                              ; =>This Loop Header: Depth=1
                                        ;     Child Loop BB113_9 Depth 2
                                        ;     Child Loop BB113_23 Depth 2
                                        ;     Child Loop BB113_27 Depth 2
	s_lshl_b64 s[44:45], s[42:43], 3
	s_add_u32 s48, s12, s44
	s_addc_u32 s49, s13, s45
	s_load_dwordx4 s[44:47], s[48:49], 0x0
	v_mov_b64_e32 v[8:9], 0
	v_mov_b64_e32 v[6:7], 0
	s_waitcnt lgkmcnt(0)
	s_sub_u32 s46, s46, s28
	v_lshl_add_u64 v[14:15], s[44:45], 0, v[10:11]
	s_subb_u32 s47, s47, 0
	v_cmp_gt_i64_e32 vcc, s[46:47], v[14:15]
	s_and_saveexec_b64 s[44:45], vcc
	s_cbranch_execz .LBB113_11
; %bb.8:                                ;   in Loop: Header=BB113_7 Depth=1
	v_mov_b64_e32 v[8:9], 0
	v_lshl_add_u64 v[16:17], v[14:15], 2, s[14:15]
	v_lshl_add_u64 v[18:19], v[14:15], 3, s[30:31]
	s_mov_b64 s[48:49], 0
	v_mov_b64_e32 v[6:7], v[8:9]
.LBB113_9:                              ;   Parent Loop BB113_7 Depth=1
                                        ; =>  This Inner Loop Header: Depth=2
	global_load_dword v21, v[16:17], off
	global_load_dwordx2 v[26:27], v[18:19], off offset:-4
	v_lshl_add_u64 v[14:15], v[14:15], 0, s[34:35]
	v_cmp_le_i64_e32 vcc, s[46:47], v[14:15]
	v_lshl_add_u64 v[16:17], v[16:17], 0, s[38:39]
	v_lshl_add_u64 v[18:19], v[18:19], 0, s[40:41]
	s_or_b64 s[48:49], vcc, s[48:49]
	s_waitcnt vmcnt(1)
	v_subrev_u32_e32 v22, s28, v21
	v_ashrrev_i32_e32 v23, 31, v22
	v_lshl_add_u64 v[22:23], v[22:23], 4, s[18:19]
	global_load_dwordx4 v[22:25], v[22:23], off
	s_waitcnt vmcnt(1)
	v_cndmask_b32_e64 v21, v27, -v27, s[36:37]
	v_cvt_f64_f32_e32 v[26:27], v26
	v_cvt_f64_f32_e32 v[28:29], v21
	s_waitcnt vmcnt(0)
	v_fmac_f64_e32 v[6:7], v[26:27], v[22:23]
	v_fmac_f64_e32 v[8:9], v[28:29], v[22:23]
	v_fma_f64 v[6:7], -v[28:29], v[24:25], v[6:7]
	v_fmac_f64_e32 v[8:9], v[26:27], v[24:25]
	s_andn2_b64 exec, exec, s[48:49]
	s_cbranch_execnz .LBB113_9
; %bb.10:                               ;   in Loop: Header=BB113_7 Depth=1
	s_or_b64 exec, exec, s[48:49]
.LBB113_11:                             ;   in Loop: Header=BB113_7 Depth=1
	s_or_b64 exec, exec, s[44:45]
	ds_write_b128 v20, v[6:9]
	s_waitcnt lgkmcnt(0)
	s_barrier
	s_and_saveexec_b64 s[44:45], s[2:3]
	s_cbranch_execz .LBB113_13
; %bb.12:                               ;   in Loop: Header=BB113_7 Depth=1
	ds_read_b128 v[6:9], v20 offset:4096
	ds_read_b128 v[14:17], v20 offset:8192
	ds_read_b128 v[22:25], v20 offset:12288
	ds_read_b128 v[26:29], v20
	s_waitcnt lgkmcnt(2)
	v_add_f64 v[6:7], v[14:15], v[6:7]
	v_add_f64 v[8:9], v[16:17], v[8:9]
	s_waitcnt lgkmcnt(1)
	v_add_f64 v[6:7], v[6:7], v[22:23]
	v_add_f64 v[8:9], v[8:9], v[24:25]
	s_waitcnt lgkmcnt(0)
	v_add_f64 v[6:7], v[6:7], v[26:27]
	v_add_f64 v[8:9], v[8:9], v[28:29]
	ds_write_b128 v20, v[6:9]
.LBB113_13:                             ;   in Loop: Header=BB113_7 Depth=1
	s_or_b64 exec, exec, s[44:45]
	s_waitcnt lgkmcnt(0)
	s_barrier
	s_and_saveexec_b64 s[44:45], s[4:5]
	s_cbranch_execz .LBB113_15
; %bb.14:                               ;   in Loop: Header=BB113_7 Depth=1
	ds_read_b128 v[6:9], v20 offset:1024
	ds_read_b128 v[14:17], v20 offset:2048
	ds_read_b128 v[22:25], v20 offset:3072
	ds_read_b128 v[26:29], v20
	s_waitcnt lgkmcnt(2)
	v_add_f64 v[6:7], v[14:15], v[6:7]
	v_add_f64 v[8:9], v[16:17], v[8:9]
	s_waitcnt lgkmcnt(1)
	v_add_f64 v[6:7], v[6:7], v[22:23]
	v_add_f64 v[8:9], v[8:9], v[24:25]
	s_waitcnt lgkmcnt(0)
	v_add_f64 v[6:7], v[6:7], v[26:27]
	v_add_f64 v[8:9], v[8:9], v[28:29]
	ds_write_b128 v20, v[6:9]
.LBB113_15:                             ;   in Loop: Header=BB113_7 Depth=1
	s_or_b64 exec, exec, s[44:45]
	;; [unrolled: 21-line block ×5, first 2 shown]
	s_waitcnt lgkmcnt(0)
	s_barrier
	s_and_saveexec_b64 s[44:45], s[10:11]
	s_cbranch_execz .LBB113_6
; %bb.22:                               ;   in Loop: Header=BB113_7 Depth=1
	ds_read_b128 v[6:9], v1
	v_mov_b32_e32 v14, 0
	s_mov_b64 s[46:47], exec
	v_bfrev_b32_e32 v15, 1
	s_waitcnt lgkmcnt(0)
	v_mul_f64 v[16:17], v[8:9], -v[4:5]
	v_fmac_f64_e32 v[16:17], v[2:3], v[6:7]
.LBB113_23:                             ;   Parent Loop BB113_7 Depth=1
                                        ; =>  This Inner Loop Header: Depth=2
	s_ff1_i32_b64 s29, s[46:47]
	s_lshl_b64 s[50:51], 1, s29
	v_readlane_b32 s49, v17, s29
	v_readlane_b32 s48, v16, s29
	s_andn2_b64 s[46:47], s[46:47], s[50:51]
	s_cmp_lg_u64 s[46:47], 0
	v_add_f64 v[14:15], v[14:15], s[48:49]
	s_cbranch_scc1 .LBB113_23
; %bb.24:                               ;   in Loop: Header=BB113_7 Depth=1
	s_lshl_b64 s[46:47], s[42:43], 4
	v_mbcnt_lo_u32_b32 v16, exec_lo, 0
	s_add_u32 s46, s24, s46
	v_mbcnt_hi_u32_b32 v16, exec_hi, v16
	s_addc_u32 s47, s25, s47
	v_cmp_eq_u32_e32 vcc, 0, v16
	s_and_saveexec_b64 s[48:49], vcc
	s_xor_b64 s[48:49], exec, s[48:49]
	s_cbranch_execz .LBB113_26
; %bb.25:                               ;   in Loop: Header=BB113_7 Depth=1
	global_atomic_add_f64 v1, v[14:15], s[46:47]
.LBB113_26:                             ;   in Loop: Header=BB113_7 Depth=1
	s_or_b64 exec, exec, s[48:49]
	v_mul_f64 v[8:9], v[2:3], v[8:9]
	v_fmac_f64_e32 v[8:9], v[4:5], v[6:7]
	v_mov_b32_e32 v6, 0
	s_mov_b64 s[48:49], exec
	v_bfrev_b32_e32 v7, 1
.LBB113_27:                             ;   Parent Loop BB113_7 Depth=1
                                        ; =>  This Inner Loop Header: Depth=2
	s_ff1_i32_b64 s29, s[48:49]
	s_lshl_b64 s[52:53], 1, s29
	v_readlane_b32 s51, v9, s29
	v_readlane_b32 s50, v8, s29
	s_andn2_b64 s[48:49], s[48:49], s[52:53]
	s_cmp_lg_u64 s[48:49], 0
	v_add_f64 v[6:7], v[6:7], s[50:51]
	s_cbranch_scc1 .LBB113_27
; %bb.28:                               ;   in Loop: Header=BB113_7 Depth=1
	v_mbcnt_lo_u32_b32 v8, exec_lo, 0
	v_mbcnt_hi_u32_b32 v8, exec_hi, v8
	v_cmp_eq_u32_e32 vcc, 0, v8
	s_and_saveexec_b64 s[48:49], vcc
	s_xor_b64 s[48:49], exec, s[48:49]
	s_cbranch_execz .LBB113_6
; %bb.29:                               ;   in Loop: Header=BB113_7 Depth=1
	global_atomic_add_f64 v1, v[6:7], s[46:47] offset:8
	s_branch .LBB113_6
.LBB113_30:
	s_lshl_b64 s[2:3], s[20:21], 3
	s_add_u32 s2, s12, s2
	s_addc_u32 s3, s13, s3
	s_lshl_b64 s[4:5], s[22:23], 3
	s_add_u32 s4, s12, s4
	s_addc_u32 s5, s13, s5
	s_load_dwordx2 s[6:7], s[4:5], 0x0
	s_load_dwordx2 s[8:9], s[2:3], 0x0
	s_waitcnt lgkmcnt(0)
	s_sub_u32 s6, s6, s28
	s_subb_u32 s7, s7, 0
	v_lshl_add_u64 v[6:7], s[8:9], 0, v[10:11]
	v_cmp_gt_i64_e32 vcc, s[6:7], v[6:7]
	s_and_saveexec_b64 s[8:9], vcc
	s_cbranch_execz .LBB113_39
; %bb.31:
	s_add_u32 s10, s22, -1
	s_addc_u32 s11, s23, -1
	s_add_u32 s2, s22, -2
	s_addc_u32 s3, s23, -1
	v_mov_b64_e32 v[8:9], s[10:11]
	s_cmp_lg_u64 s[20:21], s[2:3]
	v_cmp_lt_i64_e32 vcc, s[20:21], v[8:9]
	s_cselect_b64 s[2:3], -1, 0
	s_and_b64 s[2:3], vcc, s[2:3]
	v_cndmask_b32_e64 v1, 0, 1, s[2:3]
	s_mov_b64 s[30:31], 0
	v_cmp_ne_u32_e64 s[2:3], 1, v1
	v_mov_b32_e32 v9, 0
	s_mov_b64 s[34:35], 0x100
	s_branch .LBB113_33
.LBB113_32:                             ;   in Loop: Header=BB113_33 Depth=1
	s_or_b64 exec, exec, s[4:5]
	v_lshl_add_u64 v[6:7], v[6:7], 0, s[34:35]
	v_cmp_le_i64_e32 vcc, s[6:7], v[6:7]
	s_or_b64 s[30:31], vcc, s[30:31]
	s_andn2_b64 exec, exec, s[30:31]
	s_cbranch_execz .LBB113_39
.LBB113_33:                             ; =>This Loop Header: Depth=1
                                        ;     Child Loop BB113_35 Depth 2
	s_and_b64 vcc, exec, s[2:3]
	v_mov_b64_e32 v[10:11], s[20:21]
	v_mov_b64_e32 v[12:13], s[10:11]
	s_cbranch_vccnz .LBB113_37
; %bb.34:                               ;   in Loop: Header=BB113_33 Depth=1
	s_mov_b64 s[38:39], 0
	v_mov_b64_e32 v[10:11], s[20:21]
	v_mov_b64_e32 v[12:13], s[10:11]
.LBB113_35:                             ;   Parent Loop BB113_33 Depth=1
                                        ; =>  This Inner Loop Header: Depth=2
	v_lshl_add_u64 v[14:15], v[12:13], 0, v[10:11]
	v_lshrrev_b32_e32 v8, 31, v15
	v_lshl_add_u64 v[14:15], v[14:15], 0, v[8:9]
	v_ashrrev_i64 v[14:15], 1, v[14:15]
	v_lshl_add_u64 v[16:17], v[14:15], 3, s[12:13]
	global_load_dwordx2 v[16:17], v[16:17], off
	s_waitcnt vmcnt(0)
	v_subrev_co_u32_e32 v16, vcc, s28, v16
	s_nop 1
	v_subbrev_co_u32_e32 v17, vcc, 0, v17, vcc
	v_cmp_lt_i64_e32 vcc, v[6:7], v[16:17]
	s_nop 1
	v_cndmask_b32_e32 v13, v13, v15, vcc
	v_cndmask_b32_e32 v12, v12, v14, vcc
	;; [unrolled: 1-line block ×4, first 2 shown]
	v_lshl_add_u64 v[14:15], v[12:13], 0, -1
	v_cmp_ge_i64_e32 vcc, v[10:11], v[12:13]
	v_cmp_eq_u64_e64 s[4:5], v[10:11], v[14:15]
	s_or_b64 s[4:5], vcc, s[4:5]
	s_and_b64 s[4:5], exec, s[4:5]
	s_or_b64 s[38:39], s[4:5], s[38:39]
	s_andn2_b64 exec, exec, s[38:39]
	s_cbranch_execnz .LBB113_35
; %bb.36:                               ;   in Loop: Header=BB113_33 Depth=1
	s_or_b64 exec, exec, s[38:39]
.LBB113_37:                             ;   in Loop: Header=BB113_33 Depth=1
	v_lshl_add_u64 v[14:15], v[12:13], 3, s[12:13]
	global_load_dwordx2 v[14:15], v[14:15], off
	v_lshl_add_u64 v[16:17], v[6:7], 2, s[14:15]
	global_load_dword v1, v[16:17], off
	s_waitcnt vmcnt(1)
	v_subrev_co_u32_e32 v16, vcc, s28, v14
	s_nop 1
	v_subbrev_co_u32_e32 v17, vcc, 0, v15, vcc
	s_waitcnt vmcnt(0)
	v_subrev_u32_e32 v14, s28, v1
	v_cmp_lt_i64_e32 vcc, v[6:7], v[16:17]
	v_ashrrev_i32_e32 v15, 31, v14
	s_nop 0
	v_cndmask_b32_e32 v11, v13, v11, vcc
	v_cndmask_b32_e32 v10, v12, v10, vcc
	v_cmp_ne_u64_e32 vcc, v[10:11], v[14:15]
	s_and_saveexec_b64 s[4:5], vcc
	s_cbranch_execz .LBB113_32
; %bb.38:                               ;   in Loop: Header=BB113_33 Depth=1
	v_lshl_add_u64 v[12:13], v[6:7], 3, s[16:17]
	global_load_dwordx2 v[16:17], v[12:13], off
	v_lshl_add_u64 v[10:11], v[10:11], 4, s[18:19]
	global_load_dwordx4 v[10:13], v[10:11], off
	v_lshl_add_u64 v[14:15], v[14:15], 4, s[24:25]
	s_waitcnt vmcnt(1)
	v_cndmask_b32_e64 v1, v17, -v17, s[36:37]
	v_cvt_f64_f32_e32 v[18:19], v1
	v_cvt_f64_f32_e32 v[16:17], v16
	v_mul_f64 v[22:23], -v[4:5], v[18:19]
	v_mul_f64 v[18:19], v[2:3], v[18:19]
	v_fmac_f64_e32 v[18:19], v[4:5], v[16:17]
	v_fmac_f64_e32 v[22:23], v[2:3], v[16:17]
	s_waitcnt vmcnt(0)
	v_mul_f64 v[16:17], v[12:13], -v[18:19]
	v_mul_f64 v[12:13], v[12:13], v[22:23]
	v_fmac_f64_e32 v[16:17], v[22:23], v[10:11]
	v_fmac_f64_e32 v[12:13], v[18:19], v[10:11]
	global_atomic_add_f64 v[14:15], v[16:17], off
	global_atomic_add_f64 v[14:15], v[12:13], off offset:8
	s_branch .LBB113_32
.LBB113_39:
	s_or_b64 exec, exec, s[8:9]
	s_mov_b64 s[2:3], 0
.LBB113_40:
	s_and_b64 vcc, exec, s[2:3]
	s_cbranch_vccz .LBB113_141
; %bb.41:
	s_load_dword s2, s[0:1], 0x7c
	s_mov_b32 s31, 0
	v_mov_b64_e32 v[6:7], s[26:27]
	s_mov_b64 s[34:35], 0
	s_waitcnt lgkmcnt(0)
	s_and_b32 s30, s2, 0xffff
	v_cmp_lt_u64_e32 vcc, s[30:31], v[6:7]
	s_cbranch_vccnz .LBB113_43
; %bb.42:
	v_cvt_f32_u32_e32 v1, s26
	s_sub_i32 s2, 0, s26
	v_rcp_iflag_f32_e32 v1, v1
	s_nop 0
	v_mul_f32_e32 v1, 0x4f7ffffe, v1
	v_cvt_u32_f32_e32 v1, v1
	s_nop 0
	v_readfirstlane_b32 s3, v1
	s_mul_i32 s2, s2, s3
	s_mul_hi_u32 s2, s3, s2
	s_add_i32 s3, s3, s2
	s_mul_hi_u32 s2, s30, s3
	s_mul_i32 s4, s2, s26
	s_sub_i32 s4, s30, s4
	s_add_i32 s3, s2, 1
	s_sub_i32 s5, s4, s26
	s_cmp_ge_u32 s4, s26
	s_cselect_b32 s2, s3, s2
	s_cselect_b32 s4, s5, s4
	s_add_i32 s3, s2, 1
	s_cmp_ge_u32 s4, s26
	s_cselect_b32 s34, s3, s2
.LBB113_43:
	s_load_dwordx4 s[4:7], s[0:1], 0x8
	s_lshl_b64 s[0:1], s[20:21], 3
	s_add_u32 s10, s12, s0
	s_addc_u32 s11, s13, s1
	s_load_dwordx2 s[8:9], s[10:11], 0x0
	v_subrev_co_u32_e32 v6, vcc, s28, v0
	v_mov_b32_e32 v1, 0
	s_nop 0
	v_subb_co_u32_e64 v7, s[0:1], 0, 0, vcc
	s_waitcnt lgkmcnt(0)
	v_lshl_add_u64 v[6:7], s[8:9], 0, v[6:7]
	s_mov_b64 s[0:1], 0x300
	v_lshl_add_u64 v[8:9], v[6:7], 0, s[0:1]
	v_cmp_le_i64_e32 vcc, s[4:5], v[8:9]
	s_and_saveexec_b64 s[0:1], vcc
	s_xor_b64 s[2:3], exec, s[0:1]
	s_cbranch_execnz .LBB113_46
; %bb.44:
	s_andn2_saveexec_b64 s[2:3], s[2:3]
	s_cbranch_execnz .LBB113_50
.LBB113_45:
	s_or_b64 exec, exec, s[2:3]
	v_cmp_gt_i64_e64 s[0:1], s[6:7], v[0:1]
	s_and_saveexec_b64 s[2:3], s[0:1]
	s_cbranch_execnz .LBB113_51
	s_branch .LBB113_53
.LBB113_46:
	s_lshl_b64 s[0:1], s[22:23], 3
	s_add_u32 s0, s12, s0
	s_addc_u32 s1, s13, s1
	s_load_dwordx2 s[0:1], s[0:1], 0x0
	s_waitcnt lgkmcnt(0)
	s_sub_u32 s4, s0, s8
	s_subb_u32 s5, s1, s9
	v_cmp_gt_i64_e64 s[0:1], s[4:5], v[0:1]
	s_and_saveexec_b64 s[38:39], s[0:1]
	s_cbranch_execz .LBB113_49
; %bb.47:
	v_lshl_add_u64 v[10:11], v[6:7], 3, s[16:17]
	v_lshl_add_u64 v[10:11], v[10:11], 0, 4
	s_mov_b64 s[40:41], 0
	s_mov_b64 s[42:43], 0x800
	;; [unrolled: 1-line block ×3, first 2 shown]
	v_mov_b32_e32 v14, v20
	v_mov_b64_e32 v[12:13], v[0:1]
.LBB113_48:                             ; =>This Inner Loop Header: Depth=1
	global_load_dwordx2 v[16:17], v[10:11], off offset:-4
	v_lshl_add_u64 v[12:13], v[12:13], 0, s[44:45]
	v_cmp_le_i64_e64 s[0:1], s[4:5], v[12:13]
	v_lshl_add_u64 v[10:11], v[10:11], 0, s[42:43]
	s_or_b64 s[40:41], s[0:1], s[40:41]
	s_waitcnt vmcnt(0)
	v_cndmask_b32_e64 v15, v17, -v17, s[36:37]
	v_cvt_f64_f32_e32 v[18:19], v15
	v_cvt_f64_f32_e32 v[22:23], v16
	v_mul_f64 v[16:17], -v[4:5], v[18:19]
	v_mul_f64 v[18:19], v[2:3], v[18:19]
	v_fmac_f64_e32 v[16:17], v[2:3], v[22:23]
	v_fmac_f64_e32 v[18:19], v[4:5], v[22:23]
	ds_write_b128 v14, v[16:19]
	v_add_u32_e32 v14, 0x1000, v14
	s_andn2_b64 exec, exec, s[40:41]
	s_cbranch_execnz .LBB113_48
.LBB113_49:
	s_or_b64 exec, exec, s[38:39]
                                        ; implicit-def: $vgpr4_vgpr5
	s_andn2_saveexec_b64 s[2:3], s[2:3]
	s_cbranch_execz .LBB113_45
.LBB113_50:
	v_lshl_add_u64 v[10:11], v[6:7], 3, s[16:17]
	s_movk_i32 s0, 0x1000
	global_load_dwordx2 v[12:13], v[10:11], off
	global_load_dwordx2 v[14:15], v[10:11], off offset:2048
	v_add_co_u32_e64 v10, s[0:1], s0, v10
	s_waitcnt vmcnt(1)
	v_cvt_f64_f32_e32 v[22:23], v12
	v_addc_co_u32_e64 v11, s[0:1], 0, v11, s[0:1]
	global_load_dwordx2 v[16:17], v[10:11], off
	global_load_dwordx2 v[18:19], v[10:11], off offset:2048
	v_cndmask_b32_e64 v10, v13, -v13, s[36:37]
	s_waitcnt vmcnt(2)
	v_cndmask_b32_e64 v11, v15, -v15, s[36:37]
	v_cvt_f64_f32_e32 v[12:13], v10
	v_cvt_f64_f32_e32 v[26:27], v11
	;; [unrolled: 1-line block ×3, first 2 shown]
	v_mul_f64 v[10:11], -v[4:5], v[12:13]
	v_mul_f64 v[12:13], v[2:3], v[12:13]
	v_mul_f64 v[14:15], -v[4:5], v[26:27]
	v_fmac_f64_e32 v[10:11], v[2:3], v[22:23]
	v_fmac_f64_e32 v[12:13], v[4:5], v[22:23]
	;; [unrolled: 1-line block ×3, first 2 shown]
	s_waitcnt vmcnt(1)
	v_cndmask_b32_e64 v21, v17, -v17, s[36:37]
	v_cvt_f64_f32_e32 v[30:31], v16
	s_waitcnt vmcnt(0)
	v_cndmask_b32_e64 v28, v19, -v19, s[36:37]
	v_mul_f64 v[16:17], v[2:3], v[26:27]
	v_cvt_f64_f32_e32 v[26:27], v21
	v_cvt_f64_f32_e32 v[28:29], v28
	v_fmac_f64_e32 v[16:17], v[4:5], v[24:25]
	v_mul_f64 v[22:23], -v[4:5], v[26:27]
	v_mul_f64 v[24:25], v[2:3], v[26:27]
	v_cvt_f64_f32_e32 v[18:19], v18
	v_mul_f64 v[26:27], -v[4:5], v[28:29]
	v_mul_f64 v[28:29], v[2:3], v[28:29]
	v_fmac_f64_e32 v[22:23], v[2:3], v[30:31]
	v_fmac_f64_e32 v[24:25], v[4:5], v[30:31]
	ds_write_b128 v20, v[10:13]
	ds_write_b128 v20, v[14:17] offset:4096
	v_fmac_f64_e32 v[26:27], v[2:3], v[18:19]
	v_fmac_f64_e32 v[28:29], v[4:5], v[18:19]
	ds_write_b128 v20, v[22:25] offset:8192
	ds_write_b128 v20, v[26:29] offset:12288
	s_or_b64 exec, exec, s[2:3]
	v_cmp_gt_i64_e64 s[0:1], s[6:7], v[0:1]
	s_and_saveexec_b64 s[2:3], s[0:1]
	s_cbranch_execz .LBB113_53
.LBB113_51:
	s_mov_b32 s0, 0
	v_mov_b32_e32 v2, 0x4000
	s_mov_b32 s1, s0
	s_mov_b32 s16, s0
	;; [unrolled: 1-line block ×3, first 2 shown]
	v_lshl_add_u32 v12, v0, 4, v2
	s_mov_b64 s[4:5], 0
	v_mov_b64_e32 v[2:3], s[0:1]
	v_mov_b64_e32 v[4:5], s[16:17]
	s_mov_b64 s[16:17], 0x100
	v_mov_b64_e32 v[10:11], v[0:1]
.LBB113_52:                             ; =>This Inner Loop Header: Depth=1
	v_lshl_add_u64 v[10:11], v[10:11], 0, s[16:17]
	v_cmp_le_i64_e64 s[0:1], s[6:7], v[10:11]
	ds_write2_b64 v12, v[2:3], v[4:5] offset1:1
	s_or_b64 s[4:5], s[0:1], s[4:5]
	v_add_u32_e32 v12, 0x1000, v12
	s_andn2_b64 exec, exec, s[4:5]
	s_cbranch_execnz .LBB113_52
.LBB113_53:
	s_or_b64 exec, exec, s[2:3]
	s_sub_u32 s2, s22, s6
	v_mov_b64_e32 v[2:3], s[6:7]
	s_subb_u32 s3, s23, s7
	v_cmp_ge_i64_e64 s[0:1], s[22:23], v[2:3]
	s_and_b64 s[0:1], s[0:1], exec
	s_cselect_b32 s5, s3, 0
	s_cselect_b32 s4, s2, 0
	s_waitcnt lgkmcnt(0)
	s_barrier
	s_and_saveexec_b64 s[0:1], vcc
	s_xor_b64 s[16:17], exec, s[0:1]
	s_cbranch_execz .LBB113_70
; %bb.54:
	s_lshl_b64 s[0:1], s[22:23], 3
	s_add_u32 s0, s12, s0
	s_addc_u32 s1, s13, s1
	s_load_dwordx2 s[0:1], s[0:1], 0x0
	s_waitcnt lgkmcnt(0)
	s_sub_u32 s36, s0, s8
	s_subb_u32 s37, s1, s9
	v_cmp_gt_i64_e32 vcc, s[36:37], v[0:1]
	s_and_saveexec_b64 s[38:39], vcc
	s_cbranch_execz .LBB113_69
; %bb.55:
	s_add_u32 s40, s22, -1
	s_addc_u32 s41, s23, -1
	s_add_u32 s2, s22, -2
	s_addc_u32 s3, s23, -1
	s_cmp_lg_u64 s[20:21], s[2:3]
	s_cselect_b64 s[2:3], -1, 0
	s_sub_u32 s42, s0, s28
	v_cndmask_b32_e64 v2, 0, 1, s[2:3]
	s_subb_u32 s43, s1, 0
	s_mov_b64 s[44:45], 0
	v_cmp_ne_u32_e64 s[0:1], 1, v2
	v_mov_b32_e32 v9, 0
	v_mov_b32_e32 v18, 0x4000
	s_mov_b64 s[46:47], 0
	s_branch .LBB113_58
.LBB113_56:                             ;   in Loop: Header=BB113_58 Depth=1
	s_or_b64 exec, exec, s[2:3]
.LBB113_57:                             ;   in Loop: Header=BB113_58 Depth=1
	s_or_b64 exec, exec, s[48:49]
	v_lshl_add_u64 v[12:13], v[12:13], 4, s[18:19]
	global_load_dwordx4 v[22:25], v[12:13], off
	s_add_u32 s46, s46, 0x100
	s_addc_u32 s47, s47, 0
	v_lshlrev_b32_e32 v8, 4, v10
	v_lshl_add_u64 v[10:11], s[46:47], 0, v[0:1]
	v_cmp_le_i64_e32 vcc, s[36:37], v[10:11]
	s_or_b64 s[44:45], vcc, s[44:45]
	s_waitcnt vmcnt(0)
	v_mul_f64 v[10:11], v[24:25], v[14:15]
	v_mul_f64 v[12:13], v[24:25], v[2:3]
	v_fmac_f64_e32 v[10:11], v[2:3], v[22:23]
	v_fmac_f64_e32 v[12:13], v[4:5], v[22:23]
	ds_write_b128 v8, v[10:13]
	s_andn2_b64 exec, exec, s[44:45]
	s_cbranch_execz .LBB113_69
.LBB113_58:                             ; =>This Loop Header: Depth=1
                                        ;     Child Loop BB113_60 Depth 2
	v_lshl_add_u64 v[2:3], s[46:47], 0, v[6:7]
	s_and_b64 vcc, exec, s[0:1]
	v_mov_b64_e32 v[4:5], s[20:21]
	v_mov_b64_e32 v[14:15], s[40:41]
	s_cbranch_vccnz .LBB113_62
; %bb.59:                               ;   in Loop: Header=BB113_58 Depth=1
	s_mov_b64 s[48:49], 0
	v_mov_b64_e32 v[4:5], s[20:21]
	v_mov_b64_e32 v[14:15], s[40:41]
.LBB113_60:                             ;   Parent Loop BB113_58 Depth=1
                                        ; =>  This Inner Loop Header: Depth=2
	v_lshl_add_u64 v[10:11], v[14:15], 0, v[4:5]
	v_lshrrev_b32_e32 v8, 31, v11
	v_lshl_add_u64 v[10:11], v[10:11], 0, v[8:9]
	v_ashrrev_i64 v[10:11], 1, v[10:11]
	v_lshl_add_u64 v[12:13], v[10:11], 3, s[12:13]
	global_load_dwordx2 v[12:13], v[12:13], off
	s_waitcnt vmcnt(0)
	v_subrev_co_u32_e32 v12, vcc, s28, v12
	s_nop 1
	v_subbrev_co_u32_e32 v13, vcc, 0, v13, vcc
	v_cmp_lt_i64_e32 vcc, v[2:3], v[12:13]
	s_nop 1
	v_cndmask_b32_e32 v15, v15, v11, vcc
	v_cndmask_b32_e32 v14, v14, v10, vcc
	;; [unrolled: 1-line block ×4, first 2 shown]
	v_lshl_add_u64 v[10:11], v[14:15], 0, -1
	v_cmp_ge_i64_e32 vcc, v[4:5], v[14:15]
	v_cmp_eq_u64_e64 s[2:3], v[4:5], v[10:11]
	s_or_b64 s[2:3], vcc, s[2:3]
	s_and_b64 s[2:3], exec, s[2:3]
	s_or_b64 s[48:49], s[2:3], s[48:49]
	s_andn2_b64 exec, exec, s[48:49]
	s_cbranch_execnz .LBB113_60
; %bb.61:                               ;   in Loop: Header=BB113_58 Depth=1
	s_or_b64 exec, exec, s[48:49]
.LBB113_62:                             ;   in Loop: Header=BB113_58 Depth=1
	v_lshl_add_u64 v[10:11], v[14:15], 3, s[12:13]
	global_load_dwordx2 v[12:13], v[10:11], off
	v_lshl_add_u64 v[10:11], v[2:3], 2, s[14:15]
	global_load_dword v8, v[10:11], off
	v_lshl_add_u64 v[10:11], s[46:47], 0, v[0:1]
	v_cmp_le_i64_e32 vcc, s[42:43], v[2:3]
	s_waitcnt vmcnt(1)
	v_subrev_co_u32_e64 v16, s[2:3], s28, v12
	s_nop 1
	v_subbrev_co_u32_e64 v17, s[2:3], 0, v13, s[2:3]
	s_waitcnt vmcnt(0)
	v_subrev_u32_e32 v12, s28, v8
	v_cmp_lt_i64_e64 s[2:3], v[2:3], v[16:17]
	v_ashrrev_i32_e32 v13, 31, v12
	v_lshlrev_b32_e32 v8, 4, v10
	v_cndmask_b32_e64 v17, v15, v5, s[2:3]
	v_cndmask_b32_e64 v16, v14, v4, s[2:3]
	v_cmp_eq_u64_e64 s[2:3], v[16:17], v[12:13]
	s_or_b64 s[2:3], s[2:3], vcc
                                        ; implicit-def: $vgpr2_vgpr3
                                        ; implicit-def: $vgpr14_vgpr15
	s_and_saveexec_b64 s[48:49], s[2:3]
	s_xor_b64 s[2:3], exec, s[48:49]
	s_cbranch_execz .LBB113_64
; %bb.63:                               ;   in Loop: Header=BB113_58 Depth=1
	ds_read_b128 v[2:5], v8
                                        ; implicit-def: $vgpr8
                                        ; implicit-def: $vgpr16_vgpr17
	s_waitcnt lgkmcnt(0)
	v_xor_b32_e32 v15, 0x80000000, v5
	v_mov_b32_e32 v14, v4
.LBB113_64:                             ;   in Loop: Header=BB113_58 Depth=1
	s_andn2_saveexec_b64 s[48:49], s[2:3]
	s_cbranch_execz .LBB113_57
; %bb.65:                               ;   in Loop: Header=BB113_58 Depth=1
	v_cmp_gt_i64_e32 vcc, s[4:5], v[12:13]
	v_cmp_le_i64_e64 s[2:3], s[22:23], v[12:13]
	s_or_b64 s[2:3], vcc, s[2:3]
	v_lshl_add_u64 v[16:17], v[16:17], 4, s[18:19]
                                        ; implicit-def: $vgpr2_vgpr3
                                        ; implicit-def: $vgpr14_vgpr15
	s_and_saveexec_b64 s[50:51], s[2:3]
	s_xor_b64 s[2:3], exec, s[50:51]
	s_cbranch_execz .LBB113_67
; %bb.66:                               ;   in Loop: Header=BB113_58 Depth=1
	global_load_dwordx4 v[14:17], v[16:17], off
	ds_read_b128 v[2:5], v8
	v_lshl_add_u64 v[22:23], v[12:13], 4, s[24:25]
                                        ; implicit-def: $vgpr8
	s_waitcnt vmcnt(0) lgkmcnt(0)
	v_mul_f64 v[24:25], v[16:17], -v[4:5]
	v_mul_f64 v[16:17], v[16:17], v[2:3]
	v_fmac_f64_e32 v[24:25], v[2:3], v[14:15]
	v_fmac_f64_e32 v[16:17], v[4:5], v[14:15]
	global_atomic_add_f64 v[22:23], v[24:25], off
	global_atomic_add_f64 v[22:23], v[16:17], off offset:8
	v_xor_b32_e32 v15, 0x80000000, v5
	v_mov_b32_e32 v14, v4
                                        ; implicit-def: $vgpr16_vgpr17
.LBB113_67:                             ;   in Loop: Header=BB113_58 Depth=1
	s_andn2_saveexec_b64 s[2:3], s[2:3]
	s_cbranch_execz .LBB113_56
; %bb.68:                               ;   in Loop: Header=BB113_58 Depth=1
	global_load_dwordx4 v[14:17], v[16:17], off
	ds_read_b128 v[2:5], v8
	v_subrev_u32_e32 v8, s4, v12
	v_lshl_add_u32 v8, v8, 4, v18
	s_waitcnt vmcnt(0) lgkmcnt(0)
	v_mul_f64 v[22:23], v[16:17], -v[4:5]
	v_mul_f64 v[16:17], v[16:17], v[2:3]
	v_fmac_f64_e32 v[22:23], v[2:3], v[14:15]
	v_fmac_f64_e32 v[16:17], v[4:5], v[14:15]
	ds_add_f64 v8, v[22:23]
	ds_add_f64 v8, v[16:17] offset:8
	v_xor_b32_e32 v15, 0x80000000, v5
	v_mov_b32_e32 v14, v4
	s_branch .LBB113_56
.LBB113_69:
	s_or_b64 exec, exec, s[38:39]
                                        ; implicit-def: $vgpr8_vgpr9
                                        ; implicit-def: $vgpr6_vgpr7
.LBB113_70:
	s_andn2_saveexec_b64 s[16:17], s[16:17]
	s_cbranch_execz .LBB113_112
; %bb.71:
	s_add_u32 s36, s22, -1
	s_addc_u32 s37, s23, -1
	s_add_u32 s0, s22, -2
	s_addc_u32 s1, s23, -1
	s_cmp_lg_u64 s[20:21], s[0:1]
	s_cselect_b64 s[2:3], -1, 0
	s_cmp_eq_u64 s[20:21], s[0:1]
	v_mov_b64_e32 v[10:11], s[20:21]
	v_mov_b64_e32 v[12:13], s[36:37]
	s_cbranch_scc1 .LBB113_75
; %bb.72:
	s_mov_b64 s[38:39], 0
	v_mov_b64_e32 v[10:11], s[20:21]
	v_mov_b64_e32 v[12:13], s[36:37]
	v_mov_b32_e32 v3, 0
.LBB113_73:                             ; =>This Inner Loop Header: Depth=1
	v_lshl_add_u64 v[4:5], v[12:13], 0, v[10:11]
	v_lshrrev_b32_e32 v2, 31, v5
	v_lshl_add_u64 v[4:5], v[4:5], 0, v[2:3]
	v_ashrrev_i64 v[4:5], 1, v[4:5]
	v_lshl_add_u64 v[14:15], v[4:5], 3, s[12:13]
	global_load_dwordx2 v[14:15], v[14:15], off
	s_waitcnt vmcnt(0)
	v_subrev_co_u32_e32 v14, vcc, s28, v14
	s_nop 1
	v_subbrev_co_u32_e32 v15, vcc, 0, v15, vcc
	v_cmp_lt_i64_e32 vcc, v[6:7], v[14:15]
	s_nop 1
	v_cndmask_b32_e32 v13, v13, v5, vcc
	v_cndmask_b32_e32 v12, v12, v4, vcc
	;; [unrolled: 1-line block ×4, first 2 shown]
	v_lshl_add_u64 v[4:5], v[12:13], 0, -1
	v_cmp_ge_i64_e32 vcc, v[10:11], v[12:13]
	v_cmp_eq_u64_e64 s[0:1], v[10:11], v[4:5]
	s_or_b64 s[0:1], vcc, s[0:1]
	s_and_b64 s[0:1], exec, s[0:1]
	s_or_b64 s[38:39], s[0:1], s[38:39]
	s_andn2_b64 exec, exec, s[38:39]
	s_cbranch_execnz .LBB113_73
; %bb.74:
	s_or_b64 exec, exec, s[38:39]
.LBB113_75:
	v_lshl_add_u64 v[2:3], v[12:13], 3, s[12:13]
	global_load_dwordx2 v[4:5], v[2:3], off
	v_lshl_add_u64 v[2:3], v[6:7], 2, s[14:15]
	global_load_dword v16, v[2:3], off
	s_lshl_b64 s[0:1], s[22:23], 3
	s_add_u32 s14, s12, s0
	s_addc_u32 s15, s13, s1
	s_waitcnt vmcnt(1)
	v_subrev_co_u32_e32 v14, vcc, s28, v4
	s_nop 1
	v_subbrev_co_u32_e32 v15, vcc, 0, v5, vcc
	s_waitcnt vmcnt(0)
	v_subrev_u32_e32 v4, s28, v16
	v_cmp_lt_i64_e32 vcc, v[6:7], v[14:15]
	v_ashrrev_i32_e32 v5, 31, v4
	s_nop 0
	v_cndmask_b32_e32 v11, v13, v11, vcc
	v_cndmask_b32_e32 v10, v12, v10, vcc
	v_cmp_ne_u64_e32 vcc, v[10:11], v[4:5]
	s_and_saveexec_b64 s[38:39], vcc
	s_cbranch_execz .LBB113_81
; %bb.76:
	s_load_dwordx2 s[0:1], s[14:15], 0x0
	s_waitcnt lgkmcnt(0)
	s_sub_u32 s0, s0, s28
	s_subb_u32 s1, s1, 0
	v_cmp_gt_i64_e32 vcc, s[0:1], v[6:7]
	s_and_b64 exec, exec, vcc
	s_cbranch_execz .LBB113_81
; %bb.77:
	v_cmp_gt_i64_e32 vcc, s[4:5], v[4:5]
	v_cmp_le_i64_e64 s[0:1], s[22:23], v[4:5]
	s_or_b64 s[0:1], vcc, s[0:1]
	v_lshl_add_u64 v[10:11], v[10:11], 4, s[18:19]
	s_and_saveexec_b64 s[40:41], s[0:1]
	s_xor_b64 s[0:1], exec, s[40:41]
	s_cbranch_execz .LBB113_79
; %bb.78:
	global_load_dwordx4 v[10:13], v[10:11], off
	ds_read_b128 v[14:17], v20
	v_lshl_add_u64 v[18:19], v[4:5], 4, s[24:25]
	s_waitcnt vmcnt(0) lgkmcnt(0)
	v_mul_f64 v[22:23], v[12:13], -v[16:17]
	v_mul_f64 v[12:13], v[12:13], v[14:15]
	v_fmac_f64_e32 v[22:23], v[14:15], v[10:11]
	v_fmac_f64_e32 v[12:13], v[16:17], v[10:11]
	global_atomic_add_f64 v[18:19], v[22:23], off
	global_atomic_add_f64 v[18:19], v[12:13], off offset:8
                                        ; implicit-def: $vgpr10_vgpr11
.LBB113_79:
	s_andn2_saveexec_b64 s[0:1], s[0:1]
	s_cbranch_execz .LBB113_81
; %bb.80:
	global_load_dwordx4 v[10:13], v[10:11], off
	ds_read_b128 v[14:17], v20
	v_subrev_u32_e32 v18, s4, v4
	v_mov_b32_e32 v19, 0x4000
	v_lshl_add_u32 v21, v18, 4, v19
	s_waitcnt vmcnt(0) lgkmcnt(0)
	v_mul_f64 v[18:19], v[12:13], -v[16:17]
	v_mul_f64 v[12:13], v[12:13], v[14:15]
	v_fmac_f64_e32 v[18:19], v[14:15], v[10:11]
	v_fmac_f64_e32 v[12:13], v[16:17], v[10:11]
	ds_add_f64 v21, v[18:19]
	ds_add_f64 v21, v[12:13] offset:8
.LBB113_81:
	s_or_b64 exec, exec, s[38:39]
	v_lshl_add_u64 v[4:5], v[4:5], 4, s[18:19]
	global_load_dwordx4 v[14:17], v[4:5], off
	ds_read_b128 v[22:25], v20
	s_mov_b64 s[0:1], 0x100
	v_cndmask_b32_e64 v10, 0, 1, s[2:3]
	v_mov_b64_e32 v[12:13], s[20:21]
	v_lshl_add_u64 v[4:5], v[6:7], 0, s[0:1]
	v_cmp_ne_u32_e64 s[0:1], 1, v10
	s_andn2_b64 vcc, exec, s[2:3]
	s_waitcnt vmcnt(0) lgkmcnt(0)
	v_mul_f64 v[26:27], v[16:17], -v[24:25]
	v_mul_f64 v[28:29], v[16:17], v[22:23]
	v_fmac_f64_e32 v[26:27], v[22:23], v[14:15]
	v_fmac_f64_e32 v[28:29], v[24:25], v[14:15]
	v_mov_b64_e32 v[14:15], s[36:37]
	ds_write_b128 v20, v[26:29]
	s_cbranch_vccnz .LBB113_85
; %bb.82:
	s_mov_b64 s[38:39], 0
	v_mov_b64_e32 v[12:13], s[20:21]
	v_mov_b64_e32 v[14:15], s[36:37]
	v_mov_b32_e32 v11, 0
.LBB113_83:                             ; =>This Inner Loop Header: Depth=1
	v_lshl_add_u64 v[16:17], v[14:15], 0, v[12:13]
	v_lshrrev_b32_e32 v10, 31, v17
	v_lshl_add_u64 v[16:17], v[16:17], 0, v[10:11]
	v_ashrrev_i64 v[16:17], 1, v[16:17]
	v_lshl_add_u64 v[18:19], v[16:17], 3, s[12:13]
	global_load_dwordx2 v[18:19], v[18:19], off
	s_waitcnt vmcnt(0)
	v_subrev_co_u32_e32 v18, vcc, s28, v18
	s_nop 1
	v_subbrev_co_u32_e32 v19, vcc, 0, v19, vcc
	v_cmp_lt_i64_e32 vcc, v[4:5], v[18:19]
	s_nop 1
	v_cndmask_b32_e32 v15, v15, v17, vcc
	v_cndmask_b32_e32 v14, v14, v16, vcc
	;; [unrolled: 1-line block ×4, first 2 shown]
	v_lshl_add_u64 v[16:17], v[14:15], 0, -1
	v_cmp_ge_i64_e32 vcc, v[12:13], v[14:15]
	v_cmp_eq_u64_e64 s[2:3], v[12:13], v[16:17]
	s_or_b64 s[2:3], vcc, s[2:3]
	s_and_b64 s[2:3], exec, s[2:3]
	s_or_b64 s[38:39], s[2:3], s[38:39]
	s_andn2_b64 exec, exec, s[38:39]
	s_cbranch_execnz .LBB113_83
; %bb.84:
	s_or_b64 exec, exec, s[38:39]
.LBB113_85:
	v_lshl_add_u64 v[10:11], v[14:15], 3, s[12:13]
	global_load_dwordx2 v[16:17], v[10:11], off
	global_load_dword v18, v[2:3], off offset:1024
	s_waitcnt vmcnt(1)
	v_subrev_co_u32_e32 v16, vcc, s28, v16
	s_nop 1
	v_subbrev_co_u32_e32 v17, vcc, 0, v17, vcc
	s_waitcnt vmcnt(0)
	v_subrev_u32_e32 v10, s28, v18
	v_cmp_lt_i64_e32 vcc, v[4:5], v[16:17]
	v_ashrrev_i32_e32 v11, 31, v10
	s_nop 0
	v_cndmask_b32_e32 v13, v15, v13, vcc
	v_cndmask_b32_e32 v12, v14, v12, vcc
	v_cmp_ne_u64_e32 vcc, v[12:13], v[10:11]
	s_and_saveexec_b64 s[38:39], vcc
	s_cbranch_execz .LBB113_91
; %bb.86:
	s_load_dwordx2 s[2:3], s[14:15], 0x0
	s_waitcnt lgkmcnt(0)
	s_sub_u32 s2, s2, s28
	s_subb_u32 s3, s3, 0
	v_cmp_gt_i64_e32 vcc, s[2:3], v[4:5]
	s_and_b64 exec, exec, vcc
	s_cbranch_execz .LBB113_91
; %bb.87:
	v_cmp_gt_i64_e32 vcc, s[4:5], v[10:11]
	v_cmp_le_i64_e64 s[2:3], s[22:23], v[10:11]
	s_or_b64 s[2:3], vcc, s[2:3]
	v_lshl_add_u64 v[4:5], v[12:13], 4, s[18:19]
	s_and_saveexec_b64 s[40:41], s[2:3]
	s_xor_b64 s[2:3], exec, s[40:41]
	s_cbranch_execz .LBB113_89
; %bb.88:
	global_load_dwordx4 v[12:15], v[4:5], off
	ds_read_b128 v[16:19], v20 offset:4096
	v_lshl_add_u64 v[4:5], v[10:11], 4, s[24:25]
	s_waitcnt vmcnt(0) lgkmcnt(0)
	v_mul_f64 v[22:23], v[14:15], -v[18:19]
	v_mul_f64 v[14:15], v[14:15], v[16:17]
	v_fmac_f64_e32 v[22:23], v[16:17], v[12:13]
	v_fmac_f64_e32 v[14:15], v[18:19], v[12:13]
	global_atomic_add_f64 v[4:5], v[22:23], off
	global_atomic_add_f64 v[4:5], v[14:15], off offset:8
                                        ; implicit-def: $vgpr4_vgpr5
.LBB113_89:
	s_andn2_saveexec_b64 s[2:3], s[2:3]
	s_cbranch_execz .LBB113_91
; %bb.90:
	global_load_dwordx4 v[12:15], v[4:5], off
	ds_read_b128 v[16:19], v20 offset:4096
	v_subrev_u32_e32 v4, s4, v10
	v_mov_b32_e32 v5, 0x4000
	v_lshl_add_u32 v21, v4, 4, v5
	s_waitcnt vmcnt(0) lgkmcnt(0)
	v_mul_f64 v[4:5], v[14:15], -v[18:19]
	v_mul_f64 v[14:15], v[14:15], v[16:17]
	v_fmac_f64_e32 v[4:5], v[16:17], v[12:13]
	v_fmac_f64_e32 v[14:15], v[18:19], v[12:13]
	ds_add_f64 v21, v[4:5]
	ds_add_f64 v21, v[14:15] offset:8
.LBB113_91:
	s_or_b64 exec, exec, s[38:39]
	v_lshl_add_u64 v[4:5], v[10:11], 4, s[18:19]
	global_load_dwordx4 v[12:15], v[4:5], off
	ds_read_b128 v[16:19], v20 offset:4096
	s_mov_b64 s[2:3], 0x200
	s_and_b64 vcc, exec, s[0:1]
	v_mov_b64_e32 v[10:11], s[20:21]
	v_lshl_add_u64 v[4:5], v[6:7], 0, s[2:3]
	s_waitcnt vmcnt(0) lgkmcnt(0)
	v_mul_f64 v[22:23], v[14:15], -v[18:19]
	v_mul_f64 v[24:25], v[14:15], v[16:17]
	v_fmac_f64_e32 v[22:23], v[16:17], v[12:13]
	v_fmac_f64_e32 v[24:25], v[18:19], v[12:13]
	v_mov_b64_e32 v[12:13], s[36:37]
	ds_write_b128 v20, v[22:25] offset:4096
	s_cbranch_vccnz .LBB113_95
; %bb.92:
	s_mov_b64 s[38:39], 0
	v_mov_b64_e32 v[10:11], s[20:21]
	v_mov_b64_e32 v[12:13], s[36:37]
	v_mov_b32_e32 v7, 0
.LBB113_93:                             ; =>This Inner Loop Header: Depth=1
	v_lshl_add_u64 v[14:15], v[12:13], 0, v[10:11]
	v_lshrrev_b32_e32 v6, 31, v15
	v_lshl_add_u64 v[14:15], v[14:15], 0, v[6:7]
	v_ashrrev_i64 v[14:15], 1, v[14:15]
	v_lshl_add_u64 v[16:17], v[14:15], 3, s[12:13]
	global_load_dwordx2 v[16:17], v[16:17], off
	s_waitcnt vmcnt(0)
	v_subrev_co_u32_e32 v16, vcc, s28, v16
	s_nop 1
	v_subbrev_co_u32_e32 v17, vcc, 0, v17, vcc
	v_cmp_lt_i64_e32 vcc, v[4:5], v[16:17]
	s_nop 1
	v_cndmask_b32_e32 v13, v13, v15, vcc
	v_cndmask_b32_e32 v12, v12, v14, vcc
	;; [unrolled: 1-line block ×4, first 2 shown]
	v_lshl_add_u64 v[14:15], v[12:13], 0, -1
	v_cmp_ge_i64_e32 vcc, v[10:11], v[12:13]
	v_cmp_eq_u64_e64 s[2:3], v[10:11], v[14:15]
	s_or_b64 s[2:3], vcc, s[2:3]
	s_and_b64 s[2:3], exec, s[2:3]
	s_or_b64 s[38:39], s[2:3], s[38:39]
	s_andn2_b64 exec, exec, s[38:39]
	s_cbranch_execnz .LBB113_93
; %bb.94:
	s_or_b64 exec, exec, s[38:39]
.LBB113_95:
	v_lshl_add_u64 v[6:7], v[12:13], 3, s[12:13]
	global_load_dwordx2 v[14:15], v[6:7], off
	global_load_dword v16, v[2:3], off offset:2048
	s_waitcnt vmcnt(1)
	v_subrev_co_u32_e32 v14, vcc, s28, v14
	s_nop 1
	v_subbrev_co_u32_e32 v15, vcc, 0, v15, vcc
	s_waitcnt vmcnt(0)
	v_subrev_u32_e32 v6, s28, v16
	v_cmp_lt_i64_e32 vcc, v[4:5], v[14:15]
	v_ashrrev_i32_e32 v7, 31, v6
	s_nop 0
	v_cndmask_b32_e32 v11, v13, v11, vcc
	v_cndmask_b32_e32 v10, v12, v10, vcc
	v_cmp_ne_u64_e32 vcc, v[10:11], v[6:7]
	s_and_saveexec_b64 s[38:39], vcc
	s_cbranch_execz .LBB113_101
; %bb.96:
	s_load_dwordx2 s[2:3], s[14:15], 0x0
	s_waitcnt lgkmcnt(0)
	s_sub_u32 s2, s2, s28
	s_subb_u32 s3, s3, 0
	v_cmp_gt_i64_e32 vcc, s[2:3], v[4:5]
	s_and_b64 exec, exec, vcc
	s_cbranch_execz .LBB113_101
; %bb.97:
	v_cmp_gt_i64_e32 vcc, s[4:5], v[6:7]
	v_cmp_le_i64_e64 s[2:3], s[22:23], v[6:7]
	s_or_b64 s[2:3], vcc, s[2:3]
	v_lshl_add_u64 v[4:5], v[10:11], 4, s[18:19]
	s_and_saveexec_b64 s[40:41], s[2:3]
	s_xor_b64 s[2:3], exec, s[40:41]
	s_cbranch_execz .LBB113_99
; %bb.98:
	global_load_dwordx4 v[10:13], v[4:5], off
	ds_read_b128 v[14:17], v20 offset:8192
	v_lshl_add_u64 v[4:5], v[6:7], 4, s[24:25]
	s_waitcnt vmcnt(0) lgkmcnt(0)
	v_mul_f64 v[18:19], v[12:13], -v[16:17]
	v_mul_f64 v[12:13], v[12:13], v[14:15]
	v_fmac_f64_e32 v[18:19], v[14:15], v[10:11]
	v_fmac_f64_e32 v[12:13], v[16:17], v[10:11]
	global_atomic_add_f64 v[4:5], v[18:19], off
	global_atomic_add_f64 v[4:5], v[12:13], off offset:8
                                        ; implicit-def: $vgpr4_vgpr5
.LBB113_99:
	s_andn2_saveexec_b64 s[2:3], s[2:3]
	s_cbranch_execz .LBB113_101
; %bb.100:
	global_load_dwordx4 v[10:13], v[4:5], off
	ds_read_b128 v[14:17], v20 offset:8192
	v_subrev_u32_e32 v4, s4, v6
	v_mov_b32_e32 v5, 0x4000
	v_lshl_add_u32 v18, v4, 4, v5
	s_waitcnt vmcnt(0) lgkmcnt(0)
	v_mul_f64 v[4:5], v[12:13], -v[16:17]
	v_mul_f64 v[12:13], v[12:13], v[14:15]
	v_fmac_f64_e32 v[4:5], v[14:15], v[10:11]
	v_fmac_f64_e32 v[12:13], v[16:17], v[10:11]
	ds_add_f64 v18, v[4:5]
	ds_add_f64 v18, v[12:13] offset:8
.LBB113_101:
	s_or_b64 exec, exec, s[38:39]
	v_lshl_add_u64 v[4:5], v[6:7], 4, s[18:19]
	global_load_dwordx4 v[10:13], v[4:5], off
	ds_read_b128 v[14:17], v20 offset:8192
	s_and_b64 vcc, exec, s[0:1]
	v_mov_b64_e32 v[4:5], s[20:21]
	v_mov_b64_e32 v[6:7], s[36:37]
	s_waitcnt vmcnt(0) lgkmcnt(0)
	v_mul_f64 v[22:23], v[12:13], -v[16:17]
	v_mul_f64 v[24:25], v[12:13], v[14:15]
	v_fmac_f64_e32 v[22:23], v[14:15], v[10:11]
	v_fmac_f64_e32 v[24:25], v[16:17], v[10:11]
	ds_write_b128 v20, v[22:25] offset:8192
	s_cbranch_vccnz .LBB113_105
; %bb.102:
	s_mov_b64 s[2:3], 0
	v_mov_b64_e32 v[4:5], s[20:21]
	v_mov_b64_e32 v[6:7], s[36:37]
	v_mov_b32_e32 v11, 0
.LBB113_103:                            ; =>This Inner Loop Header: Depth=1
	v_lshl_add_u64 v[12:13], v[6:7], 0, v[4:5]
	v_lshrrev_b32_e32 v10, 31, v13
	v_lshl_add_u64 v[12:13], v[12:13], 0, v[10:11]
	v_ashrrev_i64 v[12:13], 1, v[12:13]
	v_lshl_add_u64 v[14:15], v[12:13], 3, s[12:13]
	global_load_dwordx2 v[14:15], v[14:15], off
	s_waitcnt vmcnt(0)
	v_subrev_co_u32_e32 v14, vcc, s28, v14
	s_nop 1
	v_subbrev_co_u32_e32 v15, vcc, 0, v15, vcc
	v_cmp_lt_i64_e32 vcc, v[8:9], v[14:15]
	s_nop 1
	v_cndmask_b32_e32 v7, v7, v13, vcc
	v_cndmask_b32_e32 v6, v6, v12, vcc
	;; [unrolled: 1-line block ×4, first 2 shown]
	v_lshl_add_u64 v[12:13], v[6:7], 0, -1
	v_cmp_ge_i64_e32 vcc, v[4:5], v[6:7]
	v_cmp_eq_u64_e64 s[0:1], v[4:5], v[12:13]
	s_or_b64 s[0:1], vcc, s[0:1]
	s_and_b64 s[0:1], exec, s[0:1]
	s_or_b64 s[2:3], s[0:1], s[2:3]
	s_andn2_b64 exec, exec, s[2:3]
	s_cbranch_execnz .LBB113_103
; %bb.104:
	s_or_b64 exec, exec, s[2:3]
.LBB113_105:
	global_load_dword v12, v[2:3], off offset:3072
	v_lshl_add_u64 v[2:3], v[6:7], 3, s[12:13]
	global_load_dwordx2 v[10:11], v[2:3], off
	s_waitcnt vmcnt(1)
	v_subrev_u32_e32 v2, s28, v12
	v_ashrrev_i32_e32 v3, 31, v2
	s_waitcnt vmcnt(0)
	v_subrev_co_u32_e32 v10, vcc, s28, v10
	s_nop 1
	v_subbrev_co_u32_e32 v11, vcc, 0, v11, vcc
	v_cmp_lt_i64_e32 vcc, v[8:9], v[10:11]
	s_nop 1
	v_cndmask_b32_e32 v5, v7, v5, vcc
	v_cndmask_b32_e32 v4, v6, v4, vcc
	v_cmp_ne_u64_e32 vcc, v[4:5], v[2:3]
	s_and_saveexec_b64 s[2:3], vcc
	s_cbranch_execz .LBB113_111
; %bb.106:
	s_load_dwordx2 s[0:1], s[14:15], 0x0
	s_waitcnt lgkmcnt(0)
	s_sub_u32 s0, s0, s28
	s_subb_u32 s1, s1, 0
	v_cmp_gt_i64_e32 vcc, s[0:1], v[8:9]
	s_and_b64 exec, exec, vcc
	s_cbranch_execz .LBB113_111
; %bb.107:
	v_cmp_gt_i64_e32 vcc, s[4:5], v[2:3]
	v_cmp_le_i64_e64 s[0:1], s[22:23], v[2:3]
	s_or_b64 s[0:1], vcc, s[0:1]
	v_lshl_add_u64 v[4:5], v[4:5], 4, s[18:19]
	s_and_saveexec_b64 s[14:15], s[0:1]
	s_xor_b64 s[0:1], exec, s[14:15]
	s_cbranch_execz .LBB113_109
; %bb.108:
	global_load_dwordx4 v[4:7], v[4:5], off
	ds_read_b128 v[8:11], v20 offset:12288
	v_lshl_add_u64 v[12:13], v[2:3], 4, s[24:25]
	s_waitcnt vmcnt(0) lgkmcnt(0)
	v_mul_f64 v[14:15], v[6:7], -v[10:11]
	v_mul_f64 v[6:7], v[6:7], v[8:9]
	v_fmac_f64_e32 v[14:15], v[8:9], v[4:5]
	v_fmac_f64_e32 v[6:7], v[10:11], v[4:5]
	global_atomic_add_f64 v[12:13], v[14:15], off
	global_atomic_add_f64 v[12:13], v[6:7], off offset:8
                                        ; implicit-def: $vgpr4_vgpr5
.LBB113_109:
	s_andn2_saveexec_b64 s[0:1], s[0:1]
	s_cbranch_execz .LBB113_111
; %bb.110:
	global_load_dwordx4 v[4:7], v[4:5], off
	ds_read_b128 v[8:11], v20 offset:12288
	v_subrev_u32_e32 v12, s4, v2
	v_mov_b32_e32 v13, 0x4000
	v_lshl_add_u32 v14, v12, 4, v13
	s_waitcnt vmcnt(0) lgkmcnt(0)
	v_mul_f64 v[12:13], v[6:7], -v[10:11]
	v_mul_f64 v[6:7], v[6:7], v[8:9]
	v_fmac_f64_e32 v[12:13], v[8:9], v[4:5]
	v_fmac_f64_e32 v[6:7], v[10:11], v[4:5]
	ds_add_f64 v14, v[12:13]
	ds_add_f64 v14, v[6:7] offset:8
.LBB113_111:
	s_or_b64 exec, exec, s[2:3]
	v_lshl_add_u64 v[2:3], v[2:3], 4, s[18:19]
	global_load_dwordx4 v[2:5], v[2:3], off
	ds_read_b128 v[6:9], v20 offset:12288
	s_waitcnt vmcnt(0) lgkmcnt(0)
	v_mul_f64 v[10:11], v[4:5], -v[8:9]
	v_mul_f64 v[12:13], v[4:5], v[6:7]
	v_fmac_f64_e32 v[10:11], v[6:7], v[2:3]
	v_fmac_f64_e32 v[12:13], v[8:9], v[2:3]
	ds_write_b128 v20, v[10:13] offset:12288
.LBB113_112:
	s_or_b64 exec, exec, s[16:17]
	v_mov_b64_e32 v[2:3], s[6:7]
	v_cmp_lt_i64_e32 vcc, s[22:23], v[2:3]
	s_and_b64 s[0:1], vcc, exec
	s_cselect_b32 s16, s22, s6
	s_cselect_b32 s0, s23, s7
	s_sub_u32 s2, s16, s26
	s_subb_u32 s3, s0, s27
	v_cmp_gt_i64_e32 vcc, s[2:3], v[0:1]
	s_waitcnt lgkmcnt(0)
	s_barrier
	s_and_saveexec_b64 s[0:1], vcc
	s_cbranch_execz .LBB113_115
; %bb.113:
	v_mov_b64_e32 v[2:3], s[6:7]
	v_cmp_gt_i64_e32 vcc, s[22:23], v[2:3]
	s_and_b64 s[4:5], vcc, exec
	s_cselect_b32 s5, s23, s7
	s_cselect_b32 s4, s22, s6
	v_lshlrev_b32_e32 v2, 4, v0
	v_mov_b32_e32 v3, 0
	v_lshl_add_u64 v[2:3], s[4:5], 4, v[2:3]
	s_lshl_b64 s[4:5], s[6:7], 4
	v_mov_b32_e32 v4, s5
	v_subrev_co_u32_e32 v2, vcc, s4, v2
	v_or_b32_e32 v2, 8, v2
	s_nop 0
	v_subb_co_u32_e32 v3, vcc, v3, v4, vcc
	v_mov_b32_e32 v4, 0x4000
	v_lshl_add_u64 v[2:3], s[24:25], 0, v[2:3]
	v_lshl_add_u32 v6, v0, 4, v4
	s_mov_b64 s[4:5], 0
	s_mov_b64 s[6:7], 0x100
	;; [unrolled: 1-line block ×3, first 2 shown]
	v_mov_b64_e32 v[4:5], v[0:1]
.LBB113_114:                            ; =>This Inner Loop Header: Depth=1
	ds_read2_b64 v[8:11], v6 offset1:1
	v_lshl_add_u64 v[4:5], v[4:5], 0, s[6:7]
	v_cmp_le_i64_e32 vcc, s[2:3], v[4:5]
	v_add_u32_e32 v6, 0x1000, v6
	s_or_b64 s[4:5], vcc, s[4:5]
	s_waitcnt lgkmcnt(0)
	global_atomic_add_f64 v[2:3], v[8:9], off offset:-8
	global_atomic_add_f64 v[2:3], v[10:11], off
	v_lshl_add_u64 v[2:3], v[2:3], 0, s[14:15]
	s_andn2_b64 exec, exec, s[4:5]
	s_cbranch_execnz .LBB113_114
.LBB113_115:
	s_or_b64 exec, exec, s[0:1]
	s_add_i32 s0, s34, -1
	s_ashr_i32 s1, s0, 1
	s_or_b32 s0, s1, s0
	s_ashr_i32 s1, s0, 2
	s_or_b32 s0, s1, s0
	s_ashr_i32 s1, s0, 4
	s_or_b32 s0, s1, s0
	s_ashr_i32 s1, s0, 8
	s_or_b32 s0, s1, s0
	s_ashr_i32 s1, s0, 16
	s_or_b32 s0, s1, s0
	s_add_i32 s0, s0, 1
	s_ashr_i32 s3, s0, 1
	v_lshl_add_u64 v[6:7], s[20:21], 0, v[0:1]
	s_cmp_gt_i32 s3, 1
	s_mov_b64 s[0:1], -1
	s_barrier
	s_cbranch_scc1 .LBB113_124
; %bb.116:
	v_cmp_gt_i64_e32 vcc, s[22:23], v[6:7]
	s_and_saveexec_b64 s[0:1], vcc
	s_cbranch_execz .LBB113_123
; %bb.117:
	s_sub_i32 s4, s16, s22
	s_lshl_b32 s4, s4, 4
	s_add_i32 s16, s4, 0x4000
	s_lshl_b32 s4, s8, 4
	s_sub_i32 s17, 0, s4
	s_mov_b64 s[4:5], 0
	v_mov_b64_e32 v[8:9], v[6:7]
	s_branch .LBB113_119
.LBB113_118:                            ;   in Loop: Header=BB113_119 Depth=1
	s_or_b64 exec, exec, s[6:7]
	v_lshl_add_u32 v2, v8, 4, s16
	ds_read2_b64 v[2:5], v2 offset1:1
	s_waitcnt lgkmcnt(0)
	v_add_f64 v[2:3], v[12:13], v[2:3]
	v_add_f64 v[4:5], v[10:11], v[4:5]
	v_lshl_add_u64 v[10:11], v[8:9], 4, s[24:25]
	global_atomic_add_f64 v[10:11], v[2:3], off
	global_atomic_add_f64 v[10:11], v[4:5], off offset:8
	v_lshl_add_u64 v[8:9], v[8:9], 0, s[30:31]
	v_cmp_le_i64_e32 vcc, s[22:23], v[8:9]
	s_or_b64 s[4:5], vcc, s[4:5]
	s_andn2_b64 exec, exec, s[4:5]
	s_cbranch_execz .LBB113_123
.LBB113_119:                            ; =>This Loop Header: Depth=1
                                        ;     Child Loop BB113_121 Depth 2
	v_lshl_add_u64 v[2:3], v[8:9], 3, s[12:13]
	global_load_dwordx4 v[2:5], v[2:3], off
	v_mov_b64_e32 v[10:11], 0
	v_mov_b64_e32 v[12:13], 0
	s_waitcnt vmcnt(0)
	v_cmp_lt_i64_e32 vcc, v[2:3], v[4:5]
	s_and_saveexec_b64 s[6:7], vcc
	s_cbranch_execz .LBB113_118
; %bb.120:                              ;   in Loop: Header=BB113_119 Depth=1
	v_mov_b32_e32 v10, s9
	v_subrev_co_u32_e32 v4, vcc, s8, v4
	s_mov_b64 s[14:15], 0
	s_nop 0
	v_subb_co_u32_e32 v5, vcc, v5, v10, vcc
	v_subrev_co_u32_e32 v14, vcc, s8, v2
	v_lshl_add_u32 v2, v2, 4, s17
	s_nop 0
	v_subb_co_u32_e32 v15, vcc, v3, v10, vcc
	v_mov_b64_e32 v[10:11], 0
	v_mov_b64_e32 v[12:13], 0
.LBB113_121:                            ;   Parent Loop BB113_119 Depth=1
                                        ; =>  This Inner Loop Header: Depth=2
	ds_read_b128 v[16:19], v2
	v_lshl_add_u64 v[14:15], v[14:15], 0, 1
	v_cmp_ge_i64_e32 vcc, v[14:15], v[4:5]
	v_add_u32_e32 v2, 16, v2
	s_or_b64 s[14:15], vcc, s[14:15]
	s_waitcnt lgkmcnt(0)
	v_add_f64 v[12:13], v[12:13], v[16:17]
	v_add_f64 v[10:11], v[10:11], v[18:19]
	s_andn2_b64 exec, exec, s[14:15]
	s_cbranch_execnz .LBB113_121
; %bb.122:                              ;   in Loop: Header=BB113_119 Depth=1
	s_or_b64 exec, exec, s[14:15]
	s_branch .LBB113_118
.LBB113_123:
	s_or_b64 exec, exec, s[0:1]
	s_mov_b64 s[0:1], 0
.LBB113_124:
	s_andn2_b64 vcc, exec, s[0:1]
	s_cbranch_vccnz .LBB113_141
; %bb.125:
	v_cvt_f32_u32_e32 v2, s3
	s_sub_i32 s12, 0, s3
	v_mov_b32_e32 v3, 0
	v_rcp_iflag_f32_e32 v2, v2
	s_nop 0
	v_mul_f32_e32 v2, 0x4f7ffffe, v2
	v_cvt_u32_f32_e32 v2, v2
	v_mul_lo_u32 v4, s12, v2
	v_mul_hi_u32 v4, v2, v4
	v_add_u32_e32 v2, v2, v4
	v_mul_hi_u32 v2, v0, v2
	v_mul_lo_u32 v4, v2, s3
	v_sub_u32_e32 v4, v0, v4
	v_add_u32_e32 v5, 1, v2
	v_cmp_le_u32_e32 vcc, s3, v4
	s_nop 1
	v_cndmask_b32_e32 v2, v2, v5, vcc
	v_subrev_u32_e32 v5, s3, v4
	v_cndmask_b32_e32 v4, v4, v5, vcc
	v_add_u32_e32 v5, 1, v2
	v_cmp_le_u32_e32 vcc, s3, v4
	s_nop 1
	v_cndmask_b32_e32 v2, v2, v5, vcc
	v_lshl_add_u64 v[4:5], v[2:3], 3, s[10:11]
	global_load_dwordx4 v[8:11], v[4:5], off
	v_mov_b32_e32 v4, s9
	v_mov_b32_e32 v5, s9
	s_waitcnt vmcnt(0)
	v_subrev_co_u32_e32 v8, vcc, s8, v8
	s_nop 1
	v_subb_co_u32_e32 v9, vcc, v9, v4, vcc
	v_subrev_co_u32_e32 v16, vcc, s8, v10
	v_mov_b32_e32 v10, v3
	s_nop 0
	v_subb_co_u32_e32 v17, vcc, v11, v5, vcc
	v_sub_co_u32_e32 v4, vcc, v16, v8
	s_nop 1
	v_subb_co_u32_e32 v5, vcc, v17, v9, vcc
	v_mov_b32_e32 v11, v5
	v_cmp_ne_u64_e32 vcc, 0, v[10:11]
                                        ; implicit-def: $vgpr10_vgpr11
	s_and_saveexec_b64 s[0:1], vcc
	s_xor_b64 s[4:5], exec, s[0:1]
	s_cbranch_execz .LBB113_127
; %bb.126:
	s_add_u32 s0, s3, 0
	s_addc_u32 s1, 0, 0
	s_xor_b64 s[6:7], s[0:1], 0
	v_cvt_f32_u32_e32 v10, s6
	v_cvt_f32_u32_e32 v11, s7
	s_sub_u32 s8, 0, s6
	s_subb_u32 s9, 0, s7
	v_ashrrev_i32_e32 v12, 31, v5
	v_fmamk_f32 v10, v11, 0x4f800000, v10
	v_rcp_f32_e32 v10, v10
	v_mov_b32_e32 v13, v12
	v_lshl_add_u64 v[4:5], v[4:5], 0, v[12:13]
	v_xor_b32_e32 v18, v4, v12
	v_mul_f32_e32 v10, 0x5f7ffffc, v10
	v_mul_f32_e32 v11, 0x2f800000, v10
	v_trunc_f32_e32 v11, v11
	v_fmamk_f32 v10, v11, 0xcf800000, v10
	v_cvt_u32_f32_e32 v11, v11
	v_cvt_u32_f32_e32 v10, v10
	v_xor_b32_e32 v13, v5, v12
	v_readfirstlane_b32 s10, v11
	v_readfirstlane_b32 s0, v10
	s_mul_i32 s1, s8, s10
	s_mul_hi_u32 s13, s8, s0
	s_mul_i32 s11, s9, s0
	s_add_i32 s1, s13, s1
	s_mul_i32 s14, s8, s0
	s_add_i32 s1, s1, s11
	s_mul_i32 s13, s0, s1
	s_mul_hi_u32 s15, s0, s14
	s_mul_hi_u32 s11, s0, s1
	s_add_u32 s13, s15, s13
	s_addc_u32 s11, 0, s11
	s_mul_hi_u32 s16, s10, s14
	s_mul_i32 s14, s10, s14
	s_add_u32 s13, s13, s14
	s_mul_hi_u32 s15, s10, s1
	s_addc_u32 s11, s11, s16
	s_addc_u32 s13, s15, 0
	s_mul_i32 s1, s10, s1
	s_add_u32 s1, s11, s1
	s_addc_u32 s11, 0, s13
	s_add_u32 s13, s0, s1
	s_cselect_b64 s[0:1], -1, 0
	s_cmp_lg_u64 s[0:1], 0
	s_addc_u32 s10, s10, s11
	s_mul_i32 s0, s8, s10
	s_mul_hi_u32 s1, s8, s13
	s_add_i32 s0, s1, s0
	s_mul_i32 s9, s9, s13
	s_add_i32 s0, s0, s9
	s_mul_i32 s8, s8, s13
	s_mul_hi_u32 s9, s10, s8
	s_mul_i32 s11, s10, s8
	s_mul_i32 s15, s13, s0
	s_mul_hi_u32 s8, s13, s8
	s_mul_hi_u32 s14, s13, s0
	s_add_u32 s8, s8, s15
	s_addc_u32 s14, 0, s14
	s_add_u32 s8, s8, s11
	s_mul_hi_u32 s1, s10, s0
	s_addc_u32 s8, s14, s9
	s_addc_u32 s1, s1, 0
	s_mul_i32 s0, s10, s0
	s_add_u32 s0, s8, s0
	s_addc_u32 s8, 0, s1
	s_add_u32 s9, s13, s0
	s_cselect_b64 s[0:1], -1, 0
	s_cmp_lg_u64 s[0:1], 0
	s_addc_u32 s8, s10, s8
	v_mad_u64_u32 v[4:5], s[0:1], v18, s8, 0
	v_mul_hi_u32 v10, v18, s9
	v_mov_b32_e32 v11, v3
	v_lshl_add_u64 v[4:5], v[10:11], 0, v[4:5]
	v_mad_u64_u32 v[14:15], s[0:1], v13, s9, 0
	v_add_co_u32_e32 v4, vcc, v4, v14
	v_mad_u64_u32 v[10:11], s[0:1], v13, s8, 0
	s_nop 0
	v_addc_co_u32_e32 v4, vcc, v5, v15, vcc
	v_mov_b32_e32 v5, v3
	s_nop 0
	v_addc_co_u32_e32 v11, vcc, 0, v11, vcc
	v_lshl_add_u64 v[4:5], v[4:5], 0, v[10:11]
	v_mul_lo_u32 v14, s7, v4
	v_mul_lo_u32 v15, s6, v5
	v_mad_u64_u32 v[10:11], s[0:1], s6, v4, 0
	v_add3_u32 v19, v11, v15, v14
	v_sub_u32_e32 v11, v13, v19
	v_mov_b32_e32 v14, s7
	v_sub_co_u32_e32 v18, vcc, v18, v10
	s_nop 1
	v_subb_co_u32_e64 v10, s[0:1], v11, v14, vcc
	v_subrev_co_u32_e64 v11, s[0:1], s6, v18
	v_subb_co_u32_e32 v13, vcc, v13, v19, vcc
	s_nop 0
	v_subbrev_co_u32_e64 v10, s[0:1], 0, v10, s[0:1]
	v_cmp_le_u32_e64 s[0:1], s7, v10
	v_cmp_le_u32_e32 vcc, s7, v13
	s_nop 0
	v_cndmask_b32_e64 v14, 0, -1, s[0:1]
	v_cmp_le_u32_e64 s[0:1], s6, v11
	s_nop 1
	v_cndmask_b32_e64 v11, 0, -1, s[0:1]
	v_cmp_eq_u32_e64 s[0:1], s7, v10
	s_nop 1
	v_cndmask_b32_e64 v21, v14, v11, s[0:1]
	v_lshl_add_u64 v[10:11], v[4:5], 0, 2
	v_lshl_add_u64 v[14:15], v[4:5], 0, 1
	v_cmp_ne_u32_e64 s[0:1], 0, v21
	s_nop 1
	v_cndmask_b32_e64 v11, v15, v11, s[0:1]
	v_cndmask_b32_e64 v15, 0, -1, vcc
	v_cmp_le_u32_e32 vcc, s6, v18
	v_cndmask_b32_e64 v10, v14, v10, s[0:1]
	s_nop 0
	v_cndmask_b32_e64 v18, 0, -1, vcc
	v_cmp_eq_u32_e32 vcc, s7, v13
	s_nop 1
	v_cndmask_b32_e32 v13, v15, v18, vcc
	v_cmp_ne_u32_e32 vcc, 0, v13
	s_nop 1
	v_cndmask_b32_e32 v4, v4, v10, vcc
	v_cndmask_b32_e32 v5, v5, v11, vcc
	v_xor_b32_e32 v4, v4, v12
	v_xor_b32_e32 v5, v5, v12
	v_sub_co_u32_e32 v10, vcc, v4, v12
                                        ; implicit-def: $vgpr4
	s_nop 1
	v_subb_co_u32_e32 v11, vcc, v5, v12, vcc
.LBB113_127:
	s_andn2_saveexec_b64 s[0:1], s[4:5]
	s_cbranch_execz .LBB113_129
; %bb.128:
	v_cvt_f32_u32_e32 v5, s3
	v_rcp_iflag_f32_e32 v5, v5
	s_nop 0
	v_mul_f32_e32 v5, 0x4f7ffffe, v5
	v_cvt_u32_f32_e32 v5, v5
	v_mul_lo_u32 v10, s12, v5
	v_mul_hi_u32 v10, v5, v10
	v_add_u32_e32 v5, v5, v10
	v_mul_hi_u32 v5, v4, v5
	v_mul_lo_u32 v10, v5, s3
	v_sub_u32_e32 v4, v4, v10
	v_add_u32_e32 v11, 1, v5
	v_subrev_u32_e32 v10, s3, v4
	v_cmp_le_u32_e32 vcc, s3, v4
	s_nop 1
	v_cndmask_b32_e32 v4, v4, v10, vcc
	v_cndmask_b32_e32 v5, v5, v11, vcc
	v_add_u32_e32 v10, 1, v5
	v_cmp_le_u32_e32 vcc, s3, v4
	v_mov_b32_e32 v11, 0
	s_nop 0
	v_cndmask_b32_e32 v10, v5, v10, vcc
.LBB113_129:
	s_or_b64 exec, exec, s[0:1]
	v_cmp_gt_i64_e32 vcc, s[26:27], v[2:3]
	v_mov_b64_e32 v[4:5], 0
	v_mov_b64_e32 v[2:3], 0
	s_and_saveexec_b64 s[0:1], vcc
	s_cbranch_execz .LBB113_137
; %bb.130:
	s_add_i32 s4, s3, -1
	v_and_b32_e32 v12, s4, v0
	s_mov_b64 s[4:5], 0
	v_cmp_lt_i64_e32 vcc, 0, v[10:11]
	v_mov_b64_e32 v[4:5], 0
	v_lshlrev_b32_e32 v18, 4, v12
	v_mov_b64_e32 v[2:3], 0
	s_and_saveexec_b64 s[6:7], vcc
	s_cbranch_execz .LBB113_134
; %bb.131:
	v_mov_b64_e32 v[4:5], 0
	v_lshl_add_u32 v13, v8, 4, v18
	s_lshl_b32 s8, s3, 4
	v_mov_b64_e32 v[14:15], v[10:11]
	v_mov_b64_e32 v[2:3], v[4:5]
.LBB113_132:                            ; =>This Inner Loop Header: Depth=1
	ds_read_b128 v[22:25], v13
	v_lshl_add_u64 v[14:15], v[14:15], 0, -1
	v_cmp_eq_u64_e32 vcc, 0, v[14:15]
	v_add_u32_e32 v13, s8, v13
	s_or_b64 s[4:5], vcc, s[4:5]
	s_waitcnt lgkmcnt(0)
	v_add_f64 v[2:3], v[2:3], v[22:23]
	v_add_f64 v[4:5], v[4:5], v[24:25]
	s_andn2_b64 exec, exec, s[4:5]
	s_cbranch_execnz .LBB113_132
; %bb.133:
	s_or_b64 exec, exec, s[4:5]
.LBB113_134:
	s_or_b64 exec, exec, s[6:7]
	v_mad_u64_u32 v[8:9], s[4:5], v10, s3, v[8:9]
	v_mov_b32_e32 v10, v9
	v_mad_u64_u32 v[10:11], s[4:5], v11, s3, v[10:11]
	v_sub_co_u32_e32 v14, vcc, v16, v8
	v_mov_b32_e32 v13, 0
	s_nop 0
	v_subb_co_u32_e32 v15, vcc, v17, v10, vcc
	v_cmp_gt_i64_e32 vcc, v[14:15], v[12:13]
	s_and_saveexec_b64 s[4:5], vcc
	s_cbranch_execz .LBB113_136
; %bb.135:
	v_lshl_add_u32 v8, v8, 4, v18
	ds_read_b128 v[8:11], v8
	s_waitcnt lgkmcnt(0)
	v_add_f64 v[2:3], v[2:3], v[8:9]
	v_add_f64 v[4:5], v[4:5], v[10:11]
.LBB113_136:
	s_or_b64 exec, exec, s[4:5]
.LBB113_137:
	s_or_b64 exec, exec, s[0:1]
	v_cmp_gt_i64_e32 vcc, s[26:27], v[0:1]
	s_barrier
	ds_write_b128 v20, v[2:5]
	s_waitcnt lgkmcnt(0)
	s_barrier
	s_and_b64 exec, exec, vcc
	s_cbranch_execz .LBB113_141
; %bb.138:
	v_mul_lo_u32 v1, s3, v0
	v_lshlrev_b32_e32 v1, 4, v1
	v_mov_b64_e32 v[2:3], 0
	v_mov_b64_e32 v[4:5], 0
.LBB113_139:                            ; =>This Inner Loop Header: Depth=1
	ds_read_b128 v[8:11], v1
	s_add_i32 s3, s3, -1
	v_add_u32_e32 v1, 16, v1
	s_cmp_eq_u32 s3, 0
	s_waitcnt lgkmcnt(0)
	v_add_f64 v[4:5], v[4:5], v[8:9]
	v_add_f64 v[2:3], v[2:3], v[10:11]
	s_cbranch_scc0 .LBB113_139
; %bb.140:
	s_lshl_b32 s0, s2, 4
	s_addk_i32 s0, 0x4000
	v_lshl_add_u32 v0, v0, 4, s0
	ds_read2_b64 v[8:11], v0 offset1:1
	s_waitcnt lgkmcnt(0)
	v_add_f64 v[0:1], v[4:5], v[8:9]
	v_lshl_add_u64 v[4:5], v[6:7], 4, s[24:25]
	v_add_f64 v[2:3], v[2:3], v[10:11]
	global_atomic_add_f64 v[4:5], v[0:1], off
	global_atomic_add_f64 v[4:5], v[2:3], off offset:8
.LBB113_141:
	s_endpgm
	.section	.rodata,"a",@progbits
	.p2align	6, 0x0
	.amdhsa_kernel _ZN9rocsparseL27csrmvn_symm_adaptive_kernelIli21rocsparse_complex_numIfES1_IdES3_S3_EEvbT_S4_PKS4_NS_24const_host_device_scalarIT4_EES6_PKT0_PKT1_PKT2_S9_PT3_21rocsparse_index_base_b
		.amdhsa_group_segment_fixed_size 16384
		.amdhsa_private_segment_fixed_size 0
		.amdhsa_kernarg_size 368
		.amdhsa_user_sgpr_count 2
		.amdhsa_user_sgpr_dispatch_ptr 0
		.amdhsa_user_sgpr_queue_ptr 0
		.amdhsa_user_sgpr_kernarg_segment_ptr 1
		.amdhsa_user_sgpr_dispatch_id 0
		.amdhsa_user_sgpr_kernarg_preload_length 0
		.amdhsa_user_sgpr_kernarg_preload_offset 0
		.amdhsa_user_sgpr_private_segment_size 0
		.amdhsa_uses_dynamic_stack 0
		.amdhsa_enable_private_segment 0
		.amdhsa_system_sgpr_workgroup_id_x 1
		.amdhsa_system_sgpr_workgroup_id_y 0
		.amdhsa_system_sgpr_workgroup_id_z 0
		.amdhsa_system_sgpr_workgroup_info 0
		.amdhsa_system_vgpr_workitem_id 0
		.amdhsa_next_free_vgpr 32
		.amdhsa_next_free_sgpr 54
		.amdhsa_accum_offset 32
		.amdhsa_reserve_vcc 1
		.amdhsa_float_round_mode_32 0
		.amdhsa_float_round_mode_16_64 0
		.amdhsa_float_denorm_mode_32 3
		.amdhsa_float_denorm_mode_16_64 3
		.amdhsa_dx10_clamp 1
		.amdhsa_ieee_mode 1
		.amdhsa_fp16_overflow 0
		.amdhsa_tg_split 0
		.amdhsa_exception_fp_ieee_invalid_op 0
		.amdhsa_exception_fp_denorm_src 0
		.amdhsa_exception_fp_ieee_div_zero 0
		.amdhsa_exception_fp_ieee_overflow 0
		.amdhsa_exception_fp_ieee_underflow 0
		.amdhsa_exception_fp_ieee_inexact 0
		.amdhsa_exception_int_div_zero 0
	.end_amdhsa_kernel
	.section	.text._ZN9rocsparseL27csrmvn_symm_adaptive_kernelIli21rocsparse_complex_numIfES1_IdES3_S3_EEvbT_S4_PKS4_NS_24const_host_device_scalarIT4_EES6_PKT0_PKT1_PKT2_S9_PT3_21rocsparse_index_base_b,"axG",@progbits,_ZN9rocsparseL27csrmvn_symm_adaptive_kernelIli21rocsparse_complex_numIfES1_IdES3_S3_EEvbT_S4_PKS4_NS_24const_host_device_scalarIT4_EES6_PKT0_PKT1_PKT2_S9_PT3_21rocsparse_index_base_b,comdat
.Lfunc_end113:
	.size	_ZN9rocsparseL27csrmvn_symm_adaptive_kernelIli21rocsparse_complex_numIfES1_IdES3_S3_EEvbT_S4_PKS4_NS_24const_host_device_scalarIT4_EES6_PKT0_PKT1_PKT2_S9_PT3_21rocsparse_index_base_b, .Lfunc_end113-_ZN9rocsparseL27csrmvn_symm_adaptive_kernelIli21rocsparse_complex_numIfES1_IdES3_S3_EEvbT_S4_PKS4_NS_24const_host_device_scalarIT4_EES6_PKT0_PKT1_PKT2_S9_PT3_21rocsparse_index_base_b
                                        ; -- End function
	.set _ZN9rocsparseL27csrmvn_symm_adaptive_kernelIli21rocsparse_complex_numIfES1_IdES3_S3_EEvbT_S4_PKS4_NS_24const_host_device_scalarIT4_EES6_PKT0_PKT1_PKT2_S9_PT3_21rocsparse_index_base_b.num_vgpr, 32
	.set _ZN9rocsparseL27csrmvn_symm_adaptive_kernelIli21rocsparse_complex_numIfES1_IdES3_S3_EEvbT_S4_PKS4_NS_24const_host_device_scalarIT4_EES6_PKT0_PKT1_PKT2_S9_PT3_21rocsparse_index_base_b.num_agpr, 0
	.set _ZN9rocsparseL27csrmvn_symm_adaptive_kernelIli21rocsparse_complex_numIfES1_IdES3_S3_EEvbT_S4_PKS4_NS_24const_host_device_scalarIT4_EES6_PKT0_PKT1_PKT2_S9_PT3_21rocsparse_index_base_b.numbered_sgpr, 54
	.set _ZN9rocsparseL27csrmvn_symm_adaptive_kernelIli21rocsparse_complex_numIfES1_IdES3_S3_EEvbT_S4_PKS4_NS_24const_host_device_scalarIT4_EES6_PKT0_PKT1_PKT2_S9_PT3_21rocsparse_index_base_b.num_named_barrier, 0
	.set _ZN9rocsparseL27csrmvn_symm_adaptive_kernelIli21rocsparse_complex_numIfES1_IdES3_S3_EEvbT_S4_PKS4_NS_24const_host_device_scalarIT4_EES6_PKT0_PKT1_PKT2_S9_PT3_21rocsparse_index_base_b.private_seg_size, 0
	.set _ZN9rocsparseL27csrmvn_symm_adaptive_kernelIli21rocsparse_complex_numIfES1_IdES3_S3_EEvbT_S4_PKS4_NS_24const_host_device_scalarIT4_EES6_PKT0_PKT1_PKT2_S9_PT3_21rocsparse_index_base_b.uses_vcc, 1
	.set _ZN9rocsparseL27csrmvn_symm_adaptive_kernelIli21rocsparse_complex_numIfES1_IdES3_S3_EEvbT_S4_PKS4_NS_24const_host_device_scalarIT4_EES6_PKT0_PKT1_PKT2_S9_PT3_21rocsparse_index_base_b.uses_flat_scratch, 0
	.set _ZN9rocsparseL27csrmvn_symm_adaptive_kernelIli21rocsparse_complex_numIfES1_IdES3_S3_EEvbT_S4_PKS4_NS_24const_host_device_scalarIT4_EES6_PKT0_PKT1_PKT2_S9_PT3_21rocsparse_index_base_b.has_dyn_sized_stack, 0
	.set _ZN9rocsparseL27csrmvn_symm_adaptive_kernelIli21rocsparse_complex_numIfES1_IdES3_S3_EEvbT_S4_PKS4_NS_24const_host_device_scalarIT4_EES6_PKT0_PKT1_PKT2_S9_PT3_21rocsparse_index_base_b.has_recursion, 0
	.set _ZN9rocsparseL27csrmvn_symm_adaptive_kernelIli21rocsparse_complex_numIfES1_IdES3_S3_EEvbT_S4_PKS4_NS_24const_host_device_scalarIT4_EES6_PKT0_PKT1_PKT2_S9_PT3_21rocsparse_index_base_b.has_indirect_call, 0
	.section	.AMDGPU.csdata,"",@progbits
; Kernel info:
; codeLenInByte = 8008
; TotalNumSgprs: 60
; NumVgprs: 32
; NumAgprs: 0
; TotalNumVgprs: 32
; ScratchSize: 0
; MemoryBound: 0
; FloatMode: 240
; IeeeMode: 1
; LDSByteSize: 16384 bytes/workgroup (compile time only)
; SGPRBlocks: 7
; VGPRBlocks: 3
; NumSGPRsForWavesPerEU: 60
; NumVGPRsForWavesPerEU: 32
; AccumOffset: 32
; Occupancy: 8
; WaveLimiterHint : 1
; COMPUTE_PGM_RSRC2:SCRATCH_EN: 0
; COMPUTE_PGM_RSRC2:USER_SGPR: 2
; COMPUTE_PGM_RSRC2:TRAP_HANDLER: 0
; COMPUTE_PGM_RSRC2:TGID_X_EN: 1
; COMPUTE_PGM_RSRC2:TGID_Y_EN: 0
; COMPUTE_PGM_RSRC2:TGID_Z_EN: 0
; COMPUTE_PGM_RSRC2:TIDIG_COMP_CNT: 0
; COMPUTE_PGM_RSRC3_GFX90A:ACCUM_OFFSET: 7
; COMPUTE_PGM_RSRC3_GFX90A:TG_SPLIT: 0
	.section	.text._ZL33csrmvn_symm_large_adaptive_kernelIli21rocsparse_complex_numIfES0_IdES2_S2_EvbT_PKS3_N9rocsparse24const_host_device_scalarIT4_EES5_PKT0_PKT1_PKT2_S9_PT3_21rocsparse_index_base_b,"axG",@progbits,_ZL33csrmvn_symm_large_adaptive_kernelIli21rocsparse_complex_numIfES0_IdES2_S2_EvbT_PKS3_N9rocsparse24const_host_device_scalarIT4_EES5_PKT0_PKT1_PKT2_S9_PT3_21rocsparse_index_base_b,comdat
	.globl	_ZL33csrmvn_symm_large_adaptive_kernelIli21rocsparse_complex_numIfES0_IdES2_S2_EvbT_PKS3_N9rocsparse24const_host_device_scalarIT4_EES5_PKT0_PKT1_PKT2_S9_PT3_21rocsparse_index_base_b ; -- Begin function _ZL33csrmvn_symm_large_adaptive_kernelIli21rocsparse_complex_numIfES0_IdES2_S2_EvbT_PKS3_N9rocsparse24const_host_device_scalarIT4_EES5_PKT0_PKT1_PKT2_S9_PT3_21rocsparse_index_base_b
	.p2align	8
	.type	_ZL33csrmvn_symm_large_adaptive_kernelIli21rocsparse_complex_numIfES0_IdES2_S2_EvbT_PKS3_N9rocsparse24const_host_device_scalarIT4_EES5_PKT0_PKT1_PKT2_S9_PT3_21rocsparse_index_base_b,@function
_ZL33csrmvn_symm_large_adaptive_kernelIli21rocsparse_complex_numIfES0_IdES2_S2_EvbT_PKS3_N9rocsparse24const_host_device_scalarIT4_EES5_PKT0_PKT1_PKT2_S9_PT3_21rocsparse_index_base_b: ; @_ZL33csrmvn_symm_large_adaptive_kernelIli21rocsparse_complex_numIfES0_IdES2_S2_EvbT_PKS3_N9rocsparse24const_host_device_scalarIT4_EES5_PKT0_PKT1_PKT2_S9_PT3_21rocsparse_index_base_b
; %bb.0:
	s_load_dwordx2 s[20:21], s[0:1], 0x60
	s_load_dwordx2 s[4:5], s[0:1], 0x18
	s_add_u32 s3, s0, 24
	s_addc_u32 s10, s1, 0
	s_waitcnt lgkmcnt(0)
	s_bitcmp1_b32 s21, 0
	s_cselect_b64 s[8:9], -1, 0
	s_and_b64 s[6:7], s[8:9], exec
	s_cselect_b32 s5, s10, s5
	s_cselect_b32 s3, s3, s4
	v_mov_b32_e32 v2, s3
	v_mov_b32_e32 v3, s5
	flat_load_dwordx4 v[2:5], v[2:3]
	s_waitcnt vmcnt(0) lgkmcnt(0)
	v_cmp_eq_f64_e32 vcc, 0, v[2:3]
	v_cmp_eq_f64_e64 s[4:5], 0, v[4:5]
	s_and_b64 s[10:11], vcc, s[4:5]
	s_mov_b64 s[4:5], -1
	s_and_saveexec_b64 s[6:7], s[10:11]
	s_cbranch_execz .LBB114_2
; %bb.1:
	s_load_dwordx2 s[4:5], s[0:1], 0x48
	s_add_u32 s3, s0, 0x48
	s_addc_u32 s10, s1, 0
	s_and_b64 s[8:9], s[8:9], exec
	s_waitcnt lgkmcnt(0)
	s_cselect_b32 s5, s10, s5
	s_cselect_b32 s3, s3, s4
	v_mov_b32_e32 v6, s3
	v_mov_b32_e32 v7, s5
	flat_load_dwordx4 v[6:9], v[6:7]
	s_waitcnt vmcnt(0) lgkmcnt(0)
	v_cmp_neq_f64_e32 vcc, 1.0, v[6:7]
	v_cmp_neq_f64_e64 s[4:5], 0, v[8:9]
	s_or_b64 s[4:5], vcc, s[4:5]
	s_orn2_b64 s[4:5], s[4:5], exec
.LBB114_2:
	s_or_b64 exec, exec, s[6:7]
	s_and_saveexec_b64 s[6:7], s[4:5]
	s_cbranch_execz .LBB114_36
; %bb.3:
	s_load_dword s3, s[0:1], 0x0
	s_load_dwordx2 s[8:9], s[0:1], 0x10
	s_mov_b32 s4, 0
	s_mov_b32 s6, s4
	;; [unrolled: 1-line block ×3, first 2 shown]
	s_waitcnt lgkmcnt(0)
	s_bitcmp1_b32 s3, 0
	s_cselect_b64 s[22:23], -1, 0
	s_ashr_i32 s3, s2, 31
	s_lshl_b64 s[2:3], s[2:3], 3
	s_mov_b32 s5, s4
	v_mov_b64_e32 v[8:9], s[6:7]
	s_add_u32 s2, s8, s2
	v_lshlrev_b32_e32 v18, 4, v0
	v_mov_b64_e32 v[6:7], s[4:5]
	s_addc_u32 s3, s9, s3
	ds_write_b128 v18, v[6:9]
	ds_write_b128 v18, v[6:9] offset:4096
	ds_write_b128 v18, v[6:9] offset:8192
	;; [unrolled: 1-line block ×3, first 2 shown]
	s_waitcnt lgkmcnt(0)
	s_barrier
	s_load_dwordx4 s[16:19], s[2:3], 0x0
	s_load_dwordx2 s[24:25], s[0:1], 0x58
	s_load_dwordx8 s[8:15], s[0:1], 0x28
	v_subrev_co_u32_e64 v10, s[0:1], s20, v0
	s_waitcnt lgkmcnt(0)
	v_mov_b64_e32 v[6:7], s[18:19]
	v_cmp_ge_i64_e32 vcc, s[16:17], v[6:7]
	v_mov_b32_e32 v19, 0
	v_subb_co_u32_e64 v11, s[0:1], 0, 0, s[0:1]
	s_cbranch_vccnz .LBB114_27
; %bb.4:
	s_add_u32 s26, s12, 4
	v_cmp_gt_u32_e64 s[0:1], 64, v0
	v_cmp_gt_u32_e64 s[2:3], 16, v0
	;; [unrolled: 1-line block ×3, first 2 shown]
	v_cmp_eq_u32_e64 s[6:7], 0, v0
	s_addc_u32 s27, s13, 0
	s_mov_b64 s[28:29], 0x100
	s_mov_b64 s[30:31], 0x400
	;; [unrolled: 1-line block ×3, first 2 shown]
	v_mov_b64_e32 v[0:1], s[18:19]
	s_mov_b64 s[36:37], s[16:17]
	s_branch .LBB114_6
.LBB114_5:                              ;   in Loop: Header=BB114_6 Depth=1
	s_or_b64 exec, exec, s[38:39]
	s_add_u32 s36, s36, 1
	s_addc_u32 s37, s37, 0
	v_cmp_ge_i64_e32 vcc, s[36:37], v[0:1]
	s_cbranch_vccnz .LBB114_27
.LBB114_6:                              ; =>This Loop Header: Depth=1
                                        ;     Child Loop BB114_8 Depth 2
                                        ;     Child Loop BB114_20 Depth 2
	;; [unrolled: 1-line block ×3, first 2 shown]
	s_lshl_b64 s[38:39], s[36:37], 3
	s_add_u32 s38, s8, s38
	s_addc_u32 s39, s9, s39
	s_load_dwordx4 s[44:47], s[38:39], 0x0
	v_mov_b64_e32 v[8:9], 0
	v_mov_b64_e32 v[6:7], 0
	s_waitcnt lgkmcnt(0)
	s_sub_u32 s40, s46, s20
	v_lshl_add_u64 v[12:13], s[44:45], 0, v[10:11]
	s_subb_u32 s41, s47, 0
	v_cmp_gt_i64_e32 vcc, s[40:41], v[12:13]
	s_and_saveexec_b64 s[38:39], vcc
	s_cbranch_execz .LBB114_10
; %bb.7:                                ;   in Loop: Header=BB114_6 Depth=1
	v_mov_b64_e32 v[8:9], 0
	v_lshl_add_u64 v[14:15], v[12:13], 2, s[10:11]
	v_lshl_add_u64 v[16:17], v[12:13], 3, s[26:27]
	s_mov_b64 s[42:43], 0
	v_mov_b64_e32 v[6:7], v[8:9]
.LBB114_8:                              ;   Parent Loop BB114_6 Depth=1
                                        ; =>  This Inner Loop Header: Depth=2
	global_load_dword v20, v[14:15], off
	global_load_dwordx2 v[24:25], v[16:17], off offset:-4
	v_lshl_add_u64 v[12:13], v[12:13], 0, s[28:29]
	v_cmp_le_i64_e32 vcc, s[40:41], v[12:13]
	v_lshl_add_u64 v[14:15], v[14:15], 0, s[30:31]
	v_lshl_add_u64 v[16:17], v[16:17], 0, s[34:35]
	s_or_b64 s[42:43], vcc, s[42:43]
	s_waitcnt vmcnt(1)
	v_subrev_u32_e32 v20, s20, v20
	v_ashrrev_i32_e32 v21, 31, v20
	v_lshl_add_u64 v[20:21], v[20:21], 4, s[14:15]
	global_load_dwordx4 v[20:23], v[20:21], off
	s_waitcnt vmcnt(1)
	v_cndmask_b32_e64 v26, v25, -v25, s[22:23]
	v_cvt_f64_f32_e32 v[24:25], v24
	v_cvt_f64_f32_e32 v[26:27], v26
	s_waitcnt vmcnt(0)
	v_fmac_f64_e32 v[6:7], v[24:25], v[20:21]
	v_fmac_f64_e32 v[8:9], v[26:27], v[20:21]
	v_fma_f64 v[6:7], -v[26:27], v[22:23], v[6:7]
	v_fmac_f64_e32 v[8:9], v[24:25], v[22:23]
	s_andn2_b64 exec, exec, s[42:43]
	s_cbranch_execnz .LBB114_8
; %bb.9:                                ;   in Loop: Header=BB114_6 Depth=1
	s_or_b64 exec, exec, s[42:43]
.LBB114_10:                             ;   in Loop: Header=BB114_6 Depth=1
	s_or_b64 exec, exec, s[38:39]
	ds_write_b128 v18, v[6:9]
	s_waitcnt lgkmcnt(0)
	s_barrier
	ds_read_b128 v[6:9], v18 offset:4096
	ds_read_b128 v[12:15], v18 offset:8192
	;; [unrolled: 1-line block ×3, first 2 shown]
	ds_read_b128 v[24:27], v18
	s_waitcnt lgkmcnt(2)
	v_add_f64 v[6:7], v[12:13], v[6:7]
	v_add_f64 v[8:9], v[14:15], v[8:9]
	s_waitcnt lgkmcnt(1)
	v_add_f64 v[6:7], v[6:7], v[20:21]
	v_add_f64 v[8:9], v[8:9], v[22:23]
	;; [unrolled: 3-line block ×3, first 2 shown]
	ds_write_b128 v18, v[6:9]
	s_waitcnt lgkmcnt(0)
	s_barrier
	s_and_saveexec_b64 s[38:39], s[0:1]
	s_cbranch_execz .LBB114_12
; %bb.11:                               ;   in Loop: Header=BB114_6 Depth=1
	ds_read_b128 v[6:9], v18 offset:1024
	ds_read_b128 v[12:15], v18 offset:2048
	ds_read_b128 v[20:23], v18 offset:3072
	ds_read_b128 v[24:27], v18
	s_waitcnt lgkmcnt(2)
	v_add_f64 v[6:7], v[12:13], v[6:7]
	v_add_f64 v[8:9], v[14:15], v[8:9]
	s_waitcnt lgkmcnt(1)
	v_add_f64 v[6:7], v[6:7], v[20:21]
	v_add_f64 v[8:9], v[8:9], v[22:23]
	s_waitcnt lgkmcnt(0)
	v_add_f64 v[6:7], v[6:7], v[24:25]
	v_add_f64 v[8:9], v[8:9], v[26:27]
	ds_write_b128 v18, v[6:9]
.LBB114_12:                             ;   in Loop: Header=BB114_6 Depth=1
	s_or_b64 exec, exec, s[38:39]
	s_waitcnt lgkmcnt(0)
	s_barrier
	s_and_saveexec_b64 s[38:39], s[2:3]
	s_cbranch_execz .LBB114_14
; %bb.13:                               ;   in Loop: Header=BB114_6 Depth=1
	ds_read_b128 v[6:9], v18 offset:256
	ds_read_b128 v[12:15], v18 offset:512
	ds_read_b128 v[20:23], v18 offset:768
	ds_read_b128 v[24:27], v18
	s_waitcnt lgkmcnt(2)
	v_add_f64 v[6:7], v[12:13], v[6:7]
	v_add_f64 v[8:9], v[14:15], v[8:9]
	s_waitcnt lgkmcnt(1)
	v_add_f64 v[6:7], v[6:7], v[20:21]
	v_add_f64 v[8:9], v[8:9], v[22:23]
	s_waitcnt lgkmcnt(0)
	v_add_f64 v[6:7], v[6:7], v[24:25]
	v_add_f64 v[8:9], v[8:9], v[26:27]
	ds_write_b128 v18, v[6:9]
.LBB114_14:                             ;   in Loop: Header=BB114_6 Depth=1
	s_or_b64 exec, exec, s[38:39]
	s_waitcnt lgkmcnt(0)
	s_barrier
	s_and_saveexec_b64 s[38:39], s[4:5]
	s_cbranch_execz .LBB114_16
; %bb.15:                               ;   in Loop: Header=BB114_6 Depth=1
	ds_read_b128 v[6:9], v18 offset:64
	ds_read_b128 v[12:15], v18 offset:128
	ds_read_b128 v[20:23], v18 offset:192
	ds_read_b128 v[24:27], v18
	s_waitcnt lgkmcnt(2)
	v_add_f64 v[6:7], v[12:13], v[6:7]
	v_add_f64 v[8:9], v[14:15], v[8:9]
	s_waitcnt lgkmcnt(1)
	v_add_f64 v[6:7], v[6:7], v[20:21]
	v_add_f64 v[8:9], v[8:9], v[22:23]
	s_waitcnt lgkmcnt(0)
	v_add_f64 v[6:7], v[6:7], v[24:25]
	v_add_f64 v[8:9], v[8:9], v[26:27]
	ds_write_b128 v18, v[6:9]
.LBB114_16:                             ;   in Loop: Header=BB114_6 Depth=1
	s_or_b64 exec, exec, s[38:39]
	s_waitcnt lgkmcnt(0)
	s_barrier
	s_and_saveexec_b64 s[38:39], s[6:7]
	s_cbranch_execz .LBB114_18
; %bb.17:                               ;   in Loop: Header=BB114_6 Depth=1
	ds_read_b128 v[6:9], v19 offset:16
	ds_read_b128 v[12:15], v19 offset:32
	ds_read_b128 v[20:23], v19 offset:48
	ds_read_b128 v[24:27], v18
	s_waitcnt lgkmcnt(2)
	v_add_f64 v[6:7], v[12:13], v[6:7]
	v_add_f64 v[8:9], v[14:15], v[8:9]
	s_waitcnt lgkmcnt(1)
	v_add_f64 v[6:7], v[6:7], v[20:21]
	v_add_f64 v[8:9], v[8:9], v[22:23]
	s_waitcnt lgkmcnt(0)
	v_add_f64 v[6:7], v[6:7], v[24:25]
	v_add_f64 v[8:9], v[8:9], v[26:27]
	ds_write_b128 v18, v[6:9]
.LBB114_18:                             ;   in Loop: Header=BB114_6 Depth=1
	s_or_b64 exec, exec, s[38:39]
	s_waitcnt lgkmcnt(0)
	s_barrier
	s_and_saveexec_b64 s[38:39], s[6:7]
	s_cbranch_execz .LBB114_5
; %bb.19:                               ;   in Loop: Header=BB114_6 Depth=1
	ds_read_b128 v[6:9], v19
	v_mov_b32_e32 v12, 0
	s_mov_b64 s[40:41], exec
	v_bfrev_b32_e32 v13, 1
	s_waitcnt lgkmcnt(0)
	v_mul_f64 v[14:15], v[8:9], -v[4:5]
	v_fmac_f64_e32 v[14:15], v[2:3], v[6:7]
.LBB114_20:                             ;   Parent Loop BB114_6 Depth=1
                                        ; =>  This Inner Loop Header: Depth=2
	s_ff1_i32_b64 s21, s[40:41]
	s_lshl_b64 s[44:45], 1, s21
	v_readlane_b32 s43, v15, s21
	v_readlane_b32 s42, v14, s21
	s_andn2_b64 s[40:41], s[40:41], s[44:45]
	s_cmp_lg_u64 s[40:41], 0
	v_add_f64 v[12:13], v[12:13], s[42:43]
	s_cbranch_scc1 .LBB114_20
; %bb.21:                               ;   in Loop: Header=BB114_6 Depth=1
	s_lshl_b64 s[40:41], s[36:37], 4
	v_mbcnt_lo_u32_b32 v14, exec_lo, 0
	s_add_u32 s40, s24, s40
	v_mbcnt_hi_u32_b32 v14, exec_hi, v14
	s_addc_u32 s41, s25, s41
	v_cmp_eq_u32_e32 vcc, 0, v14
	s_and_saveexec_b64 s[42:43], vcc
	s_xor_b64 s[42:43], exec, s[42:43]
	s_cbranch_execz .LBB114_23
; %bb.22:                               ;   in Loop: Header=BB114_6 Depth=1
	global_atomic_add_f64 v19, v[12:13], s[40:41]
.LBB114_23:                             ;   in Loop: Header=BB114_6 Depth=1
	s_or_b64 exec, exec, s[42:43]
	v_mul_f64 v[8:9], v[2:3], v[8:9]
	v_fmac_f64_e32 v[8:9], v[4:5], v[6:7]
	v_mov_b32_e32 v6, 0
	s_mov_b64 s[42:43], exec
	v_bfrev_b32_e32 v7, 1
.LBB114_24:                             ;   Parent Loop BB114_6 Depth=1
                                        ; =>  This Inner Loop Header: Depth=2
	s_ff1_i32_b64 s21, s[42:43]
	s_lshl_b64 s[46:47], 1, s21
	v_readlane_b32 s45, v9, s21
	v_readlane_b32 s44, v8, s21
	s_andn2_b64 s[42:43], s[42:43], s[46:47]
	s_cmp_lg_u64 s[42:43], 0
	v_add_f64 v[6:7], v[6:7], s[44:45]
	s_cbranch_scc1 .LBB114_24
; %bb.25:                               ;   in Loop: Header=BB114_6 Depth=1
	v_mbcnt_lo_u32_b32 v8, exec_lo, 0
	v_mbcnt_hi_u32_b32 v8, exec_hi, v8
	v_cmp_eq_u32_e32 vcc, 0, v8
	s_and_saveexec_b64 s[42:43], vcc
	s_xor_b64 s[42:43], exec, s[42:43]
	s_cbranch_execz .LBB114_5
; %bb.26:                               ;   in Loop: Header=BB114_6 Depth=1
	global_atomic_add_f64 v19, v[6:7], s[40:41] offset:8
	s_branch .LBB114_5
.LBB114_27:
	s_lshl_b64 s[0:1], s[16:17], 3
	s_add_u32 s0, s8, s0
	s_addc_u32 s1, s9, s1
	s_lshl_b64 s[2:3], s[18:19], 3
	s_add_u32 s2, s8, s2
	s_addc_u32 s3, s9, s3
	s_load_dwordx2 s[4:5], s[2:3], 0x0
	s_load_dwordx2 s[6:7], s[0:1], 0x0
	s_waitcnt lgkmcnt(0)
	s_sub_u32 s4, s4, s20
	s_subb_u32 s5, s5, 0
	v_lshl_add_u64 v[0:1], s[6:7], 0, v[10:11]
	v_cmp_gt_i64_e32 vcc, s[4:5], v[0:1]
	s_and_b64 exec, exec, vcc
	s_cbranch_execz .LBB114_36
; %bb.28:
	s_add_u32 s6, s18, -1
	s_addc_u32 s7, s19, -1
	s_add_u32 s0, s18, -2
	s_addc_u32 s1, s19, -1
	v_mov_b64_e32 v[6:7], s[6:7]
	s_cmp_lg_u64 s[16:17], s[0:1]
	v_cmp_lt_i64_e32 vcc, s[16:17], v[6:7]
	s_cselect_b64 s[0:1], -1, 0
	s_and_b64 s[0:1], vcc, s[0:1]
	v_cndmask_b32_e64 v6, 0, 1, s[0:1]
	s_mov_b64 s[18:19], 0
	v_cmp_ne_u32_e64 s[0:1], 1, v6
	v_mov_b32_e32 v7, 0
	s_mov_b64 s[26:27], 0x100
	s_branch .LBB114_30
.LBB114_29:                             ;   in Loop: Header=BB114_30 Depth=1
	s_or_b64 exec, exec, s[2:3]
	v_lshl_add_u64 v[0:1], v[0:1], 0, s[26:27]
	v_cmp_le_i64_e32 vcc, s[4:5], v[0:1]
	s_or_b64 s[18:19], vcc, s[18:19]
	s_andn2_b64 exec, exec, s[18:19]
	s_cbranch_execz .LBB114_36
.LBB114_30:                             ; =>This Loop Header: Depth=1
                                        ;     Child Loop BB114_32 Depth 2
	s_and_b64 vcc, exec, s[0:1]
	v_mov_b64_e32 v[8:9], s[16:17]
	v_mov_b64_e32 v[10:11], s[6:7]
	s_cbranch_vccnz .LBB114_34
; %bb.31:                               ;   in Loop: Header=BB114_30 Depth=1
	s_mov_b64 s[28:29], 0
	v_mov_b64_e32 v[8:9], s[16:17]
	v_mov_b64_e32 v[10:11], s[6:7]
.LBB114_32:                             ;   Parent Loop BB114_30 Depth=1
                                        ; =>  This Inner Loop Header: Depth=2
	v_lshl_add_u64 v[12:13], v[10:11], 0, v[8:9]
	v_lshrrev_b32_e32 v6, 31, v13
	v_lshl_add_u64 v[12:13], v[12:13], 0, v[6:7]
	v_ashrrev_i64 v[12:13], 1, v[12:13]
	v_lshl_add_u64 v[14:15], v[12:13], 3, s[8:9]
	global_load_dwordx2 v[14:15], v[14:15], off
	s_waitcnt vmcnt(0)
	v_subrev_co_u32_e32 v14, vcc, s20, v14
	s_nop 1
	v_subbrev_co_u32_e32 v15, vcc, 0, v15, vcc
	v_cmp_lt_i64_e32 vcc, v[0:1], v[14:15]
	s_nop 1
	v_cndmask_b32_e32 v11, v11, v13, vcc
	v_cndmask_b32_e32 v10, v10, v12, vcc
	;; [unrolled: 1-line block ×4, first 2 shown]
	v_lshl_add_u64 v[12:13], v[10:11], 0, -1
	v_cmp_ge_i64_e32 vcc, v[8:9], v[10:11]
	v_cmp_eq_u64_e64 s[2:3], v[8:9], v[12:13]
	s_or_b64 s[2:3], vcc, s[2:3]
	s_and_b64 s[2:3], exec, s[2:3]
	s_or_b64 s[28:29], s[2:3], s[28:29]
	s_andn2_b64 exec, exec, s[28:29]
	s_cbranch_execnz .LBB114_32
; %bb.33:                               ;   in Loop: Header=BB114_30 Depth=1
	s_or_b64 exec, exec, s[28:29]
.LBB114_34:                             ;   in Loop: Header=BB114_30 Depth=1
	v_lshl_add_u64 v[12:13], v[10:11], 3, s[8:9]
	global_load_dwordx2 v[12:13], v[12:13], off
	v_lshl_add_u64 v[14:15], v[0:1], 2, s[10:11]
	global_load_dword v6, v[14:15], off
	s_waitcnt vmcnt(1)
	v_subrev_co_u32_e32 v14, vcc, s20, v12
	s_nop 1
	v_subbrev_co_u32_e32 v15, vcc, 0, v13, vcc
	s_waitcnt vmcnt(0)
	v_subrev_u32_e32 v12, s20, v6
	v_cmp_lt_i64_e32 vcc, v[0:1], v[14:15]
	v_ashrrev_i32_e32 v13, 31, v12
	s_nop 0
	v_cndmask_b32_e32 v9, v11, v9, vcc
	v_cndmask_b32_e32 v8, v10, v8, vcc
	v_cmp_ne_u64_e32 vcc, v[8:9], v[12:13]
	s_and_saveexec_b64 s[2:3], vcc
	s_cbranch_execz .LBB114_29
; %bb.35:                               ;   in Loop: Header=BB114_30 Depth=1
	v_lshl_add_u64 v[10:11], v[0:1], 3, s[12:13]
	global_load_dwordx2 v[14:15], v[10:11], off
	v_lshl_add_u64 v[8:9], v[8:9], 4, s[14:15]
	global_load_dwordx4 v[8:11], v[8:9], off
	v_lshl_add_u64 v[12:13], v[12:13], 4, s[24:25]
	s_waitcnt vmcnt(1)
	v_cndmask_b32_e64 v6, v15, -v15, s[22:23]
	v_cvt_f64_f32_e32 v[16:17], v6
	v_cvt_f64_f32_e32 v[14:15], v14
	v_mul_f64 v[18:19], -v[4:5], v[16:17]
	v_mul_f64 v[16:17], v[2:3], v[16:17]
	v_fmac_f64_e32 v[16:17], v[4:5], v[14:15]
	v_fmac_f64_e32 v[18:19], v[2:3], v[14:15]
	s_waitcnt vmcnt(0)
	v_mul_f64 v[14:15], v[10:11], -v[16:17]
	v_mul_f64 v[10:11], v[10:11], v[18:19]
	v_fmac_f64_e32 v[14:15], v[18:19], v[8:9]
	v_fmac_f64_e32 v[10:11], v[16:17], v[8:9]
	global_atomic_add_f64 v[12:13], v[14:15], off
	global_atomic_add_f64 v[12:13], v[10:11], off offset:8
	s_branch .LBB114_29
.LBB114_36:
	s_endpgm
	.section	.rodata,"a",@progbits
	.p2align	6, 0x0
	.amdhsa_kernel _ZL33csrmvn_symm_large_adaptive_kernelIli21rocsparse_complex_numIfES0_IdES2_S2_EvbT_PKS3_N9rocsparse24const_host_device_scalarIT4_EES5_PKT0_PKT1_PKT2_S9_PT3_21rocsparse_index_base_b
		.amdhsa_group_segment_fixed_size 16384
		.amdhsa_private_segment_fixed_size 0
		.amdhsa_kernarg_size 104
		.amdhsa_user_sgpr_count 2
		.amdhsa_user_sgpr_dispatch_ptr 0
		.amdhsa_user_sgpr_queue_ptr 0
		.amdhsa_user_sgpr_kernarg_segment_ptr 1
		.amdhsa_user_sgpr_dispatch_id 0
		.amdhsa_user_sgpr_kernarg_preload_length 0
		.amdhsa_user_sgpr_kernarg_preload_offset 0
		.amdhsa_user_sgpr_private_segment_size 0
		.amdhsa_uses_dynamic_stack 0
		.amdhsa_enable_private_segment 0
		.amdhsa_system_sgpr_workgroup_id_x 1
		.amdhsa_system_sgpr_workgroup_id_y 0
		.amdhsa_system_sgpr_workgroup_id_z 0
		.amdhsa_system_sgpr_workgroup_info 0
		.amdhsa_system_vgpr_workitem_id 0
		.amdhsa_next_free_vgpr 28
		.amdhsa_next_free_sgpr 48
		.amdhsa_accum_offset 28
		.amdhsa_reserve_vcc 1
		.amdhsa_float_round_mode_32 0
		.amdhsa_float_round_mode_16_64 0
		.amdhsa_float_denorm_mode_32 3
		.amdhsa_float_denorm_mode_16_64 3
		.amdhsa_dx10_clamp 1
		.amdhsa_ieee_mode 1
		.amdhsa_fp16_overflow 0
		.amdhsa_tg_split 0
		.amdhsa_exception_fp_ieee_invalid_op 0
		.amdhsa_exception_fp_denorm_src 0
		.amdhsa_exception_fp_ieee_div_zero 0
		.amdhsa_exception_fp_ieee_overflow 0
		.amdhsa_exception_fp_ieee_underflow 0
		.amdhsa_exception_fp_ieee_inexact 0
		.amdhsa_exception_int_div_zero 0
	.end_amdhsa_kernel
	.section	.text._ZL33csrmvn_symm_large_adaptive_kernelIli21rocsparse_complex_numIfES0_IdES2_S2_EvbT_PKS3_N9rocsparse24const_host_device_scalarIT4_EES5_PKT0_PKT1_PKT2_S9_PT3_21rocsparse_index_base_b,"axG",@progbits,_ZL33csrmvn_symm_large_adaptive_kernelIli21rocsparse_complex_numIfES0_IdES2_S2_EvbT_PKS3_N9rocsparse24const_host_device_scalarIT4_EES5_PKT0_PKT1_PKT2_S9_PT3_21rocsparse_index_base_b,comdat
.Lfunc_end114:
	.size	_ZL33csrmvn_symm_large_adaptive_kernelIli21rocsparse_complex_numIfES0_IdES2_S2_EvbT_PKS3_N9rocsparse24const_host_device_scalarIT4_EES5_PKT0_PKT1_PKT2_S9_PT3_21rocsparse_index_base_b, .Lfunc_end114-_ZL33csrmvn_symm_large_adaptive_kernelIli21rocsparse_complex_numIfES0_IdES2_S2_EvbT_PKS3_N9rocsparse24const_host_device_scalarIT4_EES5_PKT0_PKT1_PKT2_S9_PT3_21rocsparse_index_base_b
                                        ; -- End function
	.set _ZL33csrmvn_symm_large_adaptive_kernelIli21rocsparse_complex_numIfES0_IdES2_S2_EvbT_PKS3_N9rocsparse24const_host_device_scalarIT4_EES5_PKT0_PKT1_PKT2_S9_PT3_21rocsparse_index_base_b.num_vgpr, 28
	.set _ZL33csrmvn_symm_large_adaptive_kernelIli21rocsparse_complex_numIfES0_IdES2_S2_EvbT_PKS3_N9rocsparse24const_host_device_scalarIT4_EES5_PKT0_PKT1_PKT2_S9_PT3_21rocsparse_index_base_b.num_agpr, 0
	.set _ZL33csrmvn_symm_large_adaptive_kernelIli21rocsparse_complex_numIfES0_IdES2_S2_EvbT_PKS3_N9rocsparse24const_host_device_scalarIT4_EES5_PKT0_PKT1_PKT2_S9_PT3_21rocsparse_index_base_b.numbered_sgpr, 48
	.set _ZL33csrmvn_symm_large_adaptive_kernelIli21rocsparse_complex_numIfES0_IdES2_S2_EvbT_PKS3_N9rocsparse24const_host_device_scalarIT4_EES5_PKT0_PKT1_PKT2_S9_PT3_21rocsparse_index_base_b.num_named_barrier, 0
	.set _ZL33csrmvn_symm_large_adaptive_kernelIli21rocsparse_complex_numIfES0_IdES2_S2_EvbT_PKS3_N9rocsparse24const_host_device_scalarIT4_EES5_PKT0_PKT1_PKT2_S9_PT3_21rocsparse_index_base_b.private_seg_size, 0
	.set _ZL33csrmvn_symm_large_adaptive_kernelIli21rocsparse_complex_numIfES0_IdES2_S2_EvbT_PKS3_N9rocsparse24const_host_device_scalarIT4_EES5_PKT0_PKT1_PKT2_S9_PT3_21rocsparse_index_base_b.uses_vcc, 1
	.set _ZL33csrmvn_symm_large_adaptive_kernelIli21rocsparse_complex_numIfES0_IdES2_S2_EvbT_PKS3_N9rocsparse24const_host_device_scalarIT4_EES5_PKT0_PKT1_PKT2_S9_PT3_21rocsparse_index_base_b.uses_flat_scratch, 0
	.set _ZL33csrmvn_symm_large_adaptive_kernelIli21rocsparse_complex_numIfES0_IdES2_S2_EvbT_PKS3_N9rocsparse24const_host_device_scalarIT4_EES5_PKT0_PKT1_PKT2_S9_PT3_21rocsparse_index_base_b.has_dyn_sized_stack, 0
	.set _ZL33csrmvn_symm_large_adaptive_kernelIli21rocsparse_complex_numIfES0_IdES2_S2_EvbT_PKS3_N9rocsparse24const_host_device_scalarIT4_EES5_PKT0_PKT1_PKT2_S9_PT3_21rocsparse_index_base_b.has_recursion, 0
	.set _ZL33csrmvn_symm_large_adaptive_kernelIli21rocsparse_complex_numIfES0_IdES2_S2_EvbT_PKS3_N9rocsparse24const_host_device_scalarIT4_EES5_PKT0_PKT1_PKT2_S9_PT3_21rocsparse_index_base_b.has_indirect_call, 0
	.section	.AMDGPU.csdata,"",@progbits
; Kernel info:
; codeLenInByte = 2088
; TotalNumSgprs: 54
; NumVgprs: 28
; NumAgprs: 0
; TotalNumVgprs: 28
; ScratchSize: 0
; MemoryBound: 0
; FloatMode: 240
; IeeeMode: 1
; LDSByteSize: 16384 bytes/workgroup (compile time only)
; SGPRBlocks: 6
; VGPRBlocks: 3
; NumSGPRsForWavesPerEU: 54
; NumVGPRsForWavesPerEU: 28
; AccumOffset: 28
; Occupancy: 8
; WaveLimiterHint : 1
; COMPUTE_PGM_RSRC2:SCRATCH_EN: 0
; COMPUTE_PGM_RSRC2:USER_SGPR: 2
; COMPUTE_PGM_RSRC2:TRAP_HANDLER: 0
; COMPUTE_PGM_RSRC2:TGID_X_EN: 1
; COMPUTE_PGM_RSRC2:TGID_Y_EN: 0
; COMPUTE_PGM_RSRC2:TGID_Z_EN: 0
; COMPUTE_PGM_RSRC2:TIDIG_COMP_CNT: 0
; COMPUTE_PGM_RSRC3_GFX90A:ACCUM_OFFSET: 6
; COMPUTE_PGM_RSRC3_GFX90A:TG_SPLIT: 0
	.section	.text._ZN9rocsparseL22csrmvn_adaptive_kernelIll21rocsparse_complex_numIfES1_IdES3_S3_EEvbT_PKS4_PjPKT0_NS_24const_host_device_scalarIT4_EES6_SA_PKT1_PKT2_SD_PT3_21rocsparse_index_base_b,"axG",@progbits,_ZN9rocsparseL22csrmvn_adaptive_kernelIll21rocsparse_complex_numIfES1_IdES3_S3_EEvbT_PKS4_PjPKT0_NS_24const_host_device_scalarIT4_EES6_SA_PKT1_PKT2_SD_PT3_21rocsparse_index_base_b,comdat
	.globl	_ZN9rocsparseL22csrmvn_adaptive_kernelIll21rocsparse_complex_numIfES1_IdES3_S3_EEvbT_PKS4_PjPKT0_NS_24const_host_device_scalarIT4_EES6_SA_PKT1_PKT2_SD_PT3_21rocsparse_index_base_b ; -- Begin function _ZN9rocsparseL22csrmvn_adaptive_kernelIll21rocsparse_complex_numIfES1_IdES3_S3_EEvbT_PKS4_PjPKT0_NS_24const_host_device_scalarIT4_EES6_SA_PKT1_PKT2_SD_PT3_21rocsparse_index_base_b
	.p2align	8
	.type	_ZN9rocsparseL22csrmvn_adaptive_kernelIll21rocsparse_complex_numIfES1_IdES3_S3_EEvbT_PKS4_PjPKT0_NS_24const_host_device_scalarIT4_EES6_SA_PKT1_PKT2_SD_PT3_21rocsparse_index_base_b,@function
_ZN9rocsparseL22csrmvn_adaptive_kernelIll21rocsparse_complex_numIfES1_IdES3_S3_EEvbT_PKS4_PjPKT0_NS_24const_host_device_scalarIT4_EES6_SA_PKT1_PKT2_SD_PT3_21rocsparse_index_base_b: ; @_ZN9rocsparseL22csrmvn_adaptive_kernelIll21rocsparse_complex_numIfES1_IdES3_S3_EEvbT_PKS4_PjPKT0_NS_24const_host_device_scalarIT4_EES6_SA_PKT1_PKT2_SD_PT3_21rocsparse_index_base_b
; %bb.0:
	s_load_dwordx2 s[4:5], s[0:1], 0x28
	s_load_dwordx2 s[44:45], s[0:1], 0x70
	s_add_u32 s3, s0, 40
	s_addc_u32 s8, s1, 0
	s_add_u32 s9, s0, 0x58
	s_load_dwordx2 s[6:7], s[0:1], 0x58
	s_addc_u32 s10, s1, 0
	s_waitcnt lgkmcnt(0)
	s_bitcmp1_b32 s45, 0
	s_cselect_b32 s5, s8, s5
	s_cselect_b32 s3, s3, s4
	v_mov_b32_e32 v2, s3
	v_mov_b32_e32 v3, s5
	flat_load_dwordx4 v[6:9], v[2:3]
	s_cselect_b32 s3, s10, s7
	s_cselect_b32 s4, s9, s6
	v_mov_b32_e32 v2, s4
	v_mov_b32_e32 v3, s3
	flat_load_dwordx4 v[2:5], v[2:3]
	s_waitcnt vmcnt(0) lgkmcnt(0)
	v_cmp_eq_f64_e32 vcc, 0, v[6:7]
	v_cmp_eq_f64_e64 s[4:5], 0, v[8:9]
	s_and_b64 s[8:9], vcc, s[4:5]
	s_mov_b64 s[4:5], -1
	s_and_saveexec_b64 s[6:7], s[8:9]
; %bb.1:
	v_cmp_neq_f64_e32 vcc, 1.0, v[2:3]
	v_cmp_neq_f64_e64 s[4:5], 0, v[4:5]
	s_or_b64 s[4:5], vcc, s[4:5]
	s_orn2_b64 s[4:5], s[4:5], exec
; %bb.2:
	s_or_b64 exec, exec, s[6:7]
	s_and_saveexec_b64 s[6:7], s[4:5]
	s_cbranch_execz .LBB115_114
; %bb.3:
	s_load_dwordx2 s[6:7], s[0:1], 0x20
	s_load_dword s3, s[0:1], 0x0
	s_load_dwordx2 s[4:5], s[0:1], 0x10
	s_waitcnt lgkmcnt(0)
	s_bitcmp1_b32 s3, 0
	s_cselect_b64 s[46:47], -1, 0
	s_ashr_i32 s3, s2, 31
	s_lshl_b64 s[8:9], s[2:3], 3
	s_add_u32 s4, s4, s8
	s_addc_u32 s5, s5, s9
	s_load_dwordx4 s[36:39], s[4:5], 0x0
	s_load_dwordx2 s[22:23], s[0:1], 0x68
	s_load_dwordx8 s[24:31], s[0:1], 0x38
	s_waitcnt lgkmcnt(0)
	s_sub_u32 s4, s38, s36
	s_subb_u32 s5, s39, s37
	s_add_u32 s6, s6, s8
	s_addc_u32 s7, s7, s9
	s_lshl_b64 s[8:9], s[36:37], 3
	s_add_u32 s42, s24, s8
	s_addc_u32 s43, s25, s9
	s_load_dwordx2 s[34:35], s[6:7], 0x0
	s_load_dwordx2 s[40:41], s[42:43], 0x0
	v_cmp_lt_i64_e64 s[8:9], s[4:5], 2
	s_mov_b64 s[6:7], -1
	s_and_b64 vcc, exec, s[8:9]
	s_cbranch_vccz .LBB115_70
; %bb.4:
	s_cmp_lg_u64 s[4:5], 1
	s_cselect_b64 s[4:5], -1, 0
	s_waitcnt lgkmcnt(0)
	s_cmp_lg_u64 s[34:35], 0
	s_cselect_b64 s[6:7], -1, 0
	s_or_b64 s[4:5], s[4:5], s[6:7]
	s_mov_b64 s[18:19], -1
	s_and_b64 vcc, exec, s[4:5]
	v_cmp_gt_u32_e64 s[4:5], 64, v0
	v_cmp_gt_u32_e64 s[6:7], 32, v0
	;; [unrolled: 1-line block ×6, first 2 shown]
	v_cmp_eq_u32_e64 s[16:17], 0, v0
	s_cbranch_vccnz .LBB115_32
; %bb.5:
	v_subrev_co_u32_e32 v14, vcc, s44, v0
	v_cmp_neq_f64_e64 s[20:21], 0, v[4:5]
	s_nop 0
	v_subb_co_u32_e64 v15, s[18:19], 0, 0, vcc
	v_cmp_neq_f64_e32 vcc, 0, v[2:3]
	s_or_b64 s[20:21], vcc, s[20:21]
	s_movk_i32 s18, 0x80
	s_add_u32 s48, s28, 4
	v_mov_b32_e32 v1, 0
	v_lshlrev_b32_e32 v24, 4, v0
	v_cmp_gt_u32_e64 s[18:19], s18, v0
	s_addc_u32 s49, s29, 0
	s_mov_b64 s[50:51], 0x100
	s_mov_b64 s[52:53], 0x800
	v_mov_b64_e32 v[16:17], s[38:39]
	s_mov_b64 s[54:55], s[36:37]
	s_branch .LBB115_8
.LBB115_6:                              ;   in Loop: Header=BB115_8 Depth=1
	s_or_b64 exec, exec, s[58:59]
	s_lshl_b64 s[58:59], s[54:55], 4
	s_add_u32 s58, s22, s58
	s_addc_u32 s59, s23, s59
	s_waitcnt lgkmcnt(0)
	global_store_dwordx4 v1, v[10:13], s[58:59]
.LBB115_7:                              ;   in Loop: Header=BB115_8 Depth=1
	s_or_b64 exec, exec, s[56:57]
	s_add_u32 s54, s54, 1
	s_addc_u32 s55, s55, 0
	v_cmp_ge_i64_e32 vcc, s[54:55], v[16:17]
	s_cbranch_vccnz .LBB115_31
.LBB115_8:                              ; =>This Loop Header: Depth=1
                                        ;     Child Loop BB115_10 Depth 2
	s_lshl_b64 s[56:57], s[54:55], 3
	s_add_u32 s60, s24, s56
	s_addc_u32 s61, s25, s57
	s_load_dwordx4 s[56:59], s[60:61], 0x0
	v_mov_b64_e32 v[12:13], 0
	v_mov_b64_e32 v[10:11], 0
	s_waitcnt lgkmcnt(0)
	s_sub_u32 s58, s58, s44
	v_lshl_add_u64 v[18:19], s[56:57], 0, v[14:15]
	s_subb_u32 s59, s59, 0
	v_cmp_gt_i64_e32 vcc, s[58:59], v[18:19]
	s_and_saveexec_b64 s[56:57], vcc
	s_cbranch_execz .LBB115_12
; %bb.9:                                ;   in Loop: Header=BB115_8 Depth=1
	v_lshlrev_b64 v[10:11], 3, v[18:19]
	v_mov_b64_e32 v[12:13], 0
	v_lshl_add_u64 v[20:21], s[48:49], 0, v[10:11]
	v_lshl_add_u64 v[22:23], s[26:27], 0, v[10:11]
	s_mov_b64 s[60:61], 0
	v_mov_b64_e32 v[10:11], v[12:13]
.LBB115_10:                             ;   Parent Loop BB115_8 Depth=1
                                        ; =>  This Inner Loop Header: Depth=2
	global_load_dwordx2 v[26:27], v[22:23], off
	global_load_dwordx2 v[30:31], v[20:21], off offset:-4
	v_lshl_add_u64 v[18:19], v[18:19], 0, s[50:51]
	v_lshl_add_u64 v[20:21], v[20:21], 0, s[52:53]
	;; [unrolled: 1-line block ×3, first 2 shown]
	s_waitcnt vmcnt(1)
	v_subrev_co_u32_e32 v26, vcc, s44, v26
	s_nop 1
	v_subbrev_co_u32_e32 v27, vcc, 0, v27, vcc
	v_lshl_add_u64 v[26:27], v[26:27], 4, s[30:31]
	global_load_dwordx4 v[26:29], v[26:27], off
	s_waitcnt vmcnt(1)
	v_cndmask_b32_e64 v25, v31, -v31, s[46:47]
	v_cvt_f64_f32_e32 v[32:33], v25
	v_cvt_f64_f32_e32 v[30:31], v30
	v_mul_f64 v[34:35], -v[8:9], v[32:33]
	v_mul_f64 v[32:33], v[6:7], v[32:33]
	v_fmac_f64_e32 v[34:35], v[6:7], v[30:31]
	v_fmac_f64_e32 v[32:33], v[8:9], v[30:31]
	v_cmp_le_i64_e32 vcc, s[58:59], v[18:19]
	s_or_b64 s[60:61], vcc, s[60:61]
	s_waitcnt vmcnt(0)
	v_fmac_f64_e32 v[10:11], v[34:35], v[26:27]
	v_fmac_f64_e32 v[12:13], v[32:33], v[26:27]
	v_fma_f64 v[10:11], -v[32:33], v[28:29], v[10:11]
	v_fmac_f64_e32 v[12:13], v[34:35], v[28:29]
	s_andn2_b64 exec, exec, s[60:61]
	s_cbranch_execnz .LBB115_10
; %bb.11:                               ;   in Loop: Header=BB115_8 Depth=1
	s_or_b64 exec, exec, s[60:61]
.LBB115_12:                             ;   in Loop: Header=BB115_8 Depth=1
	s_or_b64 exec, exec, s[56:57]
	ds_write_b128 v24, v[10:13]
	s_waitcnt lgkmcnt(0)
	s_barrier
	s_and_saveexec_b64 s[56:57], s[18:19]
	s_cbranch_execz .LBB115_14
; %bb.13:                               ;   in Loop: Header=BB115_8 Depth=1
	ds_read_b128 v[10:13], v24 offset:2048
	ds_read_b128 v[18:21], v24
	s_waitcnt lgkmcnt(0)
	v_add_f64 v[10:11], v[10:11], v[18:19]
	v_add_f64 v[12:13], v[12:13], v[20:21]
	ds_write_b128 v24, v[10:13]
.LBB115_14:                             ;   in Loop: Header=BB115_8 Depth=1
	s_or_b64 exec, exec, s[56:57]
	s_waitcnt lgkmcnt(0)
	s_barrier
	s_and_saveexec_b64 s[56:57], s[4:5]
	s_cbranch_execz .LBB115_16
; %bb.15:                               ;   in Loop: Header=BB115_8 Depth=1
	ds_read_b128 v[10:13], v24 offset:1024
	ds_read_b128 v[18:21], v24
	s_waitcnt lgkmcnt(0)
	v_add_f64 v[10:11], v[10:11], v[18:19]
	v_add_f64 v[12:13], v[12:13], v[20:21]
	ds_write_b128 v24, v[10:13]
.LBB115_16:                             ;   in Loop: Header=BB115_8 Depth=1
	s_or_b64 exec, exec, s[56:57]
	;; [unrolled: 13-line block ×6, first 2 shown]
	s_waitcnt lgkmcnt(0)
	s_barrier
	s_and_saveexec_b64 s[56:57], s[14:15]
	s_cbranch_execz .LBB115_26
; %bb.25:                               ;   in Loop: Header=BB115_8 Depth=1
	ds_read_b128 v[10:13], v24
	ds_read_b128 v[18:21], v24 offset:32
	s_waitcnt lgkmcnt(0)
	v_add_f64 v[10:11], v[18:19], v[10:11]
	v_add_f64 v[12:13], v[20:21], v[12:13]
	ds_write_b128 v24, v[10:13]
.LBB115_26:                             ;   in Loop: Header=BB115_8 Depth=1
	s_or_b64 exec, exec, s[56:57]
	s_waitcnt lgkmcnt(0)
	s_barrier
	s_and_saveexec_b64 s[56:57], s[16:17]
	s_cbranch_execz .LBB115_28
; %bb.27:                               ;   in Loop: Header=BB115_8 Depth=1
	ds_read_b128 v[10:13], v1
	ds_read_b128 v[18:21], v1 offset:16
	s_waitcnt lgkmcnt(0)
	v_add_f64 v[10:11], v[18:19], v[10:11]
	v_add_f64 v[12:13], v[20:21], v[12:13]
	ds_write_b128 v1, v[10:13]
.LBB115_28:                             ;   in Loop: Header=BB115_8 Depth=1
	s_or_b64 exec, exec, s[56:57]
	s_waitcnt lgkmcnt(0)
	s_barrier
	s_and_saveexec_b64 s[56:57], s[16:17]
	s_cbranch_execz .LBB115_7
; %bb.29:                               ;   in Loop: Header=BB115_8 Depth=1
	ds_read_b128 v[10:13], v1
	s_and_saveexec_b64 s[58:59], s[20:21]
	s_cbranch_execz .LBB115_6
; %bb.30:                               ;   in Loop: Header=BB115_8 Depth=1
	s_lshl_b64 s[60:61], s[54:55], 4
	s_add_u32 s60, s22, s60
	s_addc_u32 s61, s23, s61
	global_load_dwordx4 v[18:21], v1, s[60:61]
	s_waitcnt vmcnt(0) lgkmcnt(0)
	v_fmac_f64_e32 v[10:11], v[2:3], v[18:19]
	v_fmac_f64_e32 v[12:13], v[4:5], v[18:19]
	v_fma_f64 v[10:11], -v[4:5], v[20:21], v[10:11]
	v_fmac_f64_e32 v[12:13], v[2:3], v[20:21]
	s_branch .LBB115_6
.LBB115_31:
	s_mov_b64 s[18:19], 0
.LBB115_32:
	s_and_b64 vcc, exec, s[18:19]
	s_cbranch_vccz .LBB115_69
; %bb.33:
	s_load_dwordx2 s[6:7], s[0:1], 0x18
	s_sub_u32 s8, s2, s34
	s_subb_u32 s9, s3, s35
	s_lshl_b64 s[2:3], s[2:3], 2
	v_mov_b32_e32 v1, 0
	s_waitcnt lgkmcnt(0)
	s_add_u32 s4, s6, s2
	s_addc_u32 s5, s7, s3
	global_load_dword v20, v1, s[4:5]
	s_cmp_lg_u64 s[34:35], 0
	s_cselect_b64 s[10:11], -1, 0
	s_cmp_eq_u64 s[34:35], 0
	s_cselect_b64 s[2:3], -1, 0
	v_cmp_eq_u32_e32 vcc, 0, v0
	s_and_b64 s[2:3], vcc, s[2:3]
	v_mov_b64_e32 v[10:11], 0
	v_mov_b64_e32 v[12:13], 0
	s_and_saveexec_b64 s[12:13], s[2:3]
	s_cbranch_execz .LBB115_37
; %bb.34:
	s_lshl_b64 s[2:3], s[36:37], 4
	s_add_u32 s2, s22, s2
	s_addc_u32 s3, s23, s3
	global_load_dwordx4 v[14:17], v1, s[2:3]
	s_mov_b64 s[14:15], exec
	v_mbcnt_lo_u32_b32 v10, s14, 0
	v_add_f64 v[18:19], v[2:3], -1.0
	v_mbcnt_hi_u32_b32 v21, s15, v10
	v_cmp_eq_u32_e64 s[2:3], 0, v21
	s_waitcnt vmcnt(0) expcnt(0) lgkmcnt(0)
	v_mul_f64 v[10:11], v[16:17], -v[4:5]
	v_mul_f64 v[12:13], v[18:19], v[16:17]
	s_and_saveexec_b64 s[16:17], s[2:3]
	s_cbranch_execz .LBB115_36
; %bb.35:
	s_lshl_b64 s[2:3], s[8:9], 2
	s_add_u32 s2, s6, s2
	s_addc_u32 s3, s7, s3
	s_bcnt1_i32_b64 s14, s[14:15]
	s_and_b32 s14, s14, 1
	v_mov_b32_e32 v16, 0
	v_mov_b32_e32 v17, s14
	global_atomic_xor v16, v17, s[2:3]
.LBB115_36:
	s_or_b64 exec, exec, s[16:17]
	v_fmac_f64_e32 v[10:11], v[18:19], v[14:15]
	v_fmac_f64_e32 v[12:13], v[4:5], v[14:15]
.LBB115_37:
	s_or_b64 exec, exec, s[12:13]
	s_mul_i32 s2, s35, 0xc00
	s_mul_hi_u32 s3, s34, 0xc00
	s_add_i32 s12, s3, s2
	s_load_dwordx2 s[2:3], s[42:43], 0x8
	s_sub_u32 s14, s40, s44
	s_mul_i32 s13, s34, 0xc00
	s_subb_u32 s15, s41, 0
	s_add_u32 s16, s14, s13
	s_addc_u32 s17, s15, s12
	s_waitcnt lgkmcnt(0)
	s_sub_u32 s14, s2, s44
	s_subb_u32 s15, s3, 0
	v_lshl_add_u64 v[14:15], s[16:17], 0, v[0:1]
	v_cmp_gt_i64_e64 s[2:3], s[14:15], v[14:15]
	s_and_saveexec_b64 s[12:13], s[2:3]
	s_cbranch_execz .LBB115_41
; %bb.38:
	s_add_u32 s16, s16, 0xc00
	s_addc_u32 s17, s17, 0
	v_mov_b64_e32 v[16:17], s[14:15]
	v_cmp_lt_i64_e64 s[2:3], s[16:17], v[16:17]
	v_lshlrev_b64 v[18:19], 3, v[14:15]
	s_and_b64 s[2:3], s[2:3], exec
	v_lshl_add_u64 v[16:17], s[28:29], 0, v[18:19]
	s_cselect_b32 s15, s17, s15
	s_cselect_b32 s14, s16, s14
	v_lshl_add_u64 v[16:17], v[16:17], 0, 4
	v_lshl_add_u64 v[18:19], s[26:27], 0, v[18:19]
	s_mov_b64 s[16:17], 0
	s_mov_b64 s[18:19], 0x100
	s_mov_b64 s[20:21], 0x800
.LBB115_39:                             ; =>This Inner Loop Header: Depth=1
	global_load_dwordx2 v[22:23], v[18:19], off
	global_load_dwordx2 v[26:27], v[16:17], off offset:-4
	v_lshl_add_u64 v[14:15], v[14:15], 0, s[18:19]
	v_lshl_add_u64 v[16:17], v[16:17], 0, s[20:21]
	;; [unrolled: 1-line block ×3, first 2 shown]
	s_waitcnt vmcnt(1)
	v_subrev_co_u32_e64 v22, s[2:3], s44, v22
	s_nop 1
	v_subbrev_co_u32_e64 v23, s[2:3], 0, v23, s[2:3]
	v_lshl_add_u64 v[22:23], v[22:23], 4, s[30:31]
	global_load_dwordx4 v[22:25], v[22:23], off
	s_waitcnt vmcnt(1)
	v_cndmask_b32_e64 v1, v27, -v27, s[46:47]
	v_cvt_f64_f32_e32 v[28:29], v1
	v_cvt_f64_f32_e32 v[26:27], v26
	v_mul_f64 v[30:31], -v[8:9], v[28:29]
	v_mul_f64 v[28:29], v[6:7], v[28:29]
	v_fmac_f64_e32 v[30:31], v[6:7], v[26:27]
	v_fmac_f64_e32 v[28:29], v[8:9], v[26:27]
	v_cmp_le_i64_e64 s[2:3], s[14:15], v[14:15]
	s_or_b64 s[16:17], s[2:3], s[16:17]
	s_waitcnt vmcnt(0)
	v_fmac_f64_e32 v[10:11], v[30:31], v[22:23]
	v_fmac_f64_e32 v[12:13], v[28:29], v[22:23]
	v_fma_f64 v[10:11], -v[28:29], v[24:25], v[10:11]
	v_fmac_f64_e32 v[12:13], v[30:31], v[24:25]
	s_andn2_b64 exec, exec, s[16:17]
	s_cbranch_execnz .LBB115_39
; %bb.40:
	s_or_b64 exec, exec, s[16:17]
.LBB115_41:
	s_or_b64 exec, exec, s[12:13]
	s_movk_i32 s2, 0x80
	v_lshlrev_b32_e32 v1, 4, v0
	v_cmp_gt_u32_e64 s[2:3], s2, v0
	ds_write_b128 v1, v[10:13]
	s_waitcnt lgkmcnt(0)
	s_barrier
	s_and_saveexec_b64 s[12:13], s[2:3]
	s_cbranch_execz .LBB115_43
; %bb.42:
	ds_read_b128 v[10:13], v1 offset:2048
	ds_read_b128 v[14:17], v1
	s_waitcnt lgkmcnt(0)
	v_add_f64 v[10:11], v[10:11], v[14:15]
	v_add_f64 v[12:13], v[12:13], v[16:17]
	ds_write_b128 v1, v[10:13]
.LBB115_43:
	s_or_b64 exec, exec, s[12:13]
	v_cmp_gt_u32_e64 s[2:3], 64, v0
	s_waitcnt lgkmcnt(0)
	s_barrier
	s_and_saveexec_b64 s[12:13], s[2:3]
	s_cbranch_execz .LBB115_45
; %bb.44:
	ds_read_b128 v[10:13], v1 offset:1024
	ds_read_b128 v[14:17], v1
	s_waitcnt lgkmcnt(0)
	v_add_f64 v[10:11], v[10:11], v[14:15]
	v_add_f64 v[12:13], v[12:13], v[16:17]
	ds_write_b128 v1, v[10:13]
.LBB115_45:
	s_or_b64 exec, exec, s[12:13]
	v_cmp_gt_u32_e64 s[2:3], 32, v0
	s_waitcnt lgkmcnt(0)
	s_barrier
	s_and_saveexec_b64 s[12:13], s[2:3]
	s_cbranch_execz .LBB115_47
; %bb.46:
	ds_read_b128 v[10:13], v1 offset:512
	ds_read_b128 v[14:17], v1
	s_waitcnt lgkmcnt(0)
	v_add_f64 v[10:11], v[10:11], v[14:15]
	v_add_f64 v[12:13], v[12:13], v[16:17]
	ds_write_b128 v1, v[10:13]
.LBB115_47:
	s_or_b64 exec, exec, s[12:13]
	v_cmp_gt_u32_e64 s[2:3], 16, v0
	s_waitcnt lgkmcnt(0)
	s_barrier
	s_and_saveexec_b64 s[12:13], s[2:3]
	s_cbranch_execz .LBB115_49
; %bb.48:
	ds_read_b128 v[10:13], v1 offset:256
	ds_read_b128 v[14:17], v1
	s_waitcnt lgkmcnt(0)
	v_add_f64 v[10:11], v[10:11], v[14:15]
	v_add_f64 v[12:13], v[12:13], v[16:17]
	ds_write_b128 v1, v[10:13]
.LBB115_49:
	s_or_b64 exec, exec, s[12:13]
	v_cmp_gt_u32_e64 s[2:3], 8, v0
	s_waitcnt lgkmcnt(0)
	s_barrier
	s_and_saveexec_b64 s[12:13], s[2:3]
	s_cbranch_execz .LBB115_51
; %bb.50:
	ds_read_b128 v[10:13], v1 offset:128
	ds_read_b128 v[14:17], v1
	s_waitcnt lgkmcnt(0)
	v_add_f64 v[10:11], v[10:11], v[14:15]
	v_add_f64 v[12:13], v[12:13], v[16:17]
	ds_write_b128 v1, v[10:13]
.LBB115_51:
	s_or_b64 exec, exec, s[12:13]
	v_cmp_gt_u32_e64 s[2:3], 4, v0
	s_waitcnt lgkmcnt(0)
	s_barrier
	s_and_saveexec_b64 s[12:13], s[2:3]
	s_cbranch_execz .LBB115_53
; %bb.52:
	ds_read_b128 v[10:13], v1 offset:64
	ds_read_b128 v[14:17], v1
	s_waitcnt lgkmcnt(0)
	v_add_f64 v[10:11], v[10:11], v[14:15]
	v_add_f64 v[12:13], v[12:13], v[16:17]
	ds_write_b128 v1, v[10:13]
.LBB115_53:
	s_or_b64 exec, exec, s[12:13]
	v_cmp_gt_u32_e64 s[2:3], 2, v0
	s_waitcnt lgkmcnt(0)
	s_barrier
	s_and_saveexec_b64 s[12:13], s[2:3]
	s_cbranch_execz .LBB115_55
; %bb.54:
	ds_read_b128 v[10:13], v1
	ds_read_b128 v[14:17], v1 offset:32
	s_waitcnt lgkmcnt(0)
	v_add_f64 v[10:11], v[14:15], v[10:11]
	v_add_f64 v[12:13], v[16:17], v[12:13]
	ds_write_b128 v1, v[10:13]
.LBB115_55:
	s_or_b64 exec, exec, s[12:13]
	s_waitcnt lgkmcnt(0)
	s_barrier
	s_and_saveexec_b64 s[2:3], vcc
	s_cbranch_execz .LBB115_57
; %bb.56:
	v_mov_b32_e32 v1, 0
	ds_read_b128 v[10:13], v1
	ds_read_b128 v[14:17], v1 offset:16
	s_waitcnt lgkmcnt(0)
	v_add_f64 v[10:11], v[14:15], v[10:11]
	v_add_f64 v[12:13], v[16:17], v[12:13]
	ds_write_b128 v1, v[10:13]
.LBB115_57:
	s_or_b64 exec, exec, s[2:3]
	s_waitcnt lgkmcnt(0)
	s_barrier
	s_and_saveexec_b64 s[2:3], vcc
	s_cbranch_execz .LBB115_68
; %bb.58:
	s_andn2_b64 vcc, exec, s[10:11]
	s_cbranch_vccnz .LBB115_64
; %bb.59:
	s_lshl_b64 s[8:9], s[8:9], 2
	s_add_u32 s6, s6, s8
	s_addc_u32 s7, s7, s9
	v_mov_b32_e32 v1, 0
	s_branch .LBB115_61
.LBB115_60:                             ;   in Loop: Header=BB115_61 Depth=1
	s_or_b64 exec, exec, s[8:9]
	s_waitcnt vmcnt(0)
	v_readfirstlane_b32 s8, v10
	s_nop 1
	v_cmp_eq_u32_e32 vcc, s8, v20
	s_cbranch_vccz .LBB115_63
.LBB115_61:                             ; =>This Inner Loop Header: Depth=1
	v_mbcnt_lo_u32_b32 v10, exec_lo, 0
	v_mbcnt_hi_u32_b32 v10, exec_hi, v10
	v_cmp_eq_u32_e32 vcc, 0, v10
                                        ; implicit-def: $vgpr10
	s_and_saveexec_b64 s[8:9], vcc
	s_cbranch_execz .LBB115_60
; %bb.62:                               ;   in Loop: Header=BB115_61 Depth=1
	global_load_dword v10, v1, s[6:7] sc1
	s_branch .LBB115_60
.LBB115_63:
	v_mov_b32_e32 v1, 0
	global_load_ushort v10, v1, s[4:5]
	s_waitcnt vmcnt(0)
	v_xor_b32_e32 v10, 1, v10
	global_store_short v1, v10, s[4:5]
.LBB115_64:
	v_mov_b32_e32 v1, 0
	ds_read_b128 v[10:13], v1
	s_mov_b64 s[6:7], exec
	s_lshl_b64 s[4:5], s[36:37], 4
	v_mbcnt_lo_u32_b32 v14, s6, 0
	s_add_u32 s4, s22, s4
	v_mbcnt_hi_u32_b32 v14, s7, v14
	s_addc_u32 s5, s23, s5
	v_cmp_eq_u32_e32 vcc, 0, v14
	s_and_saveexec_b64 s[8:9], vcc
	s_cbranch_execz .LBB115_66
; %bb.65:
	s_bcnt1_i32_b64 s6, s[6:7]
	v_cvt_f64_u32_e32 v[14:15], s6
	s_waitcnt lgkmcnt(0)
	v_mul_f64 v[10:11], v[10:11], v[14:15]
	global_atomic_add_f64 v1, v[10:11], s[4:5]
.LBB115_66:
	s_or_b64 exec, exec, s[8:9]
	s_mov_b64 s[6:7], exec
	v_mbcnt_lo_u32_b32 v1, s6, 0
	v_mbcnt_hi_u32_b32 v1, s7, v1
	v_cmp_eq_u32_e32 vcc, 0, v1
	s_and_b64 s[8:9], exec, vcc
	s_mov_b64 exec, s[8:9]
	s_cbranch_execz .LBB115_68
; %bb.67:
	s_bcnt1_i32_b64 s6, s[6:7]
	s_waitcnt lgkmcnt(0)
	v_cvt_f64_u32_e32 v[10:11], s6
	v_mul_f64 v[10:11], v[12:13], v[10:11]
	v_mov_b32_e32 v1, 0
	global_atomic_add_f64 v1, v[10:11], s[4:5] offset:8
.LBB115_68:
	s_or_b64 exec, exec, s[2:3]
.LBB115_69:
	s_mov_b64 s[6:7], 0
.LBB115_70:
	s_andn2_b64 vcc, exec, s[6:7]
	s_cbranch_vccnz .LBB115_114
; %bb.71:
	s_load_dwordx2 s[0:1], s[0:1], 0x8
	s_waitcnt lgkmcnt(0)
	v_subrev_co_u32_e32 v10, vcc, s44, v0
	v_mov_b32_e32 v1, 0
	s_nop 0
	v_subb_co_u32_e64 v11, s[2:3], 0, 0, vcc
	v_lshl_add_u64 v[10:11], s[40:41], 0, v[10:11]
	s_mov_b64 s[2:3], 0x300
	v_lshl_add_u64 v[12:13], v[10:11], 0, s[2:3]
	v_cmp_le_i64_e32 vcc, s[0:1], v[12:13]
	s_and_saveexec_b64 s[0:1], vcc
	s_xor_b64 s[0:1], exec, s[0:1]
	s_cbranch_execz .LBB115_76
; %bb.72:
	s_lshl_b64 s[2:3], s[38:39], 3
	s_add_u32 s2, s24, s2
	s_addc_u32 s3, s25, s3
	s_load_dwordx2 s[2:3], s[2:3], 0x0
	s_waitcnt lgkmcnt(0)
	s_sub_u32 s2, s2, s44
	s_subb_u32 s3, s3, 0
	v_cmp_gt_i64_e32 vcc, s[2:3], v[10:11]
	s_and_saveexec_b64 s[4:5], vcc
	s_cbranch_execz .LBB115_75
; %bb.73:
	v_lshlrev_b64 v[14:15], 3, v[10:11]
	v_lshl_add_u64 v[12:13], s[26:27], 0, v[14:15]
	v_lshl_add_u64 v[14:15], s[28:29], 0, v[14:15]
	v_lshlrev_b32_e32 v16, 4, v0
	v_lshl_add_u64 v[14:15], v[14:15], 0, 4
	s_mov_b64 s[6:7], 0
	s_mov_b64 s[8:9], 0x100
	;; [unrolled: 1-line block ×3, first 2 shown]
.LBB115_74:                             ; =>This Inner Loop Header: Depth=1
	global_load_dwordx2 v[18:19], v[12:13], off
	global_load_dwordx2 v[22:23], v[14:15], off offset:-4
	v_lshl_add_u64 v[10:11], v[10:11], 0, s[8:9]
	v_lshl_add_u64 v[12:13], v[12:13], 0, s[10:11]
	;; [unrolled: 1-line block ×3, first 2 shown]
	s_waitcnt vmcnt(1)
	v_subrev_co_u32_e32 v18, vcc, s44, v18
	s_nop 1
	v_subbrev_co_u32_e32 v19, vcc, 0, v19, vcc
	v_lshl_add_u64 v[18:19], v[18:19], 4, s[30:31]
	global_load_dwordx4 v[18:21], v[18:19], off
	s_waitcnt vmcnt(1)
	v_cndmask_b32_e64 v17, v23, -v23, s[46:47]
	v_cvt_f64_f32_e32 v[24:25], v17
	v_cvt_f64_f32_e32 v[22:23], v22
	v_mul_f64 v[26:27], -v[8:9], v[24:25]
	v_mul_f64 v[28:29], v[6:7], v[24:25]
	v_fmac_f64_e32 v[26:27], v[6:7], v[22:23]
	v_fmac_f64_e32 v[28:29], v[8:9], v[22:23]
	v_cmp_le_i64_e32 vcc, s[2:3], v[10:11]
	s_or_b64 s[6:7], vcc, s[6:7]
	s_waitcnt vmcnt(0)
	v_mul_f64 v[22:23], v[20:21], -v[28:29]
	v_mul_f64 v[24:25], v[20:21], v[26:27]
	v_fmac_f64_e32 v[22:23], v[26:27], v[18:19]
	v_fmac_f64_e32 v[24:25], v[28:29], v[18:19]
	ds_write_b128 v16, v[22:25]
	v_add_u32_e32 v16, 0x1000, v16
	s_andn2_b64 exec, exec, s[6:7]
	s_cbranch_execnz .LBB115_74
.LBB115_75:
	s_or_b64 exec, exec, s[4:5]
                                        ; implicit-def: $vgpr10_vgpr11
                                        ; implicit-def: $vgpr8_vgpr9
.LBB115_76:
	s_or_saveexec_b64 s[0:1], s[0:1]
	v_lshlrev_b32_e32 v18, 4, v0
	s_xor_b64 exec, exec, s[0:1]
	s_cbranch_execz .LBB115_78
; %bb.77:
	v_lshlrev_b64 v[10:11], 3, v[10:11]
	v_lshl_add_u64 v[12:13], s[26:27], 0, v[10:11]
	global_load_dwordx2 v[14:15], v[12:13], off
	global_load_dwordx2 v[16:17], v[12:13], off offset:2048
	s_movk_i32 s2, 0x1000
	v_add_co_u32_e32 v12, vcc, s2, v12
	v_lshl_add_u64 v[10:11], s[28:29], 0, v[10:11]
	s_nop 0
	v_addc_co_u32_e32 v13, vcc, 0, v13, vcc
	global_load_dwordx2 v[20:21], v[12:13], off
	global_load_dwordx2 v[22:23], v[12:13], off offset:2048
	global_load_dwordx2 v[28:29], v[10:11], off
	global_load_dwordx2 v[30:31], v[10:11], off offset:2048
	v_add_co_u32_e32 v10, vcc, s2, v10
	s_waitcnt vmcnt(1)
	v_cndmask_b32_e64 v19, v29, -v29, s[46:47]
	v_addc_co_u32_e32 v11, vcc, 0, v11, vcc
	global_load_dwordx2 v[32:33], v[10:11], off
	global_load_dwordx2 v[34:35], v[10:11], off offset:2048
	v_subrev_co_u32_e32 v10, vcc, s44, v14
	s_waitcnt vmcnt(2)
	v_cndmask_b32_e64 v38, v31, -v31, s[46:47]
	v_subbrev_co_u32_e32 v11, vcc, 0, v15, vcc
	v_subrev_co_u32_e32 v12, vcc, s44, v16
	v_lshl_add_u64 v[10:11], v[10:11], 4, s[30:31]
	s_nop 0
	v_subbrev_co_u32_e32 v13, vcc, 0, v17, vcc
	v_subrev_co_u32_e32 v20, vcc, s44, v20
	v_lshl_add_u64 v[14:15], v[12:13], 4, s[30:31]
	s_nop 0
	v_subbrev_co_u32_e32 v21, vcc, 0, v21, vcc
	v_subrev_co_u32_e32 v24, vcc, s44, v22
	global_load_dwordx4 v[10:13], v[10:11], off
	s_nop 0
	v_subbrev_co_u32_e32 v25, vcc, 0, v23, vcc
	v_lshl_add_u64 v[20:21], v[20:21], 4, s[30:31]
	global_load_dwordx4 v[14:17], v[14:15], off
	v_lshl_add_u64 v[24:25], v[24:25], 4, s[30:31]
	global_load_dwordx4 v[20:23], v[20:21], off
	v_cvt_f64_f32_e32 v[36:37], v19
	global_load_dwordx4 v[24:27], v[24:25], off
	v_cvt_f64_f32_e32 v[28:29], v28
	v_cvt_f64_f32_e32 v[38:39], v38
	v_mul_f64 v[40:41], -v[8:9], v[36:37]
	v_mul_f64 v[36:37], v[6:7], v[36:37]
	v_cvt_f64_f32_e32 v[30:31], v30
	v_mul_f64 v[42:43], -v[8:9], v[38:39]
	v_mul_f64 v[38:39], v[6:7], v[38:39]
	v_fmac_f64_e32 v[40:41], v[6:7], v[28:29]
	v_fmac_f64_e32 v[36:37], v[8:9], v[28:29]
	;; [unrolled: 1-line block ×4, first 2 shown]
	s_waitcnt vmcnt(5)
	v_cndmask_b32_e64 v19, v33, -v33, s[46:47]
	s_waitcnt vmcnt(4)
	v_cndmask_b32_e64 v46, v35, -v35, s[46:47]
	v_cvt_f64_f32_e32 v[44:45], v19
	v_cvt_f64_f32_e32 v[46:47], v46
	v_cvt_f64_f32_e32 v[32:33], v32
	v_cvt_f64_f32_e32 v[34:35], v34
	v_mul_f64 v[48:49], -v[8:9], v[44:45]
	v_mul_f64 v[44:45], v[6:7], v[44:45]
	v_mul_f64 v[50:51], -v[8:9], v[46:47]
	v_mul_f64 v[46:47], v[6:7], v[46:47]
	v_fmac_f64_e32 v[48:49], v[6:7], v[32:33]
	v_fmac_f64_e32 v[44:45], v[8:9], v[32:33]
	v_fmac_f64_e32 v[50:51], v[6:7], v[34:35]
	v_fmac_f64_e32 v[46:47], v[8:9], v[34:35]
	s_waitcnt vmcnt(3)
	v_mul_f64 v[6:7], v[12:13], -v[36:37]
	v_mul_f64 v[8:9], v[12:13], v[40:41]
	v_fmac_f64_e32 v[6:7], v[40:41], v[10:11]
	v_fmac_f64_e32 v[8:9], v[36:37], v[10:11]
	s_waitcnt vmcnt(2)
	v_mul_f64 v[28:29], v[16:17], -v[38:39]
	v_mul_f64 v[30:31], v[16:17], v[42:43]
	s_waitcnt vmcnt(1)
	v_mul_f64 v[10:11], v[22:23], -v[44:45]
	v_mul_f64 v[12:13], v[22:23], v[48:49]
	v_fmac_f64_e32 v[28:29], v[42:43], v[14:15]
	v_fmac_f64_e32 v[30:31], v[38:39], v[14:15]
	s_waitcnt vmcnt(0)
	v_mul_f64 v[14:15], v[26:27], -v[46:47]
	v_mul_f64 v[16:17], v[26:27], v[50:51]
	v_fmac_f64_e32 v[10:11], v[48:49], v[20:21]
	v_fmac_f64_e32 v[12:13], v[44:45], v[20:21]
	ds_write_b128 v18, v[6:9]
	ds_write_b128 v18, v[28:31] offset:4096
	v_fmac_f64_e32 v[14:15], v[50:51], v[24:25]
	v_fmac_f64_e32 v[16:17], v[46:47], v[24:25]
	ds_write_b128 v18, v[10:13] offset:8192
	ds_write_b128 v18, v[14:17] offset:12288
.LBB115_78:
	s_or_b64 exec, exec, s[0:1]
	v_cmp_lt_i64_e64 s[2:3], s[34:35], 2
	s_mov_b64 s[0:1], -1
	s_and_b64 vcc, exec, s[2:3]
	s_waitcnt lgkmcnt(0)
	s_barrier
	s_cbranch_vccz .LBB115_89
; %bb.79:
	v_lshl_add_u64 v[14:15], s[36:37], 0, v[0:1]
	v_cmp_gt_i64_e32 vcc, s[38:39], v[14:15]
	s_and_saveexec_b64 s[2:3], vcc
	s_cbranch_execz .LBB115_88
; %bb.80:
	v_cmp_neq_f64_e32 vcc, 0, v[2:3]
	v_cmp_neq_f64_e64 s[0:1], 0, v[4:5]
	s_lshl_b32 s6, s40, 4
	s_mov_b64 s[4:5], 0
	s_or_b64 s[0:1], vcc, s[0:1]
	s_sub_i32 s12, 0, s6
	s_mov_b64 s[6:7], 0x100
	s_branch .LBB115_82
.LBB115_81:                             ;   in Loop: Header=BB115_82 Depth=1
	s_or_b64 exec, exec, s[8:9]
	v_lshl_add_u64 v[14:15], v[14:15], 0, s[6:7]
	v_cmp_le_i64_e32 vcc, s[38:39], v[14:15]
	s_or_b64 s[4:5], vcc, s[4:5]
	global_store_dwordx4 v[10:11], v[6:9], off
	s_andn2_b64 exec, exec, s[4:5]
	s_cbranch_execz .LBB115_88
.LBB115_82:                             ; =>This Loop Header: Depth=1
                                        ;     Child Loop BB115_84 Depth 2
	v_lshl_add_u64 v[6:7], v[14:15], 3, s[24:25]
	global_load_dwordx4 v[10:13], v[6:7], off
	v_mov_b64_e32 v[8:9], 0
	v_mov_b64_e32 v[6:7], 0
	s_waitcnt vmcnt(0)
	v_cmp_lt_i64_e32 vcc, v[10:11], v[12:13]
	s_and_saveexec_b64 s[8:9], vcc
	s_cbranch_execz .LBB115_86
; %bb.83:                               ;   in Loop: Header=BB115_82 Depth=1
	v_mov_b32_e32 v1, s41
	v_subrev_co_u32_e32 v12, vcc, s40, v12
	v_mov_b64_e32 v[8:9], 0
	s_nop 0
	v_subb_co_u32_e32 v13, vcc, v13, v1, vcc
	v_subrev_co_u32_e32 v16, vcc, s40, v10
	s_mov_b64 s[10:11], 0
	s_nop 0
	v_subb_co_u32_e32 v17, vcc, v11, v1, vcc
	v_lshl_add_u32 v1, v10, 4, s12
	v_mov_b64_e32 v[6:7], v[8:9]
.LBB115_84:                             ;   Parent Loop BB115_82 Depth=1
                                        ; =>  This Inner Loop Header: Depth=2
	ds_read_b128 v[20:23], v1
	v_lshl_add_u64 v[16:17], v[16:17], 0, 1
	v_cmp_ge_i64_e32 vcc, v[16:17], v[12:13]
	v_add_u32_e32 v1, 16, v1
	s_or_b64 s[10:11], vcc, s[10:11]
	s_waitcnt lgkmcnt(0)
	v_add_f64 v[6:7], v[6:7], v[20:21]
	v_add_f64 v[8:9], v[8:9], v[22:23]
	s_andn2_b64 exec, exec, s[10:11]
	s_cbranch_execnz .LBB115_84
; %bb.85:                               ;   in Loop: Header=BB115_82 Depth=1
	s_or_b64 exec, exec, s[10:11]
.LBB115_86:                             ;   in Loop: Header=BB115_82 Depth=1
	s_or_b64 exec, exec, s[8:9]
	v_lshl_add_u64 v[10:11], v[14:15], 4, s[22:23]
	s_and_saveexec_b64 s[8:9], s[0:1]
	s_cbranch_execz .LBB115_81
; %bb.87:                               ;   in Loop: Header=BB115_82 Depth=1
	global_load_dwordx4 v[20:23], v[10:11], off
	s_waitcnt vmcnt(0)
	v_fmac_f64_e32 v[6:7], v[2:3], v[20:21]
	v_fmac_f64_e32 v[8:9], v[4:5], v[20:21]
	v_fma_f64 v[6:7], -v[4:5], v[22:23], v[6:7]
	v_fmac_f64_e32 v[8:9], v[2:3], v[22:23]
	s_branch .LBB115_81
.LBB115_88:
	s_or_b64 exec, exec, s[2:3]
	s_mov_b64 s[0:1], 0
.LBB115_89:
	s_andn2_b64 vcc, exec, s[0:1]
	s_cbranch_vccnz .LBB115_114
; %bb.90:
	s_flbit_i32_b32 s0, s34
	s_min_u32 s0, s0, 32
	s_sub_i32 s0, 31, s0
	v_lshrrev_b32_e32 v12, s0, v0
	v_mov_b32_e32 v13, 0
	v_lshl_add_u64 v[10:11], s[36:37], 0, v[12:13]
	s_add_i32 s0, s34, -1
	v_mov_b64_e32 v[6:7], 0
	v_and_b32_e32 v0, s0, v0
	v_mov_b32_e32 v1, v13
	v_cmp_le_i64_e64 s[0:1], s[38:39], v[10:11]
	v_cmp_gt_i64_e32 vcc, s[38:39], v[10:11]
	v_mov_b64_e32 v[8:9], v[6:7]
	s_and_saveexec_b64 s[2:3], vcc
	s_cbranch_execz .LBB115_96
; %bb.91:
	v_lshlrev_b32_e32 v6, 3, v12
	global_load_dwordx4 v[14:17], v6, s[42:43]
	v_mov_b32_e32 v7, s41
	v_subrev_co_u32_e32 v6, vcc, s40, v0
	v_mov_b32_e32 v13, s41
	s_nop 0
	v_subb_co_u32_e32 v7, vcc, 0, v7, vcc
	v_mov_b64_e32 v[8:9], 0
	s_waitcnt vmcnt(0)
	v_subrev_co_u32_e32 v12, vcc, s40, v16
	s_nop 1
	v_subb_co_u32_e32 v13, vcc, v17, v13, vcc
	v_lshl_add_u64 v[14:15], v[14:15], 0, v[6:7]
	v_cmp_lt_i64_e32 vcc, v[14:15], v[12:13]
	v_mov_b64_e32 v[6:7], 0
	s_and_saveexec_b64 s[4:5], vcc
	s_cbranch_execz .LBB115_95
; %bb.92:
	v_mov_b64_e32 v[8:9], 0
	v_lshlrev_b32_e32 v16, 4, v14
	s_lshl_b32 s8, s34, 4
	s_mov_b64 s[6:7], 0
	v_mov_b64_e32 v[6:7], v[8:9]
.LBB115_93:                             ; =>This Inner Loop Header: Depth=1
	ds_read_b128 v[20:23], v16
	v_lshl_add_u64 v[14:15], v[14:15], 0, s[34:35]
	v_cmp_ge_i64_e32 vcc, v[14:15], v[12:13]
	v_add_u32_e32 v16, s8, v16
	s_or_b64 s[6:7], vcc, s[6:7]
	s_waitcnt lgkmcnt(0)
	v_add_f64 v[6:7], v[6:7], v[20:21]
	v_add_f64 v[8:9], v[8:9], v[22:23]
	s_andn2_b64 exec, exec, s[6:7]
	s_cbranch_execnz .LBB115_93
; %bb.94:
	s_or_b64 exec, exec, s[6:7]
.LBB115_95:
	s_or_b64 exec, exec, s[4:5]
.LBB115_96:
	s_or_b64 exec, exec, s[2:3]
	v_mov_b64_e32 v[12:13], 0x81
	v_cmp_lt_u64_e32 vcc, s[34:35], v[12:13]
	s_and_b64 vcc, exec, vcc
	s_barrier
	ds_write_b128 v18, v[6:9]
	s_waitcnt lgkmcnt(0)
	s_barrier
	s_cbranch_vccnz .LBB115_98
; %bb.97:
	ds_read_b128 v[12:15], v18 offset:2048
	s_waitcnt lgkmcnt(0)
	s_barrier
	v_add_f64 v[6:7], v[6:7], v[12:13]
	v_add_f64 v[8:9], v[8:9], v[14:15]
	ds_write_b128 v18, v[6:9]
.LBB115_98:
	v_mov_b64_e32 v[12:13], 0x41
	v_cmp_lt_u64_e32 vcc, s[34:35], v[12:13]
	s_waitcnt lgkmcnt(0)
	s_barrier
	s_cbranch_vccnz .LBB115_100
; %bb.99:
	ds_read_b128 v[12:15], v18 offset:1024
	s_waitcnt lgkmcnt(0)
	s_barrier
	v_add_f64 v[6:7], v[6:7], v[12:13]
	v_add_f64 v[8:9], v[8:9], v[14:15]
	ds_write_b128 v18, v[6:9]
.LBB115_100:
	v_cmp_lt_u64_e64 s[2:3], s[34:35], 33
	s_and_b64 vcc, exec, s[2:3]
	s_waitcnt lgkmcnt(0)
	s_barrier
	s_cbranch_vccnz .LBB115_102
; %bb.101:
	ds_read_b128 v[12:15], v18 offset:512
	s_waitcnt lgkmcnt(0)
	s_barrier
	v_add_f64 v[6:7], v[6:7], v[12:13]
	v_add_f64 v[8:9], v[8:9], v[14:15]
	ds_write_b128 v18, v[6:9]
.LBB115_102:
	v_cmp_lt_u64_e64 s[2:3], s[34:35], 17
	s_and_b64 vcc, exec, s[2:3]
	;; [unrolled: 13-line block ×4, first 2 shown]
	s_waitcnt lgkmcnt(0)
	s_barrier
	s_cbranch_vccnz .LBB115_108
; %bb.107:
	ds_read_b128 v[12:15], v18 offset:64
	s_waitcnt lgkmcnt(0)
	s_barrier
	v_add_f64 v[6:7], v[6:7], v[12:13]
	v_add_f64 v[8:9], v[8:9], v[14:15]
	ds_write_b128 v18, v[6:9]
.LBB115_108:
	s_cmp_eq_u64 s[34:35], 2
	s_waitcnt lgkmcnt(0)
	s_barrier
	s_cbranch_scc1 .LBB115_110
; %bb.109:
	ds_read_b128 v[12:15], v18 offset:32
	s_waitcnt lgkmcnt(0)
	s_barrier
	v_add_f64 v[6:7], v[6:7], v[12:13]
	v_add_f64 v[8:9], v[8:9], v[14:15]
	ds_write_b128 v18, v[6:9]
.LBB115_110:
	s_waitcnt lgkmcnt(0)
	s_barrier
	ds_read_b128 v[12:15], v18 offset:16
	v_cmp_eq_u64_e32 vcc, 0, v[0:1]
	s_xor_b64 s[0:1], s[0:1], -1
	s_and_b64 s[0:1], vcc, s[0:1]
	s_waitcnt lgkmcnt(0)
	v_add_f64 v[6:7], v[6:7], v[12:13]
	v_add_f64 v[8:9], v[8:9], v[14:15]
	s_barrier
	ds_write_b128 v18, v[6:9]
	s_and_b64 exec, exec, s[0:1]
	s_cbranch_execz .LBB115_114
; %bb.111:
	v_cmp_neq_f64_e32 vcc, 0, v[2:3]
	v_cmp_neq_f64_e64 s[0:1], 0, v[4:5]
	s_or_b64 s[2:3], vcc, s[0:1]
	v_lshl_add_u64 v[0:1], v[10:11], 4, s[22:23]
	s_and_saveexec_b64 s[0:1], s[2:3]
	s_cbranch_execz .LBB115_113
; %bb.112:
	global_load_dwordx4 v[10:13], v[0:1], off
	s_waitcnt vmcnt(0)
	v_fmac_f64_e32 v[6:7], v[2:3], v[10:11]
	v_fmac_f64_e32 v[8:9], v[4:5], v[10:11]
	v_fma_f64 v[6:7], -v[4:5], v[12:13], v[6:7]
	v_fmac_f64_e32 v[8:9], v[2:3], v[12:13]
.LBB115_113:
	s_or_b64 exec, exec, s[0:1]
	global_store_dwordx4 v[0:1], v[6:9], off
.LBB115_114:
	s_endpgm
	.section	.rodata,"a",@progbits
	.p2align	6, 0x0
	.amdhsa_kernel _ZN9rocsparseL22csrmvn_adaptive_kernelIll21rocsparse_complex_numIfES1_IdES3_S3_EEvbT_PKS4_PjPKT0_NS_24const_host_device_scalarIT4_EES6_SA_PKT1_PKT2_SD_PT3_21rocsparse_index_base_b
		.amdhsa_group_segment_fixed_size 16384
		.amdhsa_private_segment_fixed_size 0
		.amdhsa_kernarg_size 120
		.amdhsa_user_sgpr_count 2
		.amdhsa_user_sgpr_dispatch_ptr 0
		.amdhsa_user_sgpr_queue_ptr 0
		.amdhsa_user_sgpr_kernarg_segment_ptr 1
		.amdhsa_user_sgpr_dispatch_id 0
		.amdhsa_user_sgpr_kernarg_preload_length 0
		.amdhsa_user_sgpr_kernarg_preload_offset 0
		.amdhsa_user_sgpr_private_segment_size 0
		.amdhsa_uses_dynamic_stack 0
		.amdhsa_enable_private_segment 0
		.amdhsa_system_sgpr_workgroup_id_x 1
		.amdhsa_system_sgpr_workgroup_id_y 0
		.amdhsa_system_sgpr_workgroup_id_z 0
		.amdhsa_system_sgpr_workgroup_info 0
		.amdhsa_system_vgpr_workitem_id 0
		.amdhsa_next_free_vgpr 52
		.amdhsa_next_free_sgpr 62
		.amdhsa_accum_offset 52
		.amdhsa_reserve_vcc 1
		.amdhsa_float_round_mode_32 0
		.amdhsa_float_round_mode_16_64 0
		.amdhsa_float_denorm_mode_32 3
		.amdhsa_float_denorm_mode_16_64 3
		.amdhsa_dx10_clamp 1
		.amdhsa_ieee_mode 1
		.amdhsa_fp16_overflow 0
		.amdhsa_tg_split 0
		.amdhsa_exception_fp_ieee_invalid_op 0
		.amdhsa_exception_fp_denorm_src 0
		.amdhsa_exception_fp_ieee_div_zero 0
		.amdhsa_exception_fp_ieee_overflow 0
		.amdhsa_exception_fp_ieee_underflow 0
		.amdhsa_exception_fp_ieee_inexact 0
		.amdhsa_exception_int_div_zero 0
	.end_amdhsa_kernel
	.section	.text._ZN9rocsparseL22csrmvn_adaptive_kernelIll21rocsparse_complex_numIfES1_IdES3_S3_EEvbT_PKS4_PjPKT0_NS_24const_host_device_scalarIT4_EES6_SA_PKT1_PKT2_SD_PT3_21rocsparse_index_base_b,"axG",@progbits,_ZN9rocsparseL22csrmvn_adaptive_kernelIll21rocsparse_complex_numIfES1_IdES3_S3_EEvbT_PKS4_PjPKT0_NS_24const_host_device_scalarIT4_EES6_SA_PKT1_PKT2_SD_PT3_21rocsparse_index_base_b,comdat
.Lfunc_end115:
	.size	_ZN9rocsparseL22csrmvn_adaptive_kernelIll21rocsparse_complex_numIfES1_IdES3_S3_EEvbT_PKS4_PjPKT0_NS_24const_host_device_scalarIT4_EES6_SA_PKT1_PKT2_SD_PT3_21rocsparse_index_base_b, .Lfunc_end115-_ZN9rocsparseL22csrmvn_adaptive_kernelIll21rocsparse_complex_numIfES1_IdES3_S3_EEvbT_PKS4_PjPKT0_NS_24const_host_device_scalarIT4_EES6_SA_PKT1_PKT2_SD_PT3_21rocsparse_index_base_b
                                        ; -- End function
	.set _ZN9rocsparseL22csrmvn_adaptive_kernelIll21rocsparse_complex_numIfES1_IdES3_S3_EEvbT_PKS4_PjPKT0_NS_24const_host_device_scalarIT4_EES6_SA_PKT1_PKT2_SD_PT3_21rocsparse_index_base_b.num_vgpr, 52
	.set _ZN9rocsparseL22csrmvn_adaptive_kernelIll21rocsparse_complex_numIfES1_IdES3_S3_EEvbT_PKS4_PjPKT0_NS_24const_host_device_scalarIT4_EES6_SA_PKT1_PKT2_SD_PT3_21rocsparse_index_base_b.num_agpr, 0
	.set _ZN9rocsparseL22csrmvn_adaptive_kernelIll21rocsparse_complex_numIfES1_IdES3_S3_EEvbT_PKS4_PjPKT0_NS_24const_host_device_scalarIT4_EES6_SA_PKT1_PKT2_SD_PT3_21rocsparse_index_base_b.numbered_sgpr, 62
	.set _ZN9rocsparseL22csrmvn_adaptive_kernelIll21rocsparse_complex_numIfES1_IdES3_S3_EEvbT_PKS4_PjPKT0_NS_24const_host_device_scalarIT4_EES6_SA_PKT1_PKT2_SD_PT3_21rocsparse_index_base_b.num_named_barrier, 0
	.set _ZN9rocsparseL22csrmvn_adaptive_kernelIll21rocsparse_complex_numIfES1_IdES3_S3_EEvbT_PKS4_PjPKT0_NS_24const_host_device_scalarIT4_EES6_SA_PKT1_PKT2_SD_PT3_21rocsparse_index_base_b.private_seg_size, 0
	.set _ZN9rocsparseL22csrmvn_adaptive_kernelIll21rocsparse_complex_numIfES1_IdES3_S3_EEvbT_PKS4_PjPKT0_NS_24const_host_device_scalarIT4_EES6_SA_PKT1_PKT2_SD_PT3_21rocsparse_index_base_b.uses_vcc, 1
	.set _ZN9rocsparseL22csrmvn_adaptive_kernelIll21rocsparse_complex_numIfES1_IdES3_S3_EEvbT_PKS4_PjPKT0_NS_24const_host_device_scalarIT4_EES6_SA_PKT1_PKT2_SD_PT3_21rocsparse_index_base_b.uses_flat_scratch, 0
	.set _ZN9rocsparseL22csrmvn_adaptive_kernelIll21rocsparse_complex_numIfES1_IdES3_S3_EEvbT_PKS4_PjPKT0_NS_24const_host_device_scalarIT4_EES6_SA_PKT1_PKT2_SD_PT3_21rocsparse_index_base_b.has_dyn_sized_stack, 0
	.set _ZN9rocsparseL22csrmvn_adaptive_kernelIll21rocsparse_complex_numIfES1_IdES3_S3_EEvbT_PKS4_PjPKT0_NS_24const_host_device_scalarIT4_EES6_SA_PKT1_PKT2_SD_PT3_21rocsparse_index_base_b.has_recursion, 0
	.set _ZN9rocsparseL22csrmvn_adaptive_kernelIll21rocsparse_complex_numIfES1_IdES3_S3_EEvbT_PKS4_PjPKT0_NS_24const_host_device_scalarIT4_EES6_SA_PKT1_PKT2_SD_PT3_21rocsparse_index_base_b.has_indirect_call, 0
	.section	.AMDGPU.csdata,"",@progbits
; Kernel info:
; codeLenInByte = 4964
; TotalNumSgprs: 68
; NumVgprs: 52
; NumAgprs: 0
; TotalNumVgprs: 52
; ScratchSize: 0
; MemoryBound: 0
; FloatMode: 240
; IeeeMode: 1
; LDSByteSize: 16384 bytes/workgroup (compile time only)
; SGPRBlocks: 8
; VGPRBlocks: 6
; NumSGPRsForWavesPerEU: 68
; NumVGPRsForWavesPerEU: 52
; AccumOffset: 52
; Occupancy: 8
; WaveLimiterHint : 1
; COMPUTE_PGM_RSRC2:SCRATCH_EN: 0
; COMPUTE_PGM_RSRC2:USER_SGPR: 2
; COMPUTE_PGM_RSRC2:TRAP_HANDLER: 0
; COMPUTE_PGM_RSRC2:TGID_X_EN: 1
; COMPUTE_PGM_RSRC2:TGID_Y_EN: 0
; COMPUTE_PGM_RSRC2:TGID_Z_EN: 0
; COMPUTE_PGM_RSRC2:TIDIG_COMP_CNT: 0
; COMPUTE_PGM_RSRC3_GFX90A:ACCUM_OFFSET: 12
; COMPUTE_PGM_RSRC3_GFX90A:TG_SPLIT: 0
	.section	.text._ZN9rocsparseL27csrmvn_symm_adaptive_kernelIll21rocsparse_complex_numIfES1_IdES3_S3_EEvbT_S4_PKS4_NS_24const_host_device_scalarIT4_EES6_PKT0_PKT1_PKT2_S9_PT3_21rocsparse_index_base_b,"axG",@progbits,_ZN9rocsparseL27csrmvn_symm_adaptive_kernelIll21rocsparse_complex_numIfES1_IdES3_S3_EEvbT_S4_PKS4_NS_24const_host_device_scalarIT4_EES6_PKT0_PKT1_PKT2_S9_PT3_21rocsparse_index_base_b,comdat
	.globl	_ZN9rocsparseL27csrmvn_symm_adaptive_kernelIll21rocsparse_complex_numIfES1_IdES3_S3_EEvbT_S4_PKS4_NS_24const_host_device_scalarIT4_EES6_PKT0_PKT1_PKT2_S9_PT3_21rocsparse_index_base_b ; -- Begin function _ZN9rocsparseL27csrmvn_symm_adaptive_kernelIll21rocsparse_complex_numIfES1_IdES3_S3_EEvbT_S4_PKS4_NS_24const_host_device_scalarIT4_EES6_PKT0_PKT1_PKT2_S9_PT3_21rocsparse_index_base_b
	.p2align	8
	.type	_ZN9rocsparseL27csrmvn_symm_adaptive_kernelIll21rocsparse_complex_numIfES1_IdES3_S3_EEvbT_S4_PKS4_NS_24const_host_device_scalarIT4_EES6_PKT0_PKT1_PKT2_S9_PT3_21rocsparse_index_base_b,@function
_ZN9rocsparseL27csrmvn_symm_adaptive_kernelIll21rocsparse_complex_numIfES1_IdES3_S3_EEvbT_S4_PKS4_NS_24const_host_device_scalarIT4_EES6_PKT0_PKT1_PKT2_S9_PT3_21rocsparse_index_base_b: ; @_ZN9rocsparseL27csrmvn_symm_adaptive_kernelIll21rocsparse_complex_numIfES1_IdES3_S3_EEvbT_S4_PKS4_NS_24const_host_device_scalarIT4_EES6_PKT0_PKT1_PKT2_S9_PT3_21rocsparse_index_base_b
; %bb.0:
	s_load_dwordx2 s[28:29], s[0:1], 0x68
	s_load_dwordx2 s[4:5], s[0:1], 0x20
	s_add_u32 s3, s0, 32
	s_addc_u32 s10, s1, 0
	s_waitcnt lgkmcnt(0)
	s_bitcmp1_b32 s29, 0
	s_cselect_b64 s[8:9], -1, 0
	s_and_b64 s[6:7], s[8:9], exec
	s_cselect_b32 s5, s10, s5
	s_cselect_b32 s3, s3, s4
	v_mov_b32_e32 v2, s3
	v_mov_b32_e32 v3, s5
	flat_load_dwordx4 v[2:5], v[2:3]
	s_waitcnt vmcnt(0) lgkmcnt(0)
	v_cmp_eq_f64_e32 vcc, 0, v[2:3]
	v_cmp_eq_f64_e64 s[4:5], 0, v[4:5]
	s_and_b64 s[10:11], vcc, s[4:5]
	s_mov_b64 s[4:5], -1
	s_and_saveexec_b64 s[6:7], s[10:11]
	s_cbranch_execz .LBB116_2
; %bb.1:
	s_load_dwordx2 s[4:5], s[0:1], 0x50
	s_add_u32 s3, s0, 0x50
	s_addc_u32 s10, s1, 0
	s_and_b64 s[8:9], s[8:9], exec
	s_waitcnt lgkmcnt(0)
	s_cselect_b32 s5, s10, s5
	s_cselect_b32 s3, s3, s4
	v_mov_b32_e32 v6, s3
	v_mov_b32_e32 v7, s5
	flat_load_dwordx4 v[6:9], v[6:7]
	s_waitcnt vmcnt(0) lgkmcnt(0)
	v_cmp_neq_f64_e32 vcc, 1.0, v[6:7]
	v_cmp_neq_f64_e64 s[4:5], 0, v[8:9]
	s_or_b64 s[4:5], vcc, s[4:5]
	s_orn2_b64 s[4:5], s[4:5], exec
.LBB116_2:
	s_or_b64 exec, exec, s[6:7]
	s_and_saveexec_b64 s[6:7], s[4:5]
	s_cbranch_execz .LBB116_141
; %bb.3:
	s_load_dword s3, s[0:1], 0x0
	s_load_dwordx2 s[8:9], s[0:1], 0x18
	s_mov_b32 s4, 0
	s_mov_b32 s6, s4
	;; [unrolled: 1-line block ×3, first 2 shown]
	s_waitcnt lgkmcnt(0)
	s_bitcmp1_b32 s3, 0
	s_cselect_b64 s[36:37], -1, 0
	s_ashr_i32 s3, s2, 31
	s_lshl_b64 s[2:3], s[2:3], 3
	s_mov_b32 s5, s4
	v_mov_b64_e32 v[8:9], s[6:7]
	s_add_u32 s2, s8, s2
	v_lshlrev_b32_e32 v20, 4, v0
	v_mov_b64_e32 v[6:7], s[4:5]
	s_addc_u32 s3, s9, s3
	ds_write_b128 v20, v[6:9]
	ds_write_b128 v20, v[6:9] offset:4096
	ds_write_b128 v20, v[6:9] offset:8192
	ds_write_b128 v20, v[6:9] offset:12288
	s_waitcnt lgkmcnt(0)
	s_barrier
	s_load_dwordx4 s[20:23], s[2:3], 0x0
	s_load_dwordx2 s[24:25], s[0:1], 0x60
	s_load_dwordx8 s[12:19], s[0:1], 0x30
	s_mov_b64 s[2:3], -1
	s_waitcnt lgkmcnt(0)
	s_sub_u32 s26, s22, s20
	s_subb_u32 s27, s23, s21
	v_cmp_gt_i64_e64 s[4:5], s[26:27], 2
	s_and_b64 vcc, exec, s[4:5]
	s_cbranch_vccnz .LBB116_40
; %bb.4:
	v_mov_b64_e32 v[6:7], s[20:21]
	v_cmp_le_i64_e32 vcc, s[22:23], v[6:7]
	v_subrev_co_u32_e64 v10, s[2:3], s28, v0
	v_mov_b32_e32 v1, 0
	s_nop 0
	v_subb_co_u32_e64 v11, s[2:3], 0, 0, s[2:3]
	s_cbranch_vccnz .LBB116_30
; %bb.5:
	s_movk_i32 s2, 0x100
	s_add_u32 s30, s16, 4
	v_cmp_gt_u32_e64 s[2:3], s2, v0
	v_cmp_gt_u32_e64 s[4:5], 64, v0
	;; [unrolled: 1-line block ×4, first 2 shown]
	v_cmp_eq_u32_e64 s[10:11], 0, v0
	s_addc_u32 s31, s17, 0
	s_mov_b64 s[34:35], 0x100
	s_mov_b64 s[38:39], 0x800
	v_mov_b64_e32 v[12:13], s[22:23]
	s_mov_b64 s[40:41], s[20:21]
	s_branch .LBB116_7
.LBB116_6:                              ;   in Loop: Header=BB116_7 Depth=1
	s_or_b64 exec, exec, s[42:43]
	s_add_u32 s40, s40, 1
	s_addc_u32 s41, s41, 0
	v_cmp_ge_i64_e32 vcc, s[40:41], v[12:13]
	s_cbranch_vccnz .LBB116_30
.LBB116_7:                              ; =>This Loop Header: Depth=1
                                        ;     Child Loop BB116_9 Depth 2
                                        ;     Child Loop BB116_23 Depth 2
	;; [unrolled: 1-line block ×3, first 2 shown]
	s_lshl_b64 s[42:43], s[40:41], 3
	s_add_u32 s42, s12, s42
	s_addc_u32 s43, s13, s43
	s_load_dwordx4 s[48:51], s[42:43], 0x0
	v_mov_b64_e32 v[8:9], 0
	v_mov_b64_e32 v[6:7], 0
	s_waitcnt lgkmcnt(0)
	s_sub_u32 s44, s50, s28
	v_lshl_add_u64 v[14:15], s[48:49], 0, v[10:11]
	s_subb_u32 s45, s51, 0
	v_cmp_gt_i64_e32 vcc, s[44:45], v[14:15]
	s_and_saveexec_b64 s[42:43], vcc
	s_cbranch_execz .LBB116_11
; %bb.8:                                ;   in Loop: Header=BB116_7 Depth=1
	v_lshlrev_b64 v[6:7], 3, v[14:15]
	v_mov_b64_e32 v[8:9], 0
	v_lshl_add_u64 v[16:17], s[14:15], 0, v[6:7]
	v_lshl_add_u64 v[18:19], s[30:31], 0, v[6:7]
	s_mov_b64 s[46:47], 0
	v_mov_b64_e32 v[6:7], v[8:9]
.LBB116_9:                              ;   Parent Loop BB116_7 Depth=1
                                        ; =>  This Inner Loop Header: Depth=2
	global_load_dwordx2 v[22:23], v[16:17], off
	global_load_dwordx2 v[26:27], v[18:19], off offset:-4
	v_lshl_add_u64 v[14:15], v[14:15], 0, s[34:35]
	v_lshl_add_u64 v[16:17], v[16:17], 0, s[38:39]
	;; [unrolled: 1-line block ×3, first 2 shown]
	s_waitcnt vmcnt(1)
	v_subrev_co_u32_e32 v22, vcc, s28, v22
	s_nop 1
	v_subbrev_co_u32_e32 v23, vcc, 0, v23, vcc
	v_lshl_add_u64 v[22:23], v[22:23], 4, s[18:19]
	global_load_dwordx4 v[22:25], v[22:23], off
	s_waitcnt vmcnt(1)
	v_cndmask_b32_e64 v21, v27, -v27, s[36:37]
	v_cvt_f64_f32_e32 v[26:27], v26
	v_cvt_f64_f32_e32 v[28:29], v21
	v_cmp_le_i64_e32 vcc, s[44:45], v[14:15]
	s_or_b64 s[46:47], vcc, s[46:47]
	s_waitcnt vmcnt(0)
	v_fmac_f64_e32 v[6:7], v[26:27], v[22:23]
	v_fmac_f64_e32 v[8:9], v[28:29], v[22:23]
	v_fma_f64 v[6:7], -v[28:29], v[24:25], v[6:7]
	v_fmac_f64_e32 v[8:9], v[26:27], v[24:25]
	s_andn2_b64 exec, exec, s[46:47]
	s_cbranch_execnz .LBB116_9
; %bb.10:                               ;   in Loop: Header=BB116_7 Depth=1
	s_or_b64 exec, exec, s[46:47]
.LBB116_11:                             ;   in Loop: Header=BB116_7 Depth=1
	s_or_b64 exec, exec, s[42:43]
	ds_write_b128 v20, v[6:9]
	s_waitcnt lgkmcnt(0)
	s_barrier
	s_and_saveexec_b64 s[42:43], s[2:3]
	s_cbranch_execz .LBB116_13
; %bb.12:                               ;   in Loop: Header=BB116_7 Depth=1
	ds_read_b128 v[6:9], v20 offset:4096
	ds_read_b128 v[14:17], v20 offset:8192
	ds_read_b128 v[22:25], v20 offset:12288
	ds_read_b128 v[26:29], v20
	s_waitcnt lgkmcnt(2)
	v_add_f64 v[6:7], v[14:15], v[6:7]
	v_add_f64 v[8:9], v[16:17], v[8:9]
	s_waitcnt lgkmcnt(1)
	v_add_f64 v[6:7], v[6:7], v[22:23]
	v_add_f64 v[8:9], v[8:9], v[24:25]
	s_waitcnt lgkmcnt(0)
	v_add_f64 v[6:7], v[6:7], v[26:27]
	v_add_f64 v[8:9], v[8:9], v[28:29]
	ds_write_b128 v20, v[6:9]
.LBB116_13:                             ;   in Loop: Header=BB116_7 Depth=1
	s_or_b64 exec, exec, s[42:43]
	s_waitcnt lgkmcnt(0)
	s_barrier
	s_and_saveexec_b64 s[42:43], s[4:5]
	s_cbranch_execz .LBB116_15
; %bb.14:                               ;   in Loop: Header=BB116_7 Depth=1
	ds_read_b128 v[6:9], v20 offset:1024
	ds_read_b128 v[14:17], v20 offset:2048
	ds_read_b128 v[22:25], v20 offset:3072
	ds_read_b128 v[26:29], v20
	s_waitcnt lgkmcnt(2)
	v_add_f64 v[6:7], v[14:15], v[6:7]
	v_add_f64 v[8:9], v[16:17], v[8:9]
	s_waitcnt lgkmcnt(1)
	v_add_f64 v[6:7], v[6:7], v[22:23]
	v_add_f64 v[8:9], v[8:9], v[24:25]
	s_waitcnt lgkmcnt(0)
	v_add_f64 v[6:7], v[6:7], v[26:27]
	v_add_f64 v[8:9], v[8:9], v[28:29]
	ds_write_b128 v20, v[6:9]
.LBB116_15:                             ;   in Loop: Header=BB116_7 Depth=1
	s_or_b64 exec, exec, s[42:43]
	;; [unrolled: 21-line block ×5, first 2 shown]
	s_waitcnt lgkmcnt(0)
	s_barrier
	s_and_saveexec_b64 s[42:43], s[10:11]
	s_cbranch_execz .LBB116_6
; %bb.22:                               ;   in Loop: Header=BB116_7 Depth=1
	ds_read_b128 v[6:9], v1
	v_mov_b32_e32 v14, 0
	s_mov_b64 s[44:45], exec
	v_bfrev_b32_e32 v15, 1
	s_waitcnt lgkmcnt(0)
	v_mul_f64 v[16:17], v[8:9], -v[4:5]
	v_fmac_f64_e32 v[16:17], v[2:3], v[6:7]
.LBB116_23:                             ;   Parent Loop BB116_7 Depth=1
                                        ; =>  This Inner Loop Header: Depth=2
	s_ff1_i32_b64 s29, s[44:45]
	s_lshl_b64 s[48:49], 1, s29
	v_readlane_b32 s47, v17, s29
	v_readlane_b32 s46, v16, s29
	s_andn2_b64 s[44:45], s[44:45], s[48:49]
	s_cmp_lg_u64 s[44:45], 0
	v_add_f64 v[14:15], v[14:15], s[46:47]
	s_cbranch_scc1 .LBB116_23
; %bb.24:                               ;   in Loop: Header=BB116_7 Depth=1
	s_lshl_b64 s[44:45], s[40:41], 4
	v_mbcnt_lo_u32_b32 v16, exec_lo, 0
	s_add_u32 s44, s24, s44
	v_mbcnt_hi_u32_b32 v16, exec_hi, v16
	s_addc_u32 s45, s25, s45
	v_cmp_eq_u32_e32 vcc, 0, v16
	s_and_saveexec_b64 s[46:47], vcc
	s_xor_b64 s[46:47], exec, s[46:47]
	s_cbranch_execz .LBB116_26
; %bb.25:                               ;   in Loop: Header=BB116_7 Depth=1
	global_atomic_add_f64 v1, v[14:15], s[44:45]
.LBB116_26:                             ;   in Loop: Header=BB116_7 Depth=1
	s_or_b64 exec, exec, s[46:47]
	v_mul_f64 v[8:9], v[2:3], v[8:9]
	v_fmac_f64_e32 v[8:9], v[4:5], v[6:7]
	v_mov_b32_e32 v6, 0
	s_mov_b64 s[46:47], exec
	v_bfrev_b32_e32 v7, 1
.LBB116_27:                             ;   Parent Loop BB116_7 Depth=1
                                        ; =>  This Inner Loop Header: Depth=2
	s_ff1_i32_b64 s29, s[46:47]
	s_lshl_b64 s[50:51], 1, s29
	v_readlane_b32 s49, v9, s29
	v_readlane_b32 s48, v8, s29
	s_andn2_b64 s[46:47], s[46:47], s[50:51]
	s_cmp_lg_u64 s[46:47], 0
	v_add_f64 v[6:7], v[6:7], s[48:49]
	s_cbranch_scc1 .LBB116_27
; %bb.28:                               ;   in Loop: Header=BB116_7 Depth=1
	v_mbcnt_lo_u32_b32 v8, exec_lo, 0
	v_mbcnt_hi_u32_b32 v8, exec_hi, v8
	v_cmp_eq_u32_e32 vcc, 0, v8
	s_and_saveexec_b64 s[46:47], vcc
	s_xor_b64 s[46:47], exec, s[46:47]
	s_cbranch_execz .LBB116_6
; %bb.29:                               ;   in Loop: Header=BB116_7 Depth=1
	global_atomic_add_f64 v1, v[6:7], s[44:45] offset:8
	s_branch .LBB116_6
.LBB116_30:
	s_lshl_b64 s[2:3], s[20:21], 3
	s_add_u32 s2, s12, s2
	s_addc_u32 s3, s13, s3
	s_lshl_b64 s[4:5], s[22:23], 3
	s_add_u32 s4, s12, s4
	s_addc_u32 s5, s13, s5
	s_load_dwordx2 s[6:7], s[4:5], 0x0
	s_load_dwordx2 s[8:9], s[2:3], 0x0
	s_waitcnt lgkmcnt(0)
	s_sub_u32 s6, s6, s28
	s_subb_u32 s7, s7, 0
	v_lshl_add_u64 v[6:7], s[8:9], 0, v[10:11]
	v_cmp_gt_i64_e32 vcc, s[6:7], v[6:7]
	s_and_saveexec_b64 s[8:9], vcc
	s_cbranch_execz .LBB116_39
; %bb.31:
	s_add_u32 s10, s22, -1
	s_addc_u32 s11, s23, -1
	s_add_u32 s2, s22, -2
	s_addc_u32 s3, s23, -1
	v_mov_b64_e32 v[8:9], s[10:11]
	s_cmp_lg_u64 s[20:21], s[2:3]
	v_cmp_lt_i64_e32 vcc, s[20:21], v[8:9]
	s_cselect_b64 s[2:3], -1, 0
	s_and_b64 s[2:3], vcc, s[2:3]
	v_cndmask_b32_e64 v1, 0, 1, s[2:3]
	s_mov_b64 s[30:31], 0
	v_cmp_ne_u32_e64 s[2:3], 1, v1
	v_mov_b32_e32 v9, 0
	s_mov_b64 s[34:35], 0x100
	s_branch .LBB116_33
.LBB116_32:                             ;   in Loop: Header=BB116_33 Depth=1
	s_or_b64 exec, exec, s[4:5]
	v_lshl_add_u64 v[6:7], v[6:7], 0, s[34:35]
	v_cmp_le_i64_e32 vcc, s[6:7], v[6:7]
	s_or_b64 s[30:31], vcc, s[30:31]
	s_andn2_b64 exec, exec, s[30:31]
	s_cbranch_execz .LBB116_39
.LBB116_33:                             ; =>This Loop Header: Depth=1
                                        ;     Child Loop BB116_35 Depth 2
	s_and_b64 vcc, exec, s[2:3]
	v_mov_b64_e32 v[10:11], s[20:21]
	v_mov_b64_e32 v[12:13], s[10:11]
	s_cbranch_vccnz .LBB116_37
; %bb.34:                               ;   in Loop: Header=BB116_33 Depth=1
	s_mov_b64 s[38:39], 0
	v_mov_b64_e32 v[10:11], s[20:21]
	v_mov_b64_e32 v[12:13], s[10:11]
.LBB116_35:                             ;   Parent Loop BB116_33 Depth=1
                                        ; =>  This Inner Loop Header: Depth=2
	v_lshl_add_u64 v[14:15], v[12:13], 0, v[10:11]
	v_lshrrev_b32_e32 v8, 31, v15
	v_lshl_add_u64 v[14:15], v[14:15], 0, v[8:9]
	v_ashrrev_i64 v[14:15], 1, v[14:15]
	v_lshl_add_u64 v[16:17], v[14:15], 3, s[12:13]
	global_load_dwordx2 v[16:17], v[16:17], off
	s_waitcnt vmcnt(0)
	v_subrev_co_u32_e32 v16, vcc, s28, v16
	s_nop 1
	v_subbrev_co_u32_e32 v17, vcc, 0, v17, vcc
	v_cmp_lt_i64_e32 vcc, v[6:7], v[16:17]
	s_nop 1
	v_cndmask_b32_e32 v13, v13, v15, vcc
	v_cndmask_b32_e32 v12, v12, v14, vcc
	v_cndmask_b32_e32 v11, v15, v11, vcc
	v_cndmask_b32_e32 v10, v14, v10, vcc
	v_lshl_add_u64 v[14:15], v[12:13], 0, -1
	v_cmp_ge_i64_e32 vcc, v[10:11], v[12:13]
	v_cmp_eq_u64_e64 s[4:5], v[10:11], v[14:15]
	s_or_b64 s[4:5], vcc, s[4:5]
	s_and_b64 s[4:5], exec, s[4:5]
	s_or_b64 s[38:39], s[4:5], s[38:39]
	s_andn2_b64 exec, exec, s[38:39]
	s_cbranch_execnz .LBB116_35
; %bb.36:                               ;   in Loop: Header=BB116_33 Depth=1
	s_or_b64 exec, exec, s[38:39]
.LBB116_37:                             ;   in Loop: Header=BB116_33 Depth=1
	v_lshl_add_u64 v[14:15], v[12:13], 3, s[12:13]
	global_load_dwordx2 v[14:15], v[14:15], off
	v_lshl_add_u64 v[16:17], v[6:7], 3, s[14:15]
	global_load_dwordx2 v[16:17], v[16:17], off
	s_waitcnt vmcnt(1)
	v_subrev_co_u32_e32 v14, vcc, s28, v14
	s_nop 1
	v_subbrev_co_u32_e32 v15, vcc, 0, v15, vcc
	v_cmp_lt_i64_e32 vcc, v[6:7], v[14:15]
	s_nop 1
	v_cndmask_b32_e32 v13, v13, v11, vcc
	v_cndmask_b32_e32 v12, v12, v10, vcc
	s_waitcnt vmcnt(0)
	v_subrev_co_u32_e32 v10, vcc, s28, v16
	s_nop 1
	v_subbrev_co_u32_e32 v11, vcc, 0, v17, vcc
	v_cmp_ne_u64_e32 vcc, v[10:11], v[12:13]
	s_and_saveexec_b64 s[4:5], vcc
	s_cbranch_execz .LBB116_32
; %bb.38:                               ;   in Loop: Header=BB116_33 Depth=1
	v_lshl_add_u64 v[14:15], v[6:7], 3, s[16:17]
	global_load_dwordx2 v[16:17], v[14:15], off
	v_lshl_add_u64 v[12:13], v[12:13], 4, s[18:19]
	global_load_dwordx4 v[12:15], v[12:13], off
	v_lshl_add_u64 v[10:11], v[10:11], 4, s[24:25]
	s_waitcnt vmcnt(1)
	v_cndmask_b32_e64 v1, v17, -v17, s[36:37]
	v_cvt_f64_f32_e32 v[18:19], v1
	v_cvt_f64_f32_e32 v[16:17], v16
	v_mul_f64 v[22:23], -v[4:5], v[18:19]
	v_mul_f64 v[18:19], v[2:3], v[18:19]
	v_fmac_f64_e32 v[18:19], v[4:5], v[16:17]
	v_fmac_f64_e32 v[22:23], v[2:3], v[16:17]
	s_waitcnt vmcnt(0)
	v_mul_f64 v[16:17], v[14:15], -v[18:19]
	v_mul_f64 v[14:15], v[14:15], v[22:23]
	v_fmac_f64_e32 v[16:17], v[22:23], v[12:13]
	v_fmac_f64_e32 v[14:15], v[18:19], v[12:13]
	global_atomic_add_f64 v[10:11], v[16:17], off
	global_atomic_add_f64 v[10:11], v[14:15], off offset:8
	s_branch .LBB116_32
.LBB116_39:
	s_or_b64 exec, exec, s[8:9]
	s_mov_b64 s[2:3], 0
.LBB116_40:
	s_and_b64 vcc, exec, s[2:3]
	s_cbranch_vccz .LBB116_141
; %bb.41:
	s_load_dword s2, s[0:1], 0x7c
	s_mov_b32 s31, 0
	v_mov_b64_e32 v[6:7], s[26:27]
	s_mov_b64 s[34:35], 0
	s_waitcnt lgkmcnt(0)
	s_and_b32 s30, s2, 0xffff
	v_cmp_lt_u64_e32 vcc, s[30:31], v[6:7]
	s_cbranch_vccnz .LBB116_43
; %bb.42:
	v_cvt_f32_u32_e32 v1, s26
	s_sub_i32 s2, 0, s26
	v_rcp_iflag_f32_e32 v1, v1
	s_nop 0
	v_mul_f32_e32 v1, 0x4f7ffffe, v1
	v_cvt_u32_f32_e32 v1, v1
	s_nop 0
	v_readfirstlane_b32 s3, v1
	s_mul_i32 s2, s2, s3
	s_mul_hi_u32 s2, s3, s2
	s_add_i32 s3, s3, s2
	s_mul_hi_u32 s2, s30, s3
	s_mul_i32 s4, s2, s26
	s_sub_i32 s4, s30, s4
	s_add_i32 s3, s2, 1
	s_sub_i32 s5, s4, s26
	s_cmp_ge_u32 s4, s26
	s_cselect_b32 s2, s3, s2
	s_cselect_b32 s4, s5, s4
	s_add_i32 s3, s2, 1
	s_cmp_ge_u32 s4, s26
	s_cselect_b32 s34, s3, s2
.LBB116_43:
	s_load_dwordx4 s[4:7], s[0:1], 0x8
	s_lshl_b64 s[0:1], s[20:21], 3
	s_add_u32 s10, s12, s0
	s_addc_u32 s11, s13, s1
	s_load_dwordx2 s[8:9], s[10:11], 0x0
	v_subrev_co_u32_e32 v6, vcc, s28, v0
	v_mov_b32_e32 v1, 0
	s_nop 0
	v_subb_co_u32_e64 v7, s[0:1], 0, 0, vcc
	s_waitcnt lgkmcnt(0)
	v_lshl_add_u64 v[6:7], s[8:9], 0, v[6:7]
	s_mov_b64 s[0:1], 0x300
	v_lshl_add_u64 v[8:9], v[6:7], 0, s[0:1]
	v_cmp_le_i64_e32 vcc, s[4:5], v[8:9]
	s_and_saveexec_b64 s[0:1], vcc
	s_xor_b64 s[2:3], exec, s[0:1]
	s_cbranch_execnz .LBB116_46
; %bb.44:
	s_andn2_saveexec_b64 s[2:3], s[2:3]
	s_cbranch_execnz .LBB116_50
.LBB116_45:
	s_or_b64 exec, exec, s[2:3]
	v_cmp_gt_i64_e64 s[0:1], s[6:7], v[0:1]
	s_and_saveexec_b64 s[2:3], s[0:1]
	s_cbranch_execnz .LBB116_51
	s_branch .LBB116_53
.LBB116_46:
	s_lshl_b64 s[0:1], s[22:23], 3
	s_add_u32 s0, s12, s0
	s_addc_u32 s1, s13, s1
	s_load_dwordx2 s[0:1], s[0:1], 0x0
	s_waitcnt lgkmcnt(0)
	s_sub_u32 s4, s0, s8
	s_subb_u32 s5, s1, s9
	v_cmp_gt_i64_e64 s[0:1], s[4:5], v[0:1]
	s_and_saveexec_b64 s[38:39], s[0:1]
	s_cbranch_execz .LBB116_49
; %bb.47:
	v_lshl_add_u64 v[10:11], v[6:7], 3, s[16:17]
	v_lshl_add_u64 v[10:11], v[10:11], 0, 4
	s_mov_b64 s[40:41], 0
	s_mov_b64 s[42:43], 0x800
	;; [unrolled: 1-line block ×3, first 2 shown]
	v_mov_b32_e32 v14, v20
	v_mov_b64_e32 v[12:13], v[0:1]
.LBB116_48:                             ; =>This Inner Loop Header: Depth=1
	global_load_dwordx2 v[16:17], v[10:11], off offset:-4
	v_lshl_add_u64 v[12:13], v[12:13], 0, s[44:45]
	v_cmp_le_i64_e64 s[0:1], s[4:5], v[12:13]
	v_lshl_add_u64 v[10:11], v[10:11], 0, s[42:43]
	s_or_b64 s[40:41], s[0:1], s[40:41]
	s_waitcnt vmcnt(0)
	v_cndmask_b32_e64 v15, v17, -v17, s[36:37]
	v_cvt_f64_f32_e32 v[18:19], v15
	v_cvt_f64_f32_e32 v[22:23], v16
	v_mul_f64 v[16:17], -v[4:5], v[18:19]
	v_mul_f64 v[18:19], v[2:3], v[18:19]
	v_fmac_f64_e32 v[16:17], v[2:3], v[22:23]
	v_fmac_f64_e32 v[18:19], v[4:5], v[22:23]
	ds_write_b128 v14, v[16:19]
	v_add_u32_e32 v14, 0x1000, v14
	s_andn2_b64 exec, exec, s[40:41]
	s_cbranch_execnz .LBB116_48
.LBB116_49:
	s_or_b64 exec, exec, s[38:39]
                                        ; implicit-def: $vgpr4_vgpr5
	s_andn2_saveexec_b64 s[2:3], s[2:3]
	s_cbranch_execz .LBB116_45
.LBB116_50:
	v_lshl_add_u64 v[10:11], v[6:7], 3, s[16:17]
	s_movk_i32 s0, 0x1000
	global_load_dwordx2 v[12:13], v[10:11], off
	global_load_dwordx2 v[14:15], v[10:11], off offset:2048
	v_add_co_u32_e64 v10, s[0:1], s0, v10
	s_waitcnt vmcnt(1)
	v_cvt_f64_f32_e32 v[22:23], v12
	v_addc_co_u32_e64 v11, s[0:1], 0, v11, s[0:1]
	global_load_dwordx2 v[16:17], v[10:11], off
	global_load_dwordx2 v[18:19], v[10:11], off offset:2048
	v_cndmask_b32_e64 v10, v13, -v13, s[36:37]
	s_waitcnt vmcnt(2)
	v_cndmask_b32_e64 v11, v15, -v15, s[36:37]
	v_cvt_f64_f32_e32 v[12:13], v10
	v_cvt_f64_f32_e32 v[26:27], v11
	v_cvt_f64_f32_e32 v[24:25], v14
	v_mul_f64 v[10:11], -v[4:5], v[12:13]
	v_mul_f64 v[12:13], v[2:3], v[12:13]
	v_mul_f64 v[14:15], -v[4:5], v[26:27]
	v_fmac_f64_e32 v[10:11], v[2:3], v[22:23]
	v_fmac_f64_e32 v[12:13], v[4:5], v[22:23]
	;; [unrolled: 1-line block ×3, first 2 shown]
	s_waitcnt vmcnt(1)
	v_cndmask_b32_e64 v21, v17, -v17, s[36:37]
	v_cvt_f64_f32_e32 v[30:31], v16
	s_waitcnt vmcnt(0)
	v_cndmask_b32_e64 v28, v19, -v19, s[36:37]
	v_mul_f64 v[16:17], v[2:3], v[26:27]
	v_cvt_f64_f32_e32 v[26:27], v21
	v_cvt_f64_f32_e32 v[28:29], v28
	v_fmac_f64_e32 v[16:17], v[4:5], v[24:25]
	v_mul_f64 v[22:23], -v[4:5], v[26:27]
	v_mul_f64 v[24:25], v[2:3], v[26:27]
	v_cvt_f64_f32_e32 v[18:19], v18
	v_mul_f64 v[26:27], -v[4:5], v[28:29]
	v_mul_f64 v[28:29], v[2:3], v[28:29]
	v_fmac_f64_e32 v[22:23], v[2:3], v[30:31]
	v_fmac_f64_e32 v[24:25], v[4:5], v[30:31]
	ds_write_b128 v20, v[10:13]
	ds_write_b128 v20, v[14:17] offset:4096
	v_fmac_f64_e32 v[26:27], v[2:3], v[18:19]
	v_fmac_f64_e32 v[28:29], v[4:5], v[18:19]
	ds_write_b128 v20, v[22:25] offset:8192
	ds_write_b128 v20, v[26:29] offset:12288
	s_or_b64 exec, exec, s[2:3]
	v_cmp_gt_i64_e64 s[0:1], s[6:7], v[0:1]
	s_and_saveexec_b64 s[2:3], s[0:1]
	s_cbranch_execz .LBB116_53
.LBB116_51:
	s_mov_b32 s0, 0
	v_mov_b32_e32 v2, 0x4000
	s_mov_b32 s1, s0
	s_mov_b32 s16, s0
	;; [unrolled: 1-line block ×3, first 2 shown]
	v_lshl_add_u32 v12, v0, 4, v2
	s_mov_b64 s[4:5], 0
	v_mov_b64_e32 v[2:3], s[0:1]
	v_mov_b64_e32 v[4:5], s[16:17]
	s_mov_b64 s[16:17], 0x100
	v_mov_b64_e32 v[10:11], v[0:1]
.LBB116_52:                             ; =>This Inner Loop Header: Depth=1
	v_lshl_add_u64 v[10:11], v[10:11], 0, s[16:17]
	v_cmp_le_i64_e64 s[0:1], s[6:7], v[10:11]
	ds_write2_b64 v12, v[2:3], v[4:5] offset1:1
	s_or_b64 s[4:5], s[0:1], s[4:5]
	v_add_u32_e32 v12, 0x1000, v12
	s_andn2_b64 exec, exec, s[4:5]
	s_cbranch_execnz .LBB116_52
.LBB116_53:
	s_or_b64 exec, exec, s[2:3]
	s_sub_u32 s2, s22, s6
	v_mov_b64_e32 v[2:3], s[6:7]
	s_subb_u32 s3, s23, s7
	v_cmp_ge_i64_e64 s[0:1], s[22:23], v[2:3]
	s_and_b64 s[0:1], s[0:1], exec
	s_cselect_b32 s5, s3, 0
	s_cselect_b32 s4, s2, 0
	s_waitcnt lgkmcnt(0)
	s_barrier
	s_and_saveexec_b64 s[0:1], vcc
	s_xor_b64 s[16:17], exec, s[0:1]
	s_cbranch_execz .LBB116_70
; %bb.54:
	s_lshl_b64 s[0:1], s[22:23], 3
	s_add_u32 s0, s12, s0
	s_addc_u32 s1, s13, s1
	s_load_dwordx2 s[0:1], s[0:1], 0x0
	s_waitcnt lgkmcnt(0)
	s_sub_u32 s36, s0, s8
	s_subb_u32 s37, s1, s9
	v_cmp_gt_i64_e32 vcc, s[36:37], v[0:1]
	s_and_saveexec_b64 s[38:39], vcc
	s_cbranch_execz .LBB116_69
; %bb.55:
	s_add_u32 s40, s22, -1
	s_addc_u32 s41, s23, -1
	s_add_u32 s2, s22, -2
	s_addc_u32 s3, s23, -1
	s_cmp_lg_u64 s[20:21], s[2:3]
	s_cselect_b64 s[2:3], -1, 0
	s_sub_u32 s42, s0, s28
	v_cndmask_b32_e64 v2, 0, 1, s[2:3]
	s_subb_u32 s43, s1, 0
	s_mov_b64 s[44:45], 0
	v_cmp_ne_u32_e64 s[0:1], 1, v2
	v_mov_b32_e32 v9, 0
	v_mov_b32_e32 v18, 0x4000
	s_mov_b64 s[46:47], 0
	s_branch .LBB116_58
.LBB116_56:                             ;   in Loop: Header=BB116_58 Depth=1
	s_or_b64 exec, exec, s[2:3]
.LBB116_57:                             ;   in Loop: Header=BB116_58 Depth=1
	s_or_b64 exec, exec, s[48:49]
	v_lshl_add_u64 v[12:13], v[12:13], 4, s[18:19]
	global_load_dwordx4 v[22:25], v[12:13], off
	s_add_u32 s46, s46, 0x100
	s_addc_u32 s47, s47, 0
	v_lshlrev_b32_e32 v8, 4, v10
	v_lshl_add_u64 v[10:11], s[46:47], 0, v[0:1]
	v_cmp_le_i64_e32 vcc, s[36:37], v[10:11]
	s_or_b64 s[44:45], vcc, s[44:45]
	s_waitcnt vmcnt(0)
	v_mul_f64 v[10:11], v[24:25], v[14:15]
	v_mul_f64 v[12:13], v[24:25], v[2:3]
	v_fmac_f64_e32 v[10:11], v[2:3], v[22:23]
	v_fmac_f64_e32 v[12:13], v[4:5], v[22:23]
	ds_write_b128 v8, v[10:13]
	s_andn2_b64 exec, exec, s[44:45]
	s_cbranch_execz .LBB116_69
.LBB116_58:                             ; =>This Loop Header: Depth=1
                                        ;     Child Loop BB116_60 Depth 2
	v_lshl_add_u64 v[2:3], s[46:47], 0, v[6:7]
	s_and_b64 vcc, exec, s[0:1]
	v_mov_b64_e32 v[4:5], s[20:21]
	v_mov_b64_e32 v[14:15], s[40:41]
	s_cbranch_vccnz .LBB116_62
; %bb.59:                               ;   in Loop: Header=BB116_58 Depth=1
	s_mov_b64 s[48:49], 0
	v_mov_b64_e32 v[4:5], s[20:21]
	v_mov_b64_e32 v[14:15], s[40:41]
.LBB116_60:                             ;   Parent Loop BB116_58 Depth=1
                                        ; =>  This Inner Loop Header: Depth=2
	v_lshl_add_u64 v[10:11], v[14:15], 0, v[4:5]
	v_lshrrev_b32_e32 v8, 31, v11
	v_lshl_add_u64 v[10:11], v[10:11], 0, v[8:9]
	v_ashrrev_i64 v[10:11], 1, v[10:11]
	v_lshl_add_u64 v[12:13], v[10:11], 3, s[12:13]
	global_load_dwordx2 v[12:13], v[12:13], off
	s_waitcnt vmcnt(0)
	v_subrev_co_u32_e32 v12, vcc, s28, v12
	s_nop 1
	v_subbrev_co_u32_e32 v13, vcc, 0, v13, vcc
	v_cmp_lt_i64_e32 vcc, v[2:3], v[12:13]
	s_nop 1
	v_cndmask_b32_e32 v15, v15, v11, vcc
	v_cndmask_b32_e32 v14, v14, v10, vcc
	;; [unrolled: 1-line block ×4, first 2 shown]
	v_lshl_add_u64 v[10:11], v[14:15], 0, -1
	v_cmp_ge_i64_e32 vcc, v[4:5], v[14:15]
	v_cmp_eq_u64_e64 s[2:3], v[4:5], v[10:11]
	s_or_b64 s[2:3], vcc, s[2:3]
	s_and_b64 s[2:3], exec, s[2:3]
	s_or_b64 s[48:49], s[2:3], s[48:49]
	s_andn2_b64 exec, exec, s[48:49]
	s_cbranch_execnz .LBB116_60
; %bb.61:                               ;   in Loop: Header=BB116_58 Depth=1
	s_or_b64 exec, exec, s[48:49]
.LBB116_62:                             ;   in Loop: Header=BB116_58 Depth=1
	v_lshl_add_u64 v[10:11], v[14:15], 3, s[12:13]
	global_load_dwordx2 v[12:13], v[10:11], off
	v_lshl_add_u64 v[10:11], v[2:3], 3, s[14:15]
	global_load_dwordx2 v[16:17], v[10:11], off
	v_lshl_add_u64 v[10:11], s[46:47], 0, v[0:1]
	v_cmp_le_i64_e32 vcc, s[42:43], v[2:3]
	v_lshlrev_b32_e32 v8, 4, v10
	s_waitcnt vmcnt(1)
	v_subrev_co_u32_e64 v22, s[2:3], s28, v12
	s_nop 1
	v_subbrev_co_u32_e64 v23, s[2:3], 0, v13, s[2:3]
	s_waitcnt vmcnt(0)
	v_subrev_co_u32_e64 v12, s[2:3], s28, v16
	s_nop 1
	v_subbrev_co_u32_e64 v13, s[2:3], 0, v17, s[2:3]
	v_cmp_lt_i64_e64 s[2:3], v[2:3], v[22:23]
	s_nop 1
	v_cndmask_b32_e64 v17, v15, v5, s[2:3]
	v_cndmask_b32_e64 v16, v14, v4, s[2:3]
	v_cmp_eq_u64_e64 s[2:3], v[12:13], v[16:17]
	s_or_b64 s[2:3], s[2:3], vcc
                                        ; implicit-def: $vgpr2_vgpr3
                                        ; implicit-def: $vgpr14_vgpr15
	s_and_saveexec_b64 s[48:49], s[2:3]
	s_xor_b64 s[2:3], exec, s[48:49]
	s_cbranch_execz .LBB116_64
; %bb.63:                               ;   in Loop: Header=BB116_58 Depth=1
	ds_read_b128 v[2:5], v8
                                        ; implicit-def: $vgpr8
                                        ; implicit-def: $vgpr16_vgpr17
	s_waitcnt lgkmcnt(0)
	v_xor_b32_e32 v15, 0x80000000, v5
	v_mov_b32_e32 v14, v4
.LBB116_64:                             ;   in Loop: Header=BB116_58 Depth=1
	s_andn2_saveexec_b64 s[48:49], s[2:3]
	s_cbranch_execz .LBB116_57
; %bb.65:                               ;   in Loop: Header=BB116_58 Depth=1
	v_cmp_gt_i64_e32 vcc, s[4:5], v[12:13]
	v_cmp_le_i64_e64 s[2:3], s[22:23], v[12:13]
	s_or_b64 s[2:3], vcc, s[2:3]
	v_lshl_add_u64 v[16:17], v[16:17], 4, s[18:19]
                                        ; implicit-def: $vgpr2_vgpr3
                                        ; implicit-def: $vgpr14_vgpr15
	s_and_saveexec_b64 s[50:51], s[2:3]
	s_xor_b64 s[2:3], exec, s[50:51]
	s_cbranch_execz .LBB116_67
; %bb.66:                               ;   in Loop: Header=BB116_58 Depth=1
	global_load_dwordx4 v[14:17], v[16:17], off
	ds_read_b128 v[2:5], v8
	v_lshl_add_u64 v[22:23], v[12:13], 4, s[24:25]
                                        ; implicit-def: $vgpr8
	s_waitcnt vmcnt(0) lgkmcnt(0)
	v_mul_f64 v[24:25], v[16:17], -v[4:5]
	v_mul_f64 v[16:17], v[16:17], v[2:3]
	v_fmac_f64_e32 v[24:25], v[2:3], v[14:15]
	v_fmac_f64_e32 v[16:17], v[4:5], v[14:15]
	global_atomic_add_f64 v[22:23], v[24:25], off
	global_atomic_add_f64 v[22:23], v[16:17], off offset:8
	v_xor_b32_e32 v15, 0x80000000, v5
	v_mov_b32_e32 v14, v4
                                        ; implicit-def: $vgpr16_vgpr17
.LBB116_67:                             ;   in Loop: Header=BB116_58 Depth=1
	s_andn2_saveexec_b64 s[2:3], s[2:3]
	s_cbranch_execz .LBB116_56
; %bb.68:                               ;   in Loop: Header=BB116_58 Depth=1
	global_load_dwordx4 v[14:17], v[16:17], off
	ds_read_b128 v[2:5], v8
	v_subrev_u32_e32 v8, s4, v12
	v_lshl_add_u32 v8, v8, 4, v18
	s_waitcnt vmcnt(0) lgkmcnt(0)
	v_mul_f64 v[22:23], v[16:17], -v[4:5]
	v_mul_f64 v[16:17], v[16:17], v[2:3]
	v_fmac_f64_e32 v[22:23], v[2:3], v[14:15]
	v_fmac_f64_e32 v[16:17], v[4:5], v[14:15]
	ds_add_f64 v8, v[22:23]
	ds_add_f64 v8, v[16:17] offset:8
	v_xor_b32_e32 v15, 0x80000000, v5
	v_mov_b32_e32 v14, v4
	s_branch .LBB116_56
.LBB116_69:
	s_or_b64 exec, exec, s[38:39]
                                        ; implicit-def: $vgpr8_vgpr9
                                        ; implicit-def: $vgpr6_vgpr7
.LBB116_70:
	s_andn2_saveexec_b64 s[16:17], s[16:17]
	s_cbranch_execz .LBB116_112
; %bb.71:
	s_add_u32 s36, s22, -1
	s_addc_u32 s37, s23, -1
	s_add_u32 s0, s22, -2
	s_addc_u32 s1, s23, -1
	s_cmp_lg_u64 s[20:21], s[0:1]
	s_cselect_b64 s[2:3], -1, 0
	s_cmp_eq_u64 s[20:21], s[0:1]
	v_mov_b64_e32 v[4:5], s[20:21]
	v_mov_b64_e32 v[10:11], s[36:37]
	s_cbranch_scc1 .LBB116_75
; %bb.72:
	s_mov_b64 s[38:39], 0
	v_mov_b64_e32 v[4:5], s[20:21]
	v_mov_b64_e32 v[10:11], s[36:37]
	v_mov_b32_e32 v3, 0
.LBB116_73:                             ; =>This Inner Loop Header: Depth=1
	v_lshl_add_u64 v[12:13], v[10:11], 0, v[4:5]
	v_lshrrev_b32_e32 v2, 31, v13
	v_lshl_add_u64 v[12:13], v[12:13], 0, v[2:3]
	v_ashrrev_i64 v[12:13], 1, v[12:13]
	v_lshl_add_u64 v[14:15], v[12:13], 3, s[12:13]
	global_load_dwordx2 v[14:15], v[14:15], off
	s_waitcnt vmcnt(0)
	v_subrev_co_u32_e32 v14, vcc, s28, v14
	s_nop 1
	v_subbrev_co_u32_e32 v15, vcc, 0, v15, vcc
	v_cmp_lt_i64_e32 vcc, v[6:7], v[14:15]
	s_nop 1
	v_cndmask_b32_e32 v11, v11, v13, vcc
	v_cndmask_b32_e32 v10, v10, v12, vcc
	;; [unrolled: 1-line block ×4, first 2 shown]
	v_lshl_add_u64 v[12:13], v[10:11], 0, -1
	v_cmp_ge_i64_e32 vcc, v[4:5], v[10:11]
	v_cmp_eq_u64_e64 s[0:1], v[4:5], v[12:13]
	s_or_b64 s[0:1], vcc, s[0:1]
	s_and_b64 s[0:1], exec, s[0:1]
	s_or_b64 s[38:39], s[0:1], s[38:39]
	s_andn2_b64 exec, exec, s[38:39]
	s_cbranch_execnz .LBB116_73
; %bb.74:
	s_or_b64 exec, exec, s[38:39]
.LBB116_75:
	v_lshl_add_u64 v[2:3], v[10:11], 3, s[12:13]
	global_load_dwordx2 v[12:13], v[2:3], off
	v_lshl_add_u64 v[2:3], v[6:7], 3, s[14:15]
	global_load_dwordx2 v[14:15], v[2:3], off
	s_lshl_b64 s[0:1], s[22:23], 3
	s_add_u32 s14, s12, s0
	s_addc_u32 s15, s13, s1
	s_waitcnt vmcnt(1)
	v_subrev_co_u32_e32 v12, vcc, s28, v12
	s_nop 1
	v_subbrev_co_u32_e32 v13, vcc, 0, v13, vcc
	v_cmp_lt_i64_e32 vcc, v[6:7], v[12:13]
	s_nop 1
	v_cndmask_b32_e32 v11, v11, v5, vcc
	v_cndmask_b32_e32 v10, v10, v4, vcc
	s_waitcnt vmcnt(0)
	v_subrev_co_u32_e32 v4, vcc, s28, v14
	s_nop 1
	v_subbrev_co_u32_e32 v5, vcc, 0, v15, vcc
	v_cmp_ne_u64_e32 vcc, v[4:5], v[10:11]
	s_and_saveexec_b64 s[38:39], vcc
	s_cbranch_execz .LBB116_81
; %bb.76:
	s_load_dwordx2 s[0:1], s[14:15], 0x0
	s_waitcnt lgkmcnt(0)
	s_sub_u32 s0, s0, s28
	s_subb_u32 s1, s1, 0
	v_cmp_gt_i64_e32 vcc, s[0:1], v[6:7]
	s_and_b64 exec, exec, vcc
	s_cbranch_execz .LBB116_81
; %bb.77:
	v_cmp_gt_i64_e32 vcc, s[4:5], v[4:5]
	v_cmp_le_i64_e64 s[0:1], s[22:23], v[4:5]
	s_or_b64 s[0:1], vcc, s[0:1]
	v_lshl_add_u64 v[10:11], v[10:11], 4, s[18:19]
	s_and_saveexec_b64 s[40:41], s[0:1]
	s_xor_b64 s[0:1], exec, s[40:41]
	s_cbranch_execz .LBB116_79
; %bb.78:
	global_load_dwordx4 v[10:13], v[10:11], off
	ds_read_b128 v[14:17], v20
	v_lshl_add_u64 v[18:19], v[4:5], 4, s[24:25]
	s_waitcnt vmcnt(0) lgkmcnt(0)
	v_mul_f64 v[22:23], v[12:13], -v[16:17]
	v_mul_f64 v[12:13], v[12:13], v[14:15]
	v_fmac_f64_e32 v[22:23], v[14:15], v[10:11]
	v_fmac_f64_e32 v[12:13], v[16:17], v[10:11]
	global_atomic_add_f64 v[18:19], v[22:23], off
	global_atomic_add_f64 v[18:19], v[12:13], off offset:8
                                        ; implicit-def: $vgpr10_vgpr11
.LBB116_79:
	s_andn2_saveexec_b64 s[0:1], s[0:1]
	s_cbranch_execz .LBB116_81
; %bb.80:
	global_load_dwordx4 v[10:13], v[10:11], off
	ds_read_b128 v[14:17], v20
	v_subrev_u32_e32 v18, s4, v4
	v_mov_b32_e32 v19, 0x4000
	v_lshl_add_u32 v21, v18, 4, v19
	s_waitcnt vmcnt(0) lgkmcnt(0)
	v_mul_f64 v[18:19], v[12:13], -v[16:17]
	v_mul_f64 v[12:13], v[12:13], v[14:15]
	v_fmac_f64_e32 v[18:19], v[14:15], v[10:11]
	v_fmac_f64_e32 v[12:13], v[16:17], v[10:11]
	ds_add_f64 v21, v[18:19]
	ds_add_f64 v21, v[12:13] offset:8
.LBB116_81:
	s_or_b64 exec, exec, s[38:39]
	v_lshl_add_u64 v[4:5], v[4:5], 4, s[18:19]
	global_load_dwordx4 v[12:15], v[4:5], off
	ds_read_b128 v[16:19], v20
	s_mov_b64 s[0:1], 0x100
	v_cndmask_b32_e64 v21, 0, 1, s[2:3]
	v_mov_b64_e32 v[10:11], s[20:21]
	v_lshl_add_u64 v[4:5], v[6:7], 0, s[0:1]
	v_cmp_ne_u32_e64 s[0:1], 1, v21
	s_andn2_b64 vcc, exec, s[2:3]
	s_waitcnt vmcnt(0) lgkmcnt(0)
	v_mul_f64 v[22:23], v[14:15], -v[18:19]
	v_mul_f64 v[24:25], v[14:15], v[16:17]
	v_fmac_f64_e32 v[22:23], v[16:17], v[12:13]
	v_fmac_f64_e32 v[24:25], v[18:19], v[12:13]
	v_mov_b64_e32 v[12:13], s[36:37]
	ds_write_b128 v20, v[22:25]
	s_cbranch_vccnz .LBB116_85
; %bb.82:
	s_mov_b64 s[38:39], 0
	v_mov_b64_e32 v[10:11], s[20:21]
	v_mov_b64_e32 v[12:13], s[36:37]
	v_mov_b32_e32 v15, 0
.LBB116_83:                             ; =>This Inner Loop Header: Depth=1
	v_lshl_add_u64 v[16:17], v[12:13], 0, v[10:11]
	v_lshrrev_b32_e32 v14, 31, v17
	v_lshl_add_u64 v[16:17], v[16:17], 0, v[14:15]
	v_ashrrev_i64 v[16:17], 1, v[16:17]
	v_lshl_add_u64 v[18:19], v[16:17], 3, s[12:13]
	global_load_dwordx2 v[18:19], v[18:19], off
	s_waitcnt vmcnt(0)
	v_subrev_co_u32_e32 v18, vcc, s28, v18
	s_nop 1
	v_subbrev_co_u32_e32 v19, vcc, 0, v19, vcc
	v_cmp_lt_i64_e32 vcc, v[4:5], v[18:19]
	s_nop 1
	v_cndmask_b32_e32 v13, v13, v17, vcc
	v_cndmask_b32_e32 v12, v12, v16, vcc
	;; [unrolled: 1-line block ×4, first 2 shown]
	v_lshl_add_u64 v[16:17], v[12:13], 0, -1
	v_cmp_ge_i64_e32 vcc, v[10:11], v[12:13]
	v_cmp_eq_u64_e64 s[2:3], v[10:11], v[16:17]
	s_or_b64 s[2:3], vcc, s[2:3]
	s_and_b64 s[2:3], exec, s[2:3]
	s_or_b64 s[38:39], s[2:3], s[38:39]
	s_andn2_b64 exec, exec, s[38:39]
	s_cbranch_execnz .LBB116_83
; %bb.84:
	s_or_b64 exec, exec, s[38:39]
.LBB116_85:
	v_lshl_add_u64 v[14:15], v[12:13], 3, s[12:13]
	global_load_dwordx2 v[16:17], v[14:15], off
	global_load_dwordx2 v[18:19], v[2:3], off offset:2048
	s_waitcnt vmcnt(1)
	v_subrev_co_u32_e32 v14, vcc, s28, v16
	s_nop 1
	v_subbrev_co_u32_e32 v15, vcc, 0, v17, vcc
	v_cmp_lt_i64_e32 vcc, v[4:5], v[14:15]
	s_nop 1
	v_cndmask_b32_e32 v13, v13, v11, vcc
	v_cndmask_b32_e32 v12, v12, v10, vcc
	s_waitcnt vmcnt(0)
	v_subrev_co_u32_e32 v10, vcc, s28, v18
	s_nop 1
	v_subbrev_co_u32_e32 v11, vcc, 0, v19, vcc
	v_cmp_ne_u64_e32 vcc, v[10:11], v[12:13]
	s_and_saveexec_b64 s[38:39], vcc
	s_cbranch_execz .LBB116_91
; %bb.86:
	s_load_dwordx2 s[2:3], s[14:15], 0x0
	s_waitcnt lgkmcnt(0)
	s_sub_u32 s2, s2, s28
	s_subb_u32 s3, s3, 0
	v_cmp_gt_i64_e32 vcc, s[2:3], v[4:5]
	s_and_b64 exec, exec, vcc
	s_cbranch_execz .LBB116_91
; %bb.87:
	v_cmp_gt_i64_e32 vcc, s[4:5], v[10:11]
	v_cmp_le_i64_e64 s[2:3], s[22:23], v[10:11]
	s_or_b64 s[2:3], vcc, s[2:3]
	v_lshl_add_u64 v[4:5], v[12:13], 4, s[18:19]
	s_and_saveexec_b64 s[40:41], s[2:3]
	s_xor_b64 s[2:3], exec, s[40:41]
	s_cbranch_execz .LBB116_89
; %bb.88:
	global_load_dwordx4 v[12:15], v[4:5], off
	ds_read_b128 v[16:19], v20 offset:4096
	v_lshl_add_u64 v[4:5], v[10:11], 4, s[24:25]
	s_waitcnt vmcnt(0) lgkmcnt(0)
	v_mul_f64 v[22:23], v[14:15], -v[18:19]
	v_mul_f64 v[14:15], v[14:15], v[16:17]
	v_fmac_f64_e32 v[22:23], v[16:17], v[12:13]
	v_fmac_f64_e32 v[14:15], v[18:19], v[12:13]
	global_atomic_add_f64 v[4:5], v[22:23], off
	global_atomic_add_f64 v[4:5], v[14:15], off offset:8
                                        ; implicit-def: $vgpr4_vgpr5
.LBB116_89:
	s_andn2_saveexec_b64 s[2:3], s[2:3]
	s_cbranch_execz .LBB116_91
; %bb.90:
	global_load_dwordx4 v[12:15], v[4:5], off
	ds_read_b128 v[16:19], v20 offset:4096
	v_subrev_u32_e32 v4, s4, v10
	v_mov_b32_e32 v5, 0x4000
	v_lshl_add_u32 v21, v4, 4, v5
	s_waitcnt vmcnt(0) lgkmcnt(0)
	v_mul_f64 v[4:5], v[14:15], -v[18:19]
	v_mul_f64 v[14:15], v[14:15], v[16:17]
	v_fmac_f64_e32 v[4:5], v[16:17], v[12:13]
	v_fmac_f64_e32 v[14:15], v[18:19], v[12:13]
	ds_add_f64 v21, v[4:5]
	ds_add_f64 v21, v[14:15] offset:8
.LBB116_91:
	s_or_b64 exec, exec, s[38:39]
	v_lshl_add_u64 v[4:5], v[10:11], 4, s[18:19]
	global_load_dwordx4 v[12:15], v[4:5], off
	ds_read_b128 v[16:19], v20 offset:4096
	s_mov_b64 s[2:3], 0x200
	s_and_b64 vcc, exec, s[0:1]
	v_mov_b64_e32 v[10:11], s[20:21]
	v_lshl_add_u64 v[4:5], v[6:7], 0, s[2:3]
	v_mov_b64_e32 v[6:7], s[36:37]
	s_waitcnt vmcnt(0) lgkmcnt(0)
	v_mul_f64 v[22:23], v[14:15], -v[18:19]
	v_mul_f64 v[24:25], v[14:15], v[16:17]
	v_fmac_f64_e32 v[22:23], v[16:17], v[12:13]
	v_fmac_f64_e32 v[24:25], v[18:19], v[12:13]
	ds_write_b128 v20, v[22:25] offset:4096
	s_cbranch_vccnz .LBB116_95
; %bb.92:
	s_mov_b64 s[38:39], 0
	v_mov_b64_e32 v[10:11], s[20:21]
	v_mov_b64_e32 v[6:7], s[36:37]
	v_mov_b32_e32 v13, 0
.LBB116_93:                             ; =>This Inner Loop Header: Depth=1
	v_lshl_add_u64 v[14:15], v[6:7], 0, v[10:11]
	v_lshrrev_b32_e32 v12, 31, v15
	v_lshl_add_u64 v[14:15], v[14:15], 0, v[12:13]
	v_ashrrev_i64 v[14:15], 1, v[14:15]
	v_lshl_add_u64 v[16:17], v[14:15], 3, s[12:13]
	global_load_dwordx2 v[16:17], v[16:17], off
	s_waitcnt vmcnt(0)
	v_subrev_co_u32_e32 v16, vcc, s28, v16
	s_nop 1
	v_subbrev_co_u32_e32 v17, vcc, 0, v17, vcc
	v_cmp_lt_i64_e32 vcc, v[4:5], v[16:17]
	s_nop 1
	v_cndmask_b32_e32 v7, v7, v15, vcc
	v_cndmask_b32_e32 v6, v6, v14, vcc
	;; [unrolled: 1-line block ×4, first 2 shown]
	v_lshl_add_u64 v[14:15], v[6:7], 0, -1
	v_cmp_ge_i64_e32 vcc, v[10:11], v[6:7]
	v_cmp_eq_u64_e64 s[2:3], v[10:11], v[14:15]
	s_or_b64 s[2:3], vcc, s[2:3]
	s_and_b64 s[2:3], exec, s[2:3]
	s_or_b64 s[38:39], s[2:3], s[38:39]
	s_andn2_b64 exec, exec, s[38:39]
	s_cbranch_execnz .LBB116_93
; %bb.94:
	s_or_b64 exec, exec, s[38:39]
.LBB116_95:
	v_lshl_add_u64 v[12:13], v[6:7], 3, s[12:13]
	global_load_dwordx2 v[12:13], v[12:13], off
	v_add_co_u32_e32 v14, vcc, 0x1000, v2
	s_nop 1
	v_addc_co_u32_e32 v15, vcc, 0, v3, vcc
	global_load_dwordx2 v[14:15], v[14:15], off
	s_waitcnt vmcnt(1)
	v_subrev_co_u32_e32 v12, vcc, s28, v12
	s_nop 1
	v_subbrev_co_u32_e32 v13, vcc, 0, v13, vcc
	v_cmp_lt_i64_e32 vcc, v[4:5], v[12:13]
	s_nop 1
	v_cndmask_b32_e32 v11, v7, v11, vcc
	v_cndmask_b32_e32 v10, v6, v10, vcc
	s_waitcnt vmcnt(0)
	v_subrev_co_u32_e32 v6, vcc, s28, v14
	s_nop 1
	v_subbrev_co_u32_e32 v7, vcc, 0, v15, vcc
	v_cmp_ne_u64_e32 vcc, v[6:7], v[10:11]
	s_and_saveexec_b64 s[38:39], vcc
	s_cbranch_execz .LBB116_101
; %bb.96:
	s_load_dwordx2 s[2:3], s[14:15], 0x0
	s_waitcnt lgkmcnt(0)
	s_sub_u32 s2, s2, s28
	s_subb_u32 s3, s3, 0
	v_cmp_gt_i64_e32 vcc, s[2:3], v[4:5]
	s_and_b64 exec, exec, vcc
	s_cbranch_execz .LBB116_101
; %bb.97:
	v_cmp_gt_i64_e32 vcc, s[4:5], v[6:7]
	v_cmp_le_i64_e64 s[2:3], s[22:23], v[6:7]
	s_or_b64 s[2:3], vcc, s[2:3]
	v_lshl_add_u64 v[4:5], v[10:11], 4, s[18:19]
	s_and_saveexec_b64 s[40:41], s[2:3]
	s_xor_b64 s[2:3], exec, s[40:41]
	s_cbranch_execz .LBB116_99
; %bb.98:
	global_load_dwordx4 v[10:13], v[4:5], off
	ds_read_b128 v[14:17], v20 offset:8192
	v_lshl_add_u64 v[4:5], v[6:7], 4, s[24:25]
	s_waitcnt vmcnt(0) lgkmcnt(0)
	v_mul_f64 v[18:19], v[12:13], -v[16:17]
	v_mul_f64 v[12:13], v[12:13], v[14:15]
	v_fmac_f64_e32 v[18:19], v[14:15], v[10:11]
	v_fmac_f64_e32 v[12:13], v[16:17], v[10:11]
	global_atomic_add_f64 v[4:5], v[18:19], off
	global_atomic_add_f64 v[4:5], v[12:13], off offset:8
                                        ; implicit-def: $vgpr4_vgpr5
.LBB116_99:
	s_andn2_saveexec_b64 s[2:3], s[2:3]
	s_cbranch_execz .LBB116_101
; %bb.100:
	global_load_dwordx4 v[10:13], v[4:5], off
	ds_read_b128 v[14:17], v20 offset:8192
	v_subrev_u32_e32 v4, s4, v6
	v_mov_b32_e32 v5, 0x4000
	v_lshl_add_u32 v18, v4, 4, v5
	s_waitcnt vmcnt(0) lgkmcnt(0)
	v_mul_f64 v[4:5], v[12:13], -v[16:17]
	v_mul_f64 v[12:13], v[12:13], v[14:15]
	v_fmac_f64_e32 v[4:5], v[14:15], v[10:11]
	v_fmac_f64_e32 v[12:13], v[16:17], v[10:11]
	ds_add_f64 v18, v[4:5]
	ds_add_f64 v18, v[12:13] offset:8
.LBB116_101:
	s_or_b64 exec, exec, s[38:39]
	v_lshl_add_u64 v[4:5], v[6:7], 4, s[18:19]
	global_load_dwordx4 v[10:13], v[4:5], off
	ds_read_b128 v[14:17], v20 offset:8192
	s_and_b64 vcc, exec, s[0:1]
	v_mov_b64_e32 v[4:5], s[20:21]
	v_mov_b64_e32 v[6:7], s[36:37]
	s_waitcnt vmcnt(0) lgkmcnt(0)
	v_mul_f64 v[22:23], v[12:13], -v[16:17]
	v_mul_f64 v[24:25], v[12:13], v[14:15]
	v_fmac_f64_e32 v[22:23], v[14:15], v[10:11]
	v_fmac_f64_e32 v[24:25], v[16:17], v[10:11]
	ds_write_b128 v20, v[22:25] offset:8192
	s_cbranch_vccnz .LBB116_105
; %bb.102:
	s_mov_b64 s[2:3], 0
	v_mov_b64_e32 v[4:5], s[20:21]
	v_mov_b64_e32 v[6:7], s[36:37]
	v_mov_b32_e32 v11, 0
.LBB116_103:                            ; =>This Inner Loop Header: Depth=1
	v_lshl_add_u64 v[12:13], v[6:7], 0, v[4:5]
	v_lshrrev_b32_e32 v10, 31, v13
	v_lshl_add_u64 v[12:13], v[12:13], 0, v[10:11]
	v_ashrrev_i64 v[12:13], 1, v[12:13]
	v_lshl_add_u64 v[14:15], v[12:13], 3, s[12:13]
	global_load_dwordx2 v[14:15], v[14:15], off
	s_waitcnt vmcnt(0)
	v_subrev_co_u32_e32 v14, vcc, s28, v14
	s_nop 1
	v_subbrev_co_u32_e32 v15, vcc, 0, v15, vcc
	v_cmp_lt_i64_e32 vcc, v[8:9], v[14:15]
	s_nop 1
	v_cndmask_b32_e32 v7, v7, v13, vcc
	v_cndmask_b32_e32 v6, v6, v12, vcc
	;; [unrolled: 1-line block ×4, first 2 shown]
	v_lshl_add_u64 v[12:13], v[6:7], 0, -1
	v_cmp_ge_i64_e32 vcc, v[4:5], v[6:7]
	v_cmp_eq_u64_e64 s[0:1], v[4:5], v[12:13]
	s_or_b64 s[0:1], vcc, s[0:1]
	s_and_b64 s[0:1], exec, s[0:1]
	s_or_b64 s[2:3], s[0:1], s[2:3]
	s_andn2_b64 exec, exec, s[2:3]
	s_cbranch_execnz .LBB116_103
; %bb.104:
	s_or_b64 exec, exec, s[2:3]
.LBB116_105:
	v_lshl_add_u64 v[10:11], v[6:7], 3, s[12:13]
	global_load_dwordx2 v[10:11], v[10:11], off
	v_add_co_u32_e32 v2, vcc, 0x1000, v2
	s_nop 1
	v_addc_co_u32_e32 v3, vcc, 0, v3, vcc
	global_load_dwordx2 v[2:3], v[2:3], off offset:2048
	s_waitcnt vmcnt(1)
	v_subrev_co_u32_e32 v10, vcc, s28, v10
	s_nop 1
	v_subbrev_co_u32_e32 v11, vcc, 0, v11, vcc
	v_cmp_lt_i64_e32 vcc, v[8:9], v[10:11]
	s_nop 1
	v_cndmask_b32_e32 v5, v7, v5, vcc
	v_cndmask_b32_e32 v4, v6, v4, vcc
	s_waitcnt vmcnt(0)
	v_subrev_co_u32_e32 v2, vcc, s28, v2
	s_nop 1
	v_subbrev_co_u32_e32 v3, vcc, 0, v3, vcc
	v_cmp_ne_u64_e32 vcc, v[2:3], v[4:5]
	s_and_saveexec_b64 s[2:3], vcc
	s_cbranch_execz .LBB116_111
; %bb.106:
	s_load_dwordx2 s[0:1], s[14:15], 0x0
	s_waitcnt lgkmcnt(0)
	s_sub_u32 s0, s0, s28
	s_subb_u32 s1, s1, 0
	v_cmp_gt_i64_e32 vcc, s[0:1], v[8:9]
	s_and_b64 exec, exec, vcc
	s_cbranch_execz .LBB116_111
; %bb.107:
	v_cmp_gt_i64_e32 vcc, s[4:5], v[2:3]
	v_cmp_le_i64_e64 s[0:1], s[22:23], v[2:3]
	s_or_b64 s[0:1], vcc, s[0:1]
	v_lshl_add_u64 v[4:5], v[4:5], 4, s[18:19]
	s_and_saveexec_b64 s[14:15], s[0:1]
	s_xor_b64 s[0:1], exec, s[14:15]
	s_cbranch_execz .LBB116_109
; %bb.108:
	global_load_dwordx4 v[4:7], v[4:5], off
	ds_read_b128 v[8:11], v20 offset:12288
	v_lshl_add_u64 v[12:13], v[2:3], 4, s[24:25]
	s_waitcnt vmcnt(0) lgkmcnt(0)
	v_mul_f64 v[14:15], v[6:7], -v[10:11]
	v_mul_f64 v[6:7], v[6:7], v[8:9]
	v_fmac_f64_e32 v[14:15], v[8:9], v[4:5]
	v_fmac_f64_e32 v[6:7], v[10:11], v[4:5]
	global_atomic_add_f64 v[12:13], v[14:15], off
	global_atomic_add_f64 v[12:13], v[6:7], off offset:8
                                        ; implicit-def: $vgpr4_vgpr5
.LBB116_109:
	s_andn2_saveexec_b64 s[0:1], s[0:1]
	s_cbranch_execz .LBB116_111
; %bb.110:
	global_load_dwordx4 v[4:7], v[4:5], off
	ds_read_b128 v[8:11], v20 offset:12288
	v_subrev_u32_e32 v12, s4, v2
	v_mov_b32_e32 v13, 0x4000
	v_lshl_add_u32 v14, v12, 4, v13
	s_waitcnt vmcnt(0) lgkmcnt(0)
	v_mul_f64 v[12:13], v[6:7], -v[10:11]
	v_mul_f64 v[6:7], v[6:7], v[8:9]
	v_fmac_f64_e32 v[12:13], v[8:9], v[4:5]
	v_fmac_f64_e32 v[6:7], v[10:11], v[4:5]
	ds_add_f64 v14, v[12:13]
	ds_add_f64 v14, v[6:7] offset:8
.LBB116_111:
	s_or_b64 exec, exec, s[2:3]
	v_lshl_add_u64 v[2:3], v[2:3], 4, s[18:19]
	global_load_dwordx4 v[2:5], v[2:3], off
	ds_read_b128 v[6:9], v20 offset:12288
	s_waitcnt vmcnt(0) lgkmcnt(0)
	v_mul_f64 v[10:11], v[4:5], -v[8:9]
	v_mul_f64 v[12:13], v[4:5], v[6:7]
	v_fmac_f64_e32 v[10:11], v[6:7], v[2:3]
	v_fmac_f64_e32 v[12:13], v[8:9], v[2:3]
	ds_write_b128 v20, v[10:13] offset:12288
.LBB116_112:
	s_or_b64 exec, exec, s[16:17]
	v_mov_b64_e32 v[2:3], s[6:7]
	v_cmp_lt_i64_e32 vcc, s[22:23], v[2:3]
	s_and_b64 s[0:1], vcc, exec
	s_cselect_b32 s16, s22, s6
	s_cselect_b32 s0, s23, s7
	s_sub_u32 s2, s16, s26
	s_subb_u32 s3, s0, s27
	v_cmp_gt_i64_e32 vcc, s[2:3], v[0:1]
	s_waitcnt lgkmcnt(0)
	s_barrier
	s_and_saveexec_b64 s[0:1], vcc
	s_cbranch_execz .LBB116_115
; %bb.113:
	v_mov_b64_e32 v[2:3], s[6:7]
	v_cmp_gt_i64_e32 vcc, s[22:23], v[2:3]
	s_and_b64 s[4:5], vcc, exec
	s_cselect_b32 s5, s23, s7
	s_cselect_b32 s4, s22, s6
	v_lshlrev_b32_e32 v2, 4, v0
	v_mov_b32_e32 v3, 0
	v_lshl_add_u64 v[2:3], s[4:5], 4, v[2:3]
	s_lshl_b64 s[4:5], s[6:7], 4
	v_mov_b32_e32 v4, s5
	v_subrev_co_u32_e32 v2, vcc, s4, v2
	v_or_b32_e32 v2, 8, v2
	s_nop 0
	v_subb_co_u32_e32 v3, vcc, v3, v4, vcc
	v_mov_b32_e32 v4, 0x4000
	v_lshl_add_u64 v[2:3], s[24:25], 0, v[2:3]
	v_lshl_add_u32 v6, v0, 4, v4
	s_mov_b64 s[4:5], 0
	s_mov_b64 s[6:7], 0x100
	;; [unrolled: 1-line block ×3, first 2 shown]
	v_mov_b64_e32 v[4:5], v[0:1]
.LBB116_114:                            ; =>This Inner Loop Header: Depth=1
	ds_read2_b64 v[8:11], v6 offset1:1
	v_lshl_add_u64 v[4:5], v[4:5], 0, s[6:7]
	v_cmp_le_i64_e32 vcc, s[2:3], v[4:5]
	v_add_u32_e32 v6, 0x1000, v6
	s_or_b64 s[4:5], vcc, s[4:5]
	s_waitcnt lgkmcnt(0)
	global_atomic_add_f64 v[2:3], v[8:9], off offset:-8
	global_atomic_add_f64 v[2:3], v[10:11], off
	v_lshl_add_u64 v[2:3], v[2:3], 0, s[14:15]
	s_andn2_b64 exec, exec, s[4:5]
	s_cbranch_execnz .LBB116_114
.LBB116_115:
	s_or_b64 exec, exec, s[0:1]
	s_add_i32 s0, s34, -1
	s_ashr_i32 s1, s0, 1
	s_or_b32 s0, s1, s0
	s_ashr_i32 s1, s0, 2
	s_or_b32 s0, s1, s0
	;; [unrolled: 2-line block ×5, first 2 shown]
	s_add_i32 s0, s0, 1
	s_ashr_i32 s3, s0, 1
	v_lshl_add_u64 v[6:7], s[20:21], 0, v[0:1]
	s_cmp_gt_i32 s3, 1
	s_mov_b64 s[0:1], -1
	s_barrier
	s_cbranch_scc1 .LBB116_124
; %bb.116:
	v_cmp_gt_i64_e32 vcc, s[22:23], v[6:7]
	s_and_saveexec_b64 s[0:1], vcc
	s_cbranch_execz .LBB116_123
; %bb.117:
	s_sub_i32 s4, s16, s22
	s_lshl_b32 s4, s4, 4
	s_add_i32 s16, s4, 0x4000
	s_lshl_b32 s4, s8, 4
	s_sub_i32 s17, 0, s4
	s_mov_b64 s[4:5], 0
	v_mov_b64_e32 v[8:9], v[6:7]
	s_branch .LBB116_119
.LBB116_118:                            ;   in Loop: Header=BB116_119 Depth=1
	s_or_b64 exec, exec, s[6:7]
	v_lshl_add_u32 v2, v8, 4, s16
	ds_read2_b64 v[2:5], v2 offset1:1
	s_waitcnt lgkmcnt(0)
	v_add_f64 v[2:3], v[12:13], v[2:3]
	v_add_f64 v[4:5], v[10:11], v[4:5]
	v_lshl_add_u64 v[10:11], v[8:9], 4, s[24:25]
	global_atomic_add_f64 v[10:11], v[2:3], off
	global_atomic_add_f64 v[10:11], v[4:5], off offset:8
	v_lshl_add_u64 v[8:9], v[8:9], 0, s[30:31]
	v_cmp_le_i64_e32 vcc, s[22:23], v[8:9]
	s_or_b64 s[4:5], vcc, s[4:5]
	s_andn2_b64 exec, exec, s[4:5]
	s_cbranch_execz .LBB116_123
.LBB116_119:                            ; =>This Loop Header: Depth=1
                                        ;     Child Loop BB116_121 Depth 2
	v_lshl_add_u64 v[2:3], v[8:9], 3, s[12:13]
	global_load_dwordx4 v[2:5], v[2:3], off
	v_mov_b64_e32 v[10:11], 0
	v_mov_b64_e32 v[12:13], 0
	s_waitcnt vmcnt(0)
	v_cmp_lt_i64_e32 vcc, v[2:3], v[4:5]
	s_and_saveexec_b64 s[6:7], vcc
	s_cbranch_execz .LBB116_118
; %bb.120:                              ;   in Loop: Header=BB116_119 Depth=1
	v_mov_b32_e32 v10, s9
	v_subrev_co_u32_e32 v4, vcc, s8, v4
	s_mov_b64 s[14:15], 0
	s_nop 0
	v_subb_co_u32_e32 v5, vcc, v5, v10, vcc
	v_subrev_co_u32_e32 v14, vcc, s8, v2
	v_lshl_add_u32 v2, v2, 4, s17
	s_nop 0
	v_subb_co_u32_e32 v15, vcc, v3, v10, vcc
	v_mov_b64_e32 v[10:11], 0
	v_mov_b64_e32 v[12:13], 0
.LBB116_121:                            ;   Parent Loop BB116_119 Depth=1
                                        ; =>  This Inner Loop Header: Depth=2
	ds_read_b128 v[16:19], v2
	v_lshl_add_u64 v[14:15], v[14:15], 0, 1
	v_cmp_ge_i64_e32 vcc, v[14:15], v[4:5]
	v_add_u32_e32 v2, 16, v2
	s_or_b64 s[14:15], vcc, s[14:15]
	s_waitcnt lgkmcnt(0)
	v_add_f64 v[12:13], v[12:13], v[16:17]
	v_add_f64 v[10:11], v[10:11], v[18:19]
	s_andn2_b64 exec, exec, s[14:15]
	s_cbranch_execnz .LBB116_121
; %bb.122:                              ;   in Loop: Header=BB116_119 Depth=1
	s_or_b64 exec, exec, s[14:15]
	s_branch .LBB116_118
.LBB116_123:
	s_or_b64 exec, exec, s[0:1]
	s_mov_b64 s[0:1], 0
.LBB116_124:
	s_andn2_b64 vcc, exec, s[0:1]
	s_cbranch_vccnz .LBB116_141
; %bb.125:
	v_cvt_f32_u32_e32 v2, s3
	s_sub_i32 s12, 0, s3
	v_mov_b32_e32 v3, 0
	v_rcp_iflag_f32_e32 v2, v2
	s_nop 0
	v_mul_f32_e32 v2, 0x4f7ffffe, v2
	v_cvt_u32_f32_e32 v2, v2
	v_mul_lo_u32 v4, s12, v2
	v_mul_hi_u32 v4, v2, v4
	v_add_u32_e32 v2, v2, v4
	v_mul_hi_u32 v2, v0, v2
	v_mul_lo_u32 v4, v2, s3
	v_sub_u32_e32 v4, v0, v4
	v_add_u32_e32 v5, 1, v2
	v_cmp_le_u32_e32 vcc, s3, v4
	s_nop 1
	v_cndmask_b32_e32 v2, v2, v5, vcc
	v_subrev_u32_e32 v5, s3, v4
	v_cndmask_b32_e32 v4, v4, v5, vcc
	v_add_u32_e32 v5, 1, v2
	v_cmp_le_u32_e32 vcc, s3, v4
	s_nop 1
	v_cndmask_b32_e32 v2, v2, v5, vcc
	v_lshl_add_u64 v[4:5], v[2:3], 3, s[10:11]
	global_load_dwordx4 v[8:11], v[4:5], off
	v_mov_b32_e32 v4, s9
	v_mov_b32_e32 v5, s9
	s_waitcnt vmcnt(0)
	v_subrev_co_u32_e32 v8, vcc, s8, v8
	s_nop 1
	v_subb_co_u32_e32 v9, vcc, v9, v4, vcc
	v_subrev_co_u32_e32 v16, vcc, s8, v10
	v_mov_b32_e32 v10, v3
	s_nop 0
	v_subb_co_u32_e32 v17, vcc, v11, v5, vcc
	v_sub_co_u32_e32 v4, vcc, v16, v8
	s_nop 1
	v_subb_co_u32_e32 v5, vcc, v17, v9, vcc
	v_mov_b32_e32 v11, v5
	v_cmp_ne_u64_e32 vcc, 0, v[10:11]
                                        ; implicit-def: $vgpr10_vgpr11
	s_and_saveexec_b64 s[0:1], vcc
	s_xor_b64 s[4:5], exec, s[0:1]
	s_cbranch_execz .LBB116_127
; %bb.126:
	s_add_u32 s0, s3, 0
	s_addc_u32 s1, 0, 0
	s_xor_b64 s[6:7], s[0:1], 0
	v_cvt_f32_u32_e32 v10, s6
	v_cvt_f32_u32_e32 v11, s7
	s_sub_u32 s8, 0, s6
	s_subb_u32 s9, 0, s7
	v_ashrrev_i32_e32 v12, 31, v5
	v_fmamk_f32 v10, v11, 0x4f800000, v10
	v_rcp_f32_e32 v10, v10
	v_mov_b32_e32 v13, v12
	v_lshl_add_u64 v[4:5], v[4:5], 0, v[12:13]
	v_xor_b32_e32 v18, v4, v12
	v_mul_f32_e32 v10, 0x5f7ffffc, v10
	v_mul_f32_e32 v11, 0x2f800000, v10
	v_trunc_f32_e32 v11, v11
	v_fmamk_f32 v10, v11, 0xcf800000, v10
	v_cvt_u32_f32_e32 v11, v11
	v_cvt_u32_f32_e32 v10, v10
	v_xor_b32_e32 v13, v5, v12
	v_readfirstlane_b32 s10, v11
	v_readfirstlane_b32 s0, v10
	s_mul_i32 s1, s8, s10
	s_mul_hi_u32 s13, s8, s0
	s_mul_i32 s11, s9, s0
	s_add_i32 s1, s13, s1
	s_mul_i32 s14, s8, s0
	s_add_i32 s1, s1, s11
	s_mul_i32 s13, s0, s1
	s_mul_hi_u32 s15, s0, s14
	s_mul_hi_u32 s11, s0, s1
	s_add_u32 s13, s15, s13
	s_addc_u32 s11, 0, s11
	s_mul_hi_u32 s16, s10, s14
	s_mul_i32 s14, s10, s14
	s_add_u32 s13, s13, s14
	s_mul_hi_u32 s15, s10, s1
	s_addc_u32 s11, s11, s16
	s_addc_u32 s13, s15, 0
	s_mul_i32 s1, s10, s1
	s_add_u32 s1, s11, s1
	s_addc_u32 s11, 0, s13
	s_add_u32 s13, s0, s1
	s_cselect_b64 s[0:1], -1, 0
	s_cmp_lg_u64 s[0:1], 0
	s_addc_u32 s10, s10, s11
	s_mul_i32 s0, s8, s10
	s_mul_hi_u32 s1, s8, s13
	s_add_i32 s0, s1, s0
	s_mul_i32 s9, s9, s13
	s_add_i32 s0, s0, s9
	s_mul_i32 s8, s8, s13
	s_mul_hi_u32 s9, s10, s8
	s_mul_i32 s11, s10, s8
	s_mul_i32 s15, s13, s0
	s_mul_hi_u32 s8, s13, s8
	s_mul_hi_u32 s14, s13, s0
	s_add_u32 s8, s8, s15
	s_addc_u32 s14, 0, s14
	s_add_u32 s8, s8, s11
	s_mul_hi_u32 s1, s10, s0
	s_addc_u32 s8, s14, s9
	s_addc_u32 s1, s1, 0
	s_mul_i32 s0, s10, s0
	s_add_u32 s0, s8, s0
	s_addc_u32 s8, 0, s1
	s_add_u32 s9, s13, s0
	s_cselect_b64 s[0:1], -1, 0
	s_cmp_lg_u64 s[0:1], 0
	s_addc_u32 s8, s10, s8
	v_mad_u64_u32 v[4:5], s[0:1], v18, s8, 0
	v_mul_hi_u32 v10, v18, s9
	v_mov_b32_e32 v11, v3
	v_lshl_add_u64 v[4:5], v[10:11], 0, v[4:5]
	v_mad_u64_u32 v[14:15], s[0:1], v13, s9, 0
	v_add_co_u32_e32 v4, vcc, v4, v14
	v_mad_u64_u32 v[10:11], s[0:1], v13, s8, 0
	s_nop 0
	v_addc_co_u32_e32 v4, vcc, v5, v15, vcc
	v_mov_b32_e32 v5, v3
	s_nop 0
	v_addc_co_u32_e32 v11, vcc, 0, v11, vcc
	v_lshl_add_u64 v[4:5], v[4:5], 0, v[10:11]
	v_mul_lo_u32 v14, s7, v4
	v_mul_lo_u32 v15, s6, v5
	v_mad_u64_u32 v[10:11], s[0:1], s6, v4, 0
	v_add3_u32 v19, v11, v15, v14
	v_sub_u32_e32 v11, v13, v19
	v_mov_b32_e32 v14, s7
	v_sub_co_u32_e32 v18, vcc, v18, v10
	s_nop 1
	v_subb_co_u32_e64 v10, s[0:1], v11, v14, vcc
	v_subrev_co_u32_e64 v11, s[0:1], s6, v18
	v_subb_co_u32_e32 v13, vcc, v13, v19, vcc
	s_nop 0
	v_subbrev_co_u32_e64 v10, s[0:1], 0, v10, s[0:1]
	v_cmp_le_u32_e64 s[0:1], s7, v10
	v_cmp_le_u32_e32 vcc, s7, v13
	s_nop 0
	v_cndmask_b32_e64 v14, 0, -1, s[0:1]
	v_cmp_le_u32_e64 s[0:1], s6, v11
	s_nop 1
	v_cndmask_b32_e64 v11, 0, -1, s[0:1]
	v_cmp_eq_u32_e64 s[0:1], s7, v10
	s_nop 1
	v_cndmask_b32_e64 v21, v14, v11, s[0:1]
	v_lshl_add_u64 v[10:11], v[4:5], 0, 2
	v_lshl_add_u64 v[14:15], v[4:5], 0, 1
	v_cmp_ne_u32_e64 s[0:1], 0, v21
	s_nop 1
	v_cndmask_b32_e64 v11, v15, v11, s[0:1]
	v_cndmask_b32_e64 v15, 0, -1, vcc
	v_cmp_le_u32_e32 vcc, s6, v18
	v_cndmask_b32_e64 v10, v14, v10, s[0:1]
	s_nop 0
	v_cndmask_b32_e64 v18, 0, -1, vcc
	v_cmp_eq_u32_e32 vcc, s7, v13
	s_nop 1
	v_cndmask_b32_e32 v13, v15, v18, vcc
	v_cmp_ne_u32_e32 vcc, 0, v13
	s_nop 1
	v_cndmask_b32_e32 v4, v4, v10, vcc
	v_cndmask_b32_e32 v5, v5, v11, vcc
	v_xor_b32_e32 v4, v4, v12
	v_xor_b32_e32 v5, v5, v12
	v_sub_co_u32_e32 v10, vcc, v4, v12
                                        ; implicit-def: $vgpr4
	s_nop 1
	v_subb_co_u32_e32 v11, vcc, v5, v12, vcc
.LBB116_127:
	s_andn2_saveexec_b64 s[0:1], s[4:5]
	s_cbranch_execz .LBB116_129
; %bb.128:
	v_cvt_f32_u32_e32 v5, s3
	v_rcp_iflag_f32_e32 v5, v5
	s_nop 0
	v_mul_f32_e32 v5, 0x4f7ffffe, v5
	v_cvt_u32_f32_e32 v5, v5
	v_mul_lo_u32 v10, s12, v5
	v_mul_hi_u32 v10, v5, v10
	v_add_u32_e32 v5, v5, v10
	v_mul_hi_u32 v5, v4, v5
	v_mul_lo_u32 v10, v5, s3
	v_sub_u32_e32 v4, v4, v10
	v_add_u32_e32 v11, 1, v5
	v_subrev_u32_e32 v10, s3, v4
	v_cmp_le_u32_e32 vcc, s3, v4
	s_nop 1
	v_cndmask_b32_e32 v4, v4, v10, vcc
	v_cndmask_b32_e32 v5, v5, v11, vcc
	v_add_u32_e32 v10, 1, v5
	v_cmp_le_u32_e32 vcc, s3, v4
	v_mov_b32_e32 v11, 0
	s_nop 0
	v_cndmask_b32_e32 v10, v5, v10, vcc
.LBB116_129:
	s_or_b64 exec, exec, s[0:1]
	v_cmp_gt_i64_e32 vcc, s[26:27], v[2:3]
	v_mov_b64_e32 v[4:5], 0
	v_mov_b64_e32 v[2:3], 0
	s_and_saveexec_b64 s[0:1], vcc
	s_cbranch_execz .LBB116_137
; %bb.130:
	s_add_i32 s4, s3, -1
	v_and_b32_e32 v12, s4, v0
	s_mov_b64 s[4:5], 0
	v_cmp_lt_i64_e32 vcc, 0, v[10:11]
	v_mov_b64_e32 v[4:5], 0
	v_lshlrev_b32_e32 v18, 4, v12
	v_mov_b64_e32 v[2:3], 0
	s_and_saveexec_b64 s[6:7], vcc
	s_cbranch_execz .LBB116_134
; %bb.131:
	v_mov_b64_e32 v[4:5], 0
	v_lshl_add_u32 v13, v8, 4, v18
	s_lshl_b32 s8, s3, 4
	v_mov_b64_e32 v[14:15], v[10:11]
	v_mov_b64_e32 v[2:3], v[4:5]
.LBB116_132:                            ; =>This Inner Loop Header: Depth=1
	ds_read_b128 v[22:25], v13
	v_lshl_add_u64 v[14:15], v[14:15], 0, -1
	v_cmp_eq_u64_e32 vcc, 0, v[14:15]
	v_add_u32_e32 v13, s8, v13
	s_or_b64 s[4:5], vcc, s[4:5]
	s_waitcnt lgkmcnt(0)
	v_add_f64 v[2:3], v[2:3], v[22:23]
	v_add_f64 v[4:5], v[4:5], v[24:25]
	s_andn2_b64 exec, exec, s[4:5]
	s_cbranch_execnz .LBB116_132
; %bb.133:
	s_or_b64 exec, exec, s[4:5]
.LBB116_134:
	s_or_b64 exec, exec, s[6:7]
	v_mad_u64_u32 v[8:9], s[4:5], v10, s3, v[8:9]
	v_mov_b32_e32 v10, v9
	v_mad_u64_u32 v[10:11], s[4:5], v11, s3, v[10:11]
	v_sub_co_u32_e32 v14, vcc, v16, v8
	v_mov_b32_e32 v13, 0
	s_nop 0
	v_subb_co_u32_e32 v15, vcc, v17, v10, vcc
	v_cmp_gt_i64_e32 vcc, v[14:15], v[12:13]
	s_and_saveexec_b64 s[4:5], vcc
	s_cbranch_execz .LBB116_136
; %bb.135:
	v_lshl_add_u32 v8, v8, 4, v18
	ds_read_b128 v[8:11], v8
	s_waitcnt lgkmcnt(0)
	v_add_f64 v[2:3], v[2:3], v[8:9]
	v_add_f64 v[4:5], v[4:5], v[10:11]
.LBB116_136:
	s_or_b64 exec, exec, s[4:5]
.LBB116_137:
	s_or_b64 exec, exec, s[0:1]
	v_cmp_gt_i64_e32 vcc, s[26:27], v[0:1]
	s_barrier
	ds_write_b128 v20, v[2:5]
	s_waitcnt lgkmcnt(0)
	s_barrier
	s_and_b64 exec, exec, vcc
	s_cbranch_execz .LBB116_141
; %bb.138:
	v_mul_lo_u32 v1, s3, v0
	v_lshlrev_b32_e32 v1, 4, v1
	v_mov_b64_e32 v[2:3], 0
	v_mov_b64_e32 v[4:5], 0
.LBB116_139:                            ; =>This Inner Loop Header: Depth=1
	ds_read_b128 v[8:11], v1
	s_add_i32 s3, s3, -1
	v_add_u32_e32 v1, 16, v1
	s_cmp_eq_u32 s3, 0
	s_waitcnt lgkmcnt(0)
	v_add_f64 v[4:5], v[4:5], v[8:9]
	v_add_f64 v[2:3], v[2:3], v[10:11]
	s_cbranch_scc0 .LBB116_139
; %bb.140:
	s_lshl_b32 s0, s2, 4
	s_addk_i32 s0, 0x4000
	v_lshl_add_u32 v0, v0, 4, s0
	ds_read2_b64 v[8:11], v0 offset1:1
	s_waitcnt lgkmcnt(0)
	v_add_f64 v[0:1], v[4:5], v[8:9]
	v_lshl_add_u64 v[4:5], v[6:7], 4, s[24:25]
	v_add_f64 v[2:3], v[2:3], v[10:11]
	global_atomic_add_f64 v[4:5], v[0:1], off
	global_atomic_add_f64 v[4:5], v[2:3], off offset:8
.LBB116_141:
	s_endpgm
	.section	.rodata,"a",@progbits
	.p2align	6, 0x0
	.amdhsa_kernel _ZN9rocsparseL27csrmvn_symm_adaptive_kernelIll21rocsparse_complex_numIfES1_IdES3_S3_EEvbT_S4_PKS4_NS_24const_host_device_scalarIT4_EES6_PKT0_PKT1_PKT2_S9_PT3_21rocsparse_index_base_b
		.amdhsa_group_segment_fixed_size 16384
		.amdhsa_private_segment_fixed_size 0
		.amdhsa_kernarg_size 368
		.amdhsa_user_sgpr_count 2
		.amdhsa_user_sgpr_dispatch_ptr 0
		.amdhsa_user_sgpr_queue_ptr 0
		.amdhsa_user_sgpr_kernarg_segment_ptr 1
		.amdhsa_user_sgpr_dispatch_id 0
		.amdhsa_user_sgpr_kernarg_preload_length 0
		.amdhsa_user_sgpr_kernarg_preload_offset 0
		.amdhsa_user_sgpr_private_segment_size 0
		.amdhsa_uses_dynamic_stack 0
		.amdhsa_enable_private_segment 0
		.amdhsa_system_sgpr_workgroup_id_x 1
		.amdhsa_system_sgpr_workgroup_id_y 0
		.amdhsa_system_sgpr_workgroup_id_z 0
		.amdhsa_system_sgpr_workgroup_info 0
		.amdhsa_system_vgpr_workitem_id 0
		.amdhsa_next_free_vgpr 32
		.amdhsa_next_free_sgpr 52
		.amdhsa_accum_offset 32
		.amdhsa_reserve_vcc 1
		.amdhsa_float_round_mode_32 0
		.amdhsa_float_round_mode_16_64 0
		.amdhsa_float_denorm_mode_32 3
		.amdhsa_float_denorm_mode_16_64 3
		.amdhsa_dx10_clamp 1
		.amdhsa_ieee_mode 1
		.amdhsa_fp16_overflow 0
		.amdhsa_tg_split 0
		.amdhsa_exception_fp_ieee_invalid_op 0
		.amdhsa_exception_fp_denorm_src 0
		.amdhsa_exception_fp_ieee_div_zero 0
		.amdhsa_exception_fp_ieee_overflow 0
		.amdhsa_exception_fp_ieee_underflow 0
		.amdhsa_exception_fp_ieee_inexact 0
		.amdhsa_exception_int_div_zero 0
	.end_amdhsa_kernel
	.section	.text._ZN9rocsparseL27csrmvn_symm_adaptive_kernelIll21rocsparse_complex_numIfES1_IdES3_S3_EEvbT_S4_PKS4_NS_24const_host_device_scalarIT4_EES6_PKT0_PKT1_PKT2_S9_PT3_21rocsparse_index_base_b,"axG",@progbits,_ZN9rocsparseL27csrmvn_symm_adaptive_kernelIll21rocsparse_complex_numIfES1_IdES3_S3_EEvbT_S4_PKS4_NS_24const_host_device_scalarIT4_EES6_PKT0_PKT1_PKT2_S9_PT3_21rocsparse_index_base_b,comdat
.Lfunc_end116:
	.size	_ZN9rocsparseL27csrmvn_symm_adaptive_kernelIll21rocsparse_complex_numIfES1_IdES3_S3_EEvbT_S4_PKS4_NS_24const_host_device_scalarIT4_EES6_PKT0_PKT1_PKT2_S9_PT3_21rocsparse_index_base_b, .Lfunc_end116-_ZN9rocsparseL27csrmvn_symm_adaptive_kernelIll21rocsparse_complex_numIfES1_IdES3_S3_EEvbT_S4_PKS4_NS_24const_host_device_scalarIT4_EES6_PKT0_PKT1_PKT2_S9_PT3_21rocsparse_index_base_b
                                        ; -- End function
	.set _ZN9rocsparseL27csrmvn_symm_adaptive_kernelIll21rocsparse_complex_numIfES1_IdES3_S3_EEvbT_S4_PKS4_NS_24const_host_device_scalarIT4_EES6_PKT0_PKT1_PKT2_S9_PT3_21rocsparse_index_base_b.num_vgpr, 32
	.set _ZN9rocsparseL27csrmvn_symm_adaptive_kernelIll21rocsparse_complex_numIfES1_IdES3_S3_EEvbT_S4_PKS4_NS_24const_host_device_scalarIT4_EES6_PKT0_PKT1_PKT2_S9_PT3_21rocsparse_index_base_b.num_agpr, 0
	.set _ZN9rocsparseL27csrmvn_symm_adaptive_kernelIll21rocsparse_complex_numIfES1_IdES3_S3_EEvbT_S4_PKS4_NS_24const_host_device_scalarIT4_EES6_PKT0_PKT1_PKT2_S9_PT3_21rocsparse_index_base_b.numbered_sgpr, 52
	.set _ZN9rocsparseL27csrmvn_symm_adaptive_kernelIll21rocsparse_complex_numIfES1_IdES3_S3_EEvbT_S4_PKS4_NS_24const_host_device_scalarIT4_EES6_PKT0_PKT1_PKT2_S9_PT3_21rocsparse_index_base_b.num_named_barrier, 0
	.set _ZN9rocsparseL27csrmvn_symm_adaptive_kernelIll21rocsparse_complex_numIfES1_IdES3_S3_EEvbT_S4_PKS4_NS_24const_host_device_scalarIT4_EES6_PKT0_PKT1_PKT2_S9_PT3_21rocsparse_index_base_b.private_seg_size, 0
	.set _ZN9rocsparseL27csrmvn_symm_adaptive_kernelIll21rocsparse_complex_numIfES1_IdES3_S3_EEvbT_S4_PKS4_NS_24const_host_device_scalarIT4_EES6_PKT0_PKT1_PKT2_S9_PT3_21rocsparse_index_base_b.uses_vcc, 1
	.set _ZN9rocsparseL27csrmvn_symm_adaptive_kernelIll21rocsparse_complex_numIfES1_IdES3_S3_EEvbT_S4_PKS4_NS_24const_host_device_scalarIT4_EES6_PKT0_PKT1_PKT2_S9_PT3_21rocsparse_index_base_b.uses_flat_scratch, 0
	.set _ZN9rocsparseL27csrmvn_symm_adaptive_kernelIll21rocsparse_complex_numIfES1_IdES3_S3_EEvbT_S4_PKS4_NS_24const_host_device_scalarIT4_EES6_PKT0_PKT1_PKT2_S9_PT3_21rocsparse_index_base_b.has_dyn_sized_stack, 0
	.set _ZN9rocsparseL27csrmvn_symm_adaptive_kernelIll21rocsparse_complex_numIfES1_IdES3_S3_EEvbT_S4_PKS4_NS_24const_host_device_scalarIT4_EES6_PKT0_PKT1_PKT2_S9_PT3_21rocsparse_index_base_b.has_recursion, 0
	.set _ZN9rocsparseL27csrmvn_symm_adaptive_kernelIll21rocsparse_complex_numIfES1_IdES3_S3_EEvbT_S4_PKS4_NS_24const_host_device_scalarIT4_EES6_PKT0_PKT1_PKT2_S9_PT3_21rocsparse_index_base_b.has_indirect_call, 0
	.section	.AMDGPU.csdata,"",@progbits
; Kernel info:
; codeLenInByte = 8080
; TotalNumSgprs: 58
; NumVgprs: 32
; NumAgprs: 0
; TotalNumVgprs: 32
; ScratchSize: 0
; MemoryBound: 0
; FloatMode: 240
; IeeeMode: 1
; LDSByteSize: 16384 bytes/workgroup (compile time only)
; SGPRBlocks: 7
; VGPRBlocks: 3
; NumSGPRsForWavesPerEU: 58
; NumVGPRsForWavesPerEU: 32
; AccumOffset: 32
; Occupancy: 8
; WaveLimiterHint : 1
; COMPUTE_PGM_RSRC2:SCRATCH_EN: 0
; COMPUTE_PGM_RSRC2:USER_SGPR: 2
; COMPUTE_PGM_RSRC2:TRAP_HANDLER: 0
; COMPUTE_PGM_RSRC2:TGID_X_EN: 1
; COMPUTE_PGM_RSRC2:TGID_Y_EN: 0
; COMPUTE_PGM_RSRC2:TGID_Z_EN: 0
; COMPUTE_PGM_RSRC2:TIDIG_COMP_CNT: 0
; COMPUTE_PGM_RSRC3_GFX90A:ACCUM_OFFSET: 7
; COMPUTE_PGM_RSRC3_GFX90A:TG_SPLIT: 0
	.section	.text._ZL33csrmvn_symm_large_adaptive_kernelIll21rocsparse_complex_numIfES0_IdES2_S2_EvbT_PKS3_N9rocsparse24const_host_device_scalarIT4_EES5_PKT0_PKT1_PKT2_S9_PT3_21rocsparse_index_base_b,"axG",@progbits,_ZL33csrmvn_symm_large_adaptive_kernelIll21rocsparse_complex_numIfES0_IdES2_S2_EvbT_PKS3_N9rocsparse24const_host_device_scalarIT4_EES5_PKT0_PKT1_PKT2_S9_PT3_21rocsparse_index_base_b,comdat
	.globl	_ZL33csrmvn_symm_large_adaptive_kernelIll21rocsparse_complex_numIfES0_IdES2_S2_EvbT_PKS3_N9rocsparse24const_host_device_scalarIT4_EES5_PKT0_PKT1_PKT2_S9_PT3_21rocsparse_index_base_b ; -- Begin function _ZL33csrmvn_symm_large_adaptive_kernelIll21rocsparse_complex_numIfES0_IdES2_S2_EvbT_PKS3_N9rocsparse24const_host_device_scalarIT4_EES5_PKT0_PKT1_PKT2_S9_PT3_21rocsparse_index_base_b
	.p2align	8
	.type	_ZL33csrmvn_symm_large_adaptive_kernelIll21rocsparse_complex_numIfES0_IdES2_S2_EvbT_PKS3_N9rocsparse24const_host_device_scalarIT4_EES5_PKT0_PKT1_PKT2_S9_PT3_21rocsparse_index_base_b,@function
_ZL33csrmvn_symm_large_adaptive_kernelIll21rocsparse_complex_numIfES0_IdES2_S2_EvbT_PKS3_N9rocsparse24const_host_device_scalarIT4_EES5_PKT0_PKT1_PKT2_S9_PT3_21rocsparse_index_base_b: ; @_ZL33csrmvn_symm_large_adaptive_kernelIll21rocsparse_complex_numIfES0_IdES2_S2_EvbT_PKS3_N9rocsparse24const_host_device_scalarIT4_EES5_PKT0_PKT1_PKT2_S9_PT3_21rocsparse_index_base_b
; %bb.0:
	s_load_dwordx2 s[10:11], s[0:1], 0x60
	s_load_dwordx2 s[4:5], s[0:1], 0x18
	s_add_u32 s3, s0, 24
	s_addc_u32 s12, s1, 0
	s_waitcnt lgkmcnt(0)
	s_bitcmp1_b32 s11, 0
	s_cselect_b64 s[8:9], -1, 0
	s_and_b64 s[6:7], s[8:9], exec
	s_cselect_b32 s5, s12, s5
	s_cselect_b32 s3, s3, s4
	v_mov_b32_e32 v2, s3
	v_mov_b32_e32 v3, s5
	flat_load_dwordx4 v[2:5], v[2:3]
	s_waitcnt vmcnt(0) lgkmcnt(0)
	v_cmp_eq_f64_e32 vcc, 0, v[2:3]
	v_cmp_eq_f64_e64 s[4:5], 0, v[4:5]
	s_and_b64 s[12:13], vcc, s[4:5]
	s_mov_b64 s[4:5], -1
	s_and_saveexec_b64 s[6:7], s[12:13]
	s_cbranch_execz .LBB117_2
; %bb.1:
	s_load_dwordx2 s[4:5], s[0:1], 0x48
	s_add_u32 s3, s0, 0x48
	s_addc_u32 s11, s1, 0
	s_and_b64 s[8:9], s[8:9], exec
	s_waitcnt lgkmcnt(0)
	s_cselect_b32 s5, s11, s5
	s_cselect_b32 s3, s3, s4
	v_mov_b32_e32 v6, s3
	v_mov_b32_e32 v7, s5
	flat_load_dwordx4 v[6:9], v[6:7]
	s_waitcnt vmcnt(0) lgkmcnt(0)
	v_cmp_neq_f64_e32 vcc, 1.0, v[6:7]
	v_cmp_neq_f64_e64 s[4:5], 0, v[8:9]
	s_or_b64 s[4:5], vcc, s[4:5]
	s_orn2_b64 s[4:5], s[4:5], exec
.LBB117_2:
	s_or_b64 exec, exec, s[6:7]
	s_and_saveexec_b64 s[6:7], s[4:5]
	s_cbranch_execz .LBB117_38
; %bb.3:
	s_load_dword s3, s[0:1], 0x0
	s_load_dwordx2 s[8:9], s[0:1], 0x10
	s_mov_b32 s4, 0
	s_mov_b32 s6, s4
	;; [unrolled: 1-line block ×3, first 2 shown]
	s_waitcnt lgkmcnt(0)
	s_bitcmp1_b32 s3, 0
	s_cselect_b64 s[24:25], -1, 0
	s_ashr_i32 s3, s2, 31
	s_lshl_b64 s[2:3], s[2:3], 3
	s_mov_b32 s5, s4
	v_mov_b64_e32 v[8:9], s[6:7]
	s_add_u32 s2, s8, s2
	v_lshlrev_b32_e32 v18, 4, v0
	v_mov_b64_e32 v[6:7], s[4:5]
	s_addc_u32 s3, s9, s3
	ds_write_b128 v18, v[6:9]
	ds_write_b128 v18, v[6:9] offset:4096
	ds_write_b128 v18, v[6:9] offset:8192
	;; [unrolled: 1-line block ×3, first 2 shown]
	s_waitcnt lgkmcnt(0)
	s_barrier
	s_load_dwordx4 s[20:23], s[2:3], 0x0
	s_load_dwordx2 s[26:27], s[0:1], 0x58
	s_load_dwordx8 s[12:19], s[0:1], 0x28
	v_subrev_co_u32_e64 v10, s[0:1], s10, v0
	s_waitcnt lgkmcnt(0)
	v_mov_b64_e32 v[6:7], s[22:23]
	v_cmp_ge_i64_e32 vcc, s[20:21], v[6:7]
	v_mov_b32_e32 v19, 0
	v_subb_co_u32_e64 v11, s[0:1], 0, 0, s[0:1]
	s_cbranch_vccnz .LBB117_29
; %bb.4:
	s_movk_i32 s0, 0x100
	s_add_u32 s28, s16, 4
	v_cmp_gt_u32_e64 s[0:1], s0, v0
	v_cmp_gt_u32_e64 s[2:3], 64, v0
	;; [unrolled: 1-line block ×4, first 2 shown]
	v_cmp_eq_u32_e64 s[8:9], 0, v0
	s_addc_u32 s29, s17, 0
	s_mov_b64 s[30:31], 0x100
	s_mov_b64 s[34:35], 0x800
	v_mov_b64_e32 v[0:1], s[22:23]
	s_mov_b64 s[36:37], s[20:21]
	s_branch .LBB117_6
.LBB117_5:                              ;   in Loop: Header=BB117_6 Depth=1
	s_or_b64 exec, exec, s[38:39]
	s_add_u32 s36, s36, 1
	s_addc_u32 s37, s37, 0
	v_cmp_ge_i64_e32 vcc, s[36:37], v[0:1]
	s_cbranch_vccnz .LBB117_29
.LBB117_6:                              ; =>This Loop Header: Depth=1
                                        ;     Child Loop BB117_8 Depth 2
                                        ;     Child Loop BB117_22 Depth 2
	;; [unrolled: 1-line block ×3, first 2 shown]
	s_lshl_b64 s[38:39], s[36:37], 3
	s_add_u32 s38, s12, s38
	s_addc_u32 s39, s13, s39
	s_load_dwordx4 s[44:47], s[38:39], 0x0
	v_mov_b64_e32 v[8:9], 0
	v_mov_b64_e32 v[6:7], 0
	s_waitcnt lgkmcnt(0)
	s_sub_u32 s40, s46, s10
	v_lshl_add_u64 v[12:13], s[44:45], 0, v[10:11]
	s_subb_u32 s41, s47, 0
	v_cmp_gt_i64_e32 vcc, s[40:41], v[12:13]
	s_and_saveexec_b64 s[38:39], vcc
	s_cbranch_execz .LBB117_10
; %bb.7:                                ;   in Loop: Header=BB117_6 Depth=1
	v_lshlrev_b64 v[6:7], 3, v[12:13]
	v_mov_b64_e32 v[8:9], 0
	v_lshl_add_u64 v[14:15], s[14:15], 0, v[6:7]
	v_lshl_add_u64 v[16:17], s[28:29], 0, v[6:7]
	s_mov_b64 s[42:43], 0
	v_mov_b64_e32 v[6:7], v[8:9]
.LBB117_8:                              ;   Parent Loop BB117_6 Depth=1
                                        ; =>  This Inner Loop Header: Depth=2
	global_load_dwordx2 v[20:21], v[14:15], off
	global_load_dwordx2 v[24:25], v[16:17], off offset:-4
	v_lshl_add_u64 v[12:13], v[12:13], 0, s[30:31]
	v_lshl_add_u64 v[14:15], v[14:15], 0, s[34:35]
	;; [unrolled: 1-line block ×3, first 2 shown]
	s_waitcnt vmcnt(1)
	v_subrev_co_u32_e32 v20, vcc, s10, v20
	s_nop 1
	v_subbrev_co_u32_e32 v21, vcc, 0, v21, vcc
	v_lshl_add_u64 v[20:21], v[20:21], 4, s[18:19]
	global_load_dwordx4 v[20:23], v[20:21], off
	s_waitcnt vmcnt(1)
	v_cndmask_b32_e64 v26, v25, -v25, s[24:25]
	v_cvt_f64_f32_e32 v[24:25], v24
	v_cvt_f64_f32_e32 v[26:27], v26
	v_cmp_le_i64_e32 vcc, s[40:41], v[12:13]
	s_or_b64 s[42:43], vcc, s[42:43]
	s_waitcnt vmcnt(0)
	v_fmac_f64_e32 v[6:7], v[24:25], v[20:21]
	v_fmac_f64_e32 v[8:9], v[26:27], v[20:21]
	v_fma_f64 v[6:7], -v[26:27], v[22:23], v[6:7]
	v_fmac_f64_e32 v[8:9], v[24:25], v[22:23]
	s_andn2_b64 exec, exec, s[42:43]
	s_cbranch_execnz .LBB117_8
; %bb.9:                                ;   in Loop: Header=BB117_6 Depth=1
	s_or_b64 exec, exec, s[42:43]
.LBB117_10:                             ;   in Loop: Header=BB117_6 Depth=1
	s_or_b64 exec, exec, s[38:39]
	ds_write_b128 v18, v[6:9]
	s_waitcnt lgkmcnt(0)
	s_barrier
	s_and_saveexec_b64 s[38:39], s[0:1]
	s_cbranch_execz .LBB117_12
; %bb.11:                               ;   in Loop: Header=BB117_6 Depth=1
	ds_read_b128 v[6:9], v18 offset:4096
	ds_read_b128 v[12:15], v18 offset:8192
	ds_read_b128 v[20:23], v18 offset:12288
	ds_read_b128 v[24:27], v18
	s_waitcnt lgkmcnt(2)
	v_add_f64 v[6:7], v[12:13], v[6:7]
	v_add_f64 v[8:9], v[14:15], v[8:9]
	s_waitcnt lgkmcnt(1)
	v_add_f64 v[6:7], v[6:7], v[20:21]
	v_add_f64 v[8:9], v[8:9], v[22:23]
	s_waitcnt lgkmcnt(0)
	v_add_f64 v[6:7], v[6:7], v[24:25]
	v_add_f64 v[8:9], v[8:9], v[26:27]
	ds_write_b128 v18, v[6:9]
.LBB117_12:                             ;   in Loop: Header=BB117_6 Depth=1
	s_or_b64 exec, exec, s[38:39]
	s_waitcnt lgkmcnt(0)
	s_barrier
	s_and_saveexec_b64 s[38:39], s[2:3]
	s_cbranch_execz .LBB117_14
; %bb.13:                               ;   in Loop: Header=BB117_6 Depth=1
	ds_read_b128 v[6:9], v18 offset:1024
	ds_read_b128 v[12:15], v18 offset:2048
	ds_read_b128 v[20:23], v18 offset:3072
	ds_read_b128 v[24:27], v18
	s_waitcnt lgkmcnt(2)
	v_add_f64 v[6:7], v[12:13], v[6:7]
	v_add_f64 v[8:9], v[14:15], v[8:9]
	s_waitcnt lgkmcnt(1)
	v_add_f64 v[6:7], v[6:7], v[20:21]
	v_add_f64 v[8:9], v[8:9], v[22:23]
	s_waitcnt lgkmcnt(0)
	v_add_f64 v[6:7], v[6:7], v[24:25]
	v_add_f64 v[8:9], v[8:9], v[26:27]
	ds_write_b128 v18, v[6:9]
.LBB117_14:                             ;   in Loop: Header=BB117_6 Depth=1
	s_or_b64 exec, exec, s[38:39]
	;; [unrolled: 21-line block ×5, first 2 shown]
	s_waitcnt lgkmcnt(0)
	s_barrier
	s_and_saveexec_b64 s[38:39], s[8:9]
	s_cbranch_execz .LBB117_5
; %bb.21:                               ;   in Loop: Header=BB117_6 Depth=1
	ds_read_b128 v[6:9], v19
	v_mov_b32_e32 v12, 0
	s_mov_b64 s[40:41], exec
	v_bfrev_b32_e32 v13, 1
	s_waitcnt lgkmcnt(0)
	v_mul_f64 v[14:15], v[8:9], -v[4:5]
	v_fmac_f64_e32 v[14:15], v[2:3], v[6:7]
.LBB117_22:                             ;   Parent Loop BB117_6 Depth=1
                                        ; =>  This Inner Loop Header: Depth=2
	s_ff1_i32_b64 s11, s[40:41]
	s_lshl_b64 s[44:45], 1, s11
	v_readlane_b32 s43, v15, s11
	v_readlane_b32 s42, v14, s11
	s_andn2_b64 s[40:41], s[40:41], s[44:45]
	s_cmp_lg_u64 s[40:41], 0
	v_add_f64 v[12:13], v[12:13], s[42:43]
	s_cbranch_scc1 .LBB117_22
; %bb.23:                               ;   in Loop: Header=BB117_6 Depth=1
	s_lshl_b64 s[40:41], s[36:37], 4
	v_mbcnt_lo_u32_b32 v14, exec_lo, 0
	s_add_u32 s40, s26, s40
	v_mbcnt_hi_u32_b32 v14, exec_hi, v14
	s_addc_u32 s41, s27, s41
	v_cmp_eq_u32_e32 vcc, 0, v14
	s_and_saveexec_b64 s[42:43], vcc
	s_xor_b64 s[42:43], exec, s[42:43]
	s_cbranch_execz .LBB117_25
; %bb.24:                               ;   in Loop: Header=BB117_6 Depth=1
	global_atomic_add_f64 v19, v[12:13], s[40:41]
.LBB117_25:                             ;   in Loop: Header=BB117_6 Depth=1
	s_or_b64 exec, exec, s[42:43]
	v_mul_f64 v[8:9], v[2:3], v[8:9]
	v_fmac_f64_e32 v[8:9], v[4:5], v[6:7]
	v_mov_b32_e32 v6, 0
	s_mov_b64 s[42:43], exec
	v_bfrev_b32_e32 v7, 1
.LBB117_26:                             ;   Parent Loop BB117_6 Depth=1
                                        ; =>  This Inner Loop Header: Depth=2
	s_ff1_i32_b64 s11, s[42:43]
	s_lshl_b64 s[46:47], 1, s11
	v_readlane_b32 s45, v9, s11
	v_readlane_b32 s44, v8, s11
	s_andn2_b64 s[42:43], s[42:43], s[46:47]
	s_cmp_lg_u64 s[42:43], 0
	v_add_f64 v[6:7], v[6:7], s[44:45]
	s_cbranch_scc1 .LBB117_26
; %bb.27:                               ;   in Loop: Header=BB117_6 Depth=1
	v_mbcnt_lo_u32_b32 v8, exec_lo, 0
	v_mbcnt_hi_u32_b32 v8, exec_hi, v8
	v_cmp_eq_u32_e32 vcc, 0, v8
	s_and_saveexec_b64 s[42:43], vcc
	s_xor_b64 s[42:43], exec, s[42:43]
	s_cbranch_execz .LBB117_5
; %bb.28:                               ;   in Loop: Header=BB117_6 Depth=1
	global_atomic_add_f64 v19, v[6:7], s[40:41] offset:8
	s_branch .LBB117_5
.LBB117_29:
	s_lshl_b64 s[0:1], s[20:21], 3
	s_add_u32 s0, s12, s0
	s_addc_u32 s1, s13, s1
	s_lshl_b64 s[2:3], s[22:23], 3
	s_add_u32 s2, s12, s2
	s_addc_u32 s3, s13, s3
	s_load_dwordx2 s[4:5], s[2:3], 0x0
	s_load_dwordx2 s[6:7], s[0:1], 0x0
	s_waitcnt lgkmcnt(0)
	s_sub_u32 s4, s4, s10
	s_subb_u32 s5, s5, 0
	v_lshl_add_u64 v[0:1], s[6:7], 0, v[10:11]
	v_cmp_gt_i64_e32 vcc, s[4:5], v[0:1]
	s_and_b64 exec, exec, vcc
	s_cbranch_execz .LBB117_38
; %bb.30:
	s_add_u32 s6, s22, -1
	s_addc_u32 s7, s23, -1
	s_add_u32 s0, s22, -2
	s_addc_u32 s1, s23, -1
	v_mov_b64_e32 v[6:7], s[6:7]
	s_cmp_lg_u64 s[20:21], s[0:1]
	v_cmp_lt_i64_e32 vcc, s[20:21], v[6:7]
	s_cselect_b64 s[0:1], -1, 0
	s_and_b64 s[0:1], vcc, s[0:1]
	v_cndmask_b32_e64 v6, 0, 1, s[0:1]
	s_mov_b64 s[8:9], 0
	v_cmp_ne_u32_e64 s[0:1], 1, v6
	v_mov_b32_e32 v7, 0
	s_mov_b64 s[22:23], 0x100
	s_branch .LBB117_32
.LBB117_31:                             ;   in Loop: Header=BB117_32 Depth=1
	s_or_b64 exec, exec, s[2:3]
	v_lshl_add_u64 v[0:1], v[0:1], 0, s[22:23]
	v_cmp_le_i64_e32 vcc, s[4:5], v[0:1]
	s_or_b64 s[8:9], vcc, s[8:9]
	s_andn2_b64 exec, exec, s[8:9]
	s_cbranch_execz .LBB117_38
.LBB117_32:                             ; =>This Loop Header: Depth=1
                                        ;     Child Loop BB117_34 Depth 2
	s_and_b64 vcc, exec, s[0:1]
	v_mov_b64_e32 v[8:9], s[20:21]
	v_mov_b64_e32 v[10:11], s[6:7]
	s_cbranch_vccnz .LBB117_36
; %bb.33:                               ;   in Loop: Header=BB117_32 Depth=1
	s_mov_b64 s[28:29], 0
	v_mov_b64_e32 v[8:9], s[20:21]
	v_mov_b64_e32 v[10:11], s[6:7]
.LBB117_34:                             ;   Parent Loop BB117_32 Depth=1
                                        ; =>  This Inner Loop Header: Depth=2
	v_lshl_add_u64 v[12:13], v[10:11], 0, v[8:9]
	v_lshrrev_b32_e32 v6, 31, v13
	v_lshl_add_u64 v[12:13], v[12:13], 0, v[6:7]
	v_ashrrev_i64 v[12:13], 1, v[12:13]
	v_lshl_add_u64 v[14:15], v[12:13], 3, s[12:13]
	global_load_dwordx2 v[14:15], v[14:15], off
	s_waitcnt vmcnt(0)
	v_subrev_co_u32_e32 v14, vcc, s10, v14
	s_nop 1
	v_subbrev_co_u32_e32 v15, vcc, 0, v15, vcc
	v_cmp_lt_i64_e32 vcc, v[0:1], v[14:15]
	s_nop 1
	v_cndmask_b32_e32 v11, v11, v13, vcc
	v_cndmask_b32_e32 v10, v10, v12, vcc
	;; [unrolled: 1-line block ×4, first 2 shown]
	v_lshl_add_u64 v[12:13], v[10:11], 0, -1
	v_cmp_ge_i64_e32 vcc, v[8:9], v[10:11]
	v_cmp_eq_u64_e64 s[2:3], v[8:9], v[12:13]
	s_or_b64 s[2:3], vcc, s[2:3]
	s_and_b64 s[2:3], exec, s[2:3]
	s_or_b64 s[28:29], s[2:3], s[28:29]
	s_andn2_b64 exec, exec, s[28:29]
	s_cbranch_execnz .LBB117_34
; %bb.35:                               ;   in Loop: Header=BB117_32 Depth=1
	s_or_b64 exec, exec, s[28:29]
.LBB117_36:                             ;   in Loop: Header=BB117_32 Depth=1
	v_lshl_add_u64 v[12:13], v[10:11], 3, s[12:13]
	global_load_dwordx2 v[12:13], v[12:13], off
	v_lshl_add_u64 v[14:15], v[0:1], 3, s[14:15]
	global_load_dwordx2 v[14:15], v[14:15], off
	s_waitcnt vmcnt(1)
	v_subrev_co_u32_e32 v12, vcc, s10, v12
	s_nop 1
	v_subbrev_co_u32_e32 v13, vcc, 0, v13, vcc
	v_cmp_lt_i64_e32 vcc, v[0:1], v[12:13]
	s_nop 1
	v_cndmask_b32_e32 v11, v11, v9, vcc
	v_cndmask_b32_e32 v10, v10, v8, vcc
	s_waitcnt vmcnt(0)
	v_subrev_co_u32_e32 v8, vcc, s10, v14
	s_nop 1
	v_subbrev_co_u32_e32 v9, vcc, 0, v15, vcc
	v_cmp_ne_u64_e32 vcc, v[8:9], v[10:11]
	s_and_saveexec_b64 s[2:3], vcc
	s_cbranch_execz .LBB117_31
; %bb.37:                               ;   in Loop: Header=BB117_32 Depth=1
	v_lshl_add_u64 v[12:13], v[0:1], 3, s[16:17]
	global_load_dwordx2 v[14:15], v[12:13], off
	v_lshl_add_u64 v[10:11], v[10:11], 4, s[18:19]
	global_load_dwordx4 v[10:13], v[10:11], off
	v_lshl_add_u64 v[8:9], v[8:9], 4, s[26:27]
	s_waitcnt vmcnt(1)
	v_cndmask_b32_e64 v6, v15, -v15, s[24:25]
	v_cvt_f64_f32_e32 v[16:17], v6
	v_cvt_f64_f32_e32 v[14:15], v14
	v_mul_f64 v[18:19], -v[4:5], v[16:17]
	v_mul_f64 v[16:17], v[2:3], v[16:17]
	v_fmac_f64_e32 v[16:17], v[4:5], v[14:15]
	v_fmac_f64_e32 v[18:19], v[2:3], v[14:15]
	s_waitcnt vmcnt(0)
	v_mul_f64 v[14:15], v[12:13], -v[16:17]
	v_mul_f64 v[12:13], v[12:13], v[18:19]
	v_fmac_f64_e32 v[14:15], v[18:19], v[10:11]
	v_fmac_f64_e32 v[12:13], v[16:17], v[10:11]
	global_atomic_add_f64 v[8:9], v[14:15], off
	global_atomic_add_f64 v[8:9], v[12:13], off offset:8
	s_branch .LBB117_31
.LBB117_38:
	s_endpgm
	.section	.rodata,"a",@progbits
	.p2align	6, 0x0
	.amdhsa_kernel _ZL33csrmvn_symm_large_adaptive_kernelIll21rocsparse_complex_numIfES0_IdES2_S2_EvbT_PKS3_N9rocsparse24const_host_device_scalarIT4_EES5_PKT0_PKT1_PKT2_S9_PT3_21rocsparse_index_base_b
		.amdhsa_group_segment_fixed_size 16384
		.amdhsa_private_segment_fixed_size 0
		.amdhsa_kernarg_size 104
		.amdhsa_user_sgpr_count 2
		.amdhsa_user_sgpr_dispatch_ptr 0
		.amdhsa_user_sgpr_queue_ptr 0
		.amdhsa_user_sgpr_kernarg_segment_ptr 1
		.amdhsa_user_sgpr_dispatch_id 0
		.amdhsa_user_sgpr_kernarg_preload_length 0
		.amdhsa_user_sgpr_kernarg_preload_offset 0
		.amdhsa_user_sgpr_private_segment_size 0
		.amdhsa_uses_dynamic_stack 0
		.amdhsa_enable_private_segment 0
		.amdhsa_system_sgpr_workgroup_id_x 1
		.amdhsa_system_sgpr_workgroup_id_y 0
		.amdhsa_system_sgpr_workgroup_id_z 0
		.amdhsa_system_sgpr_workgroup_info 0
		.amdhsa_system_vgpr_workitem_id 0
		.amdhsa_next_free_vgpr 28
		.amdhsa_next_free_sgpr 48
		.amdhsa_accum_offset 28
		.amdhsa_reserve_vcc 1
		.amdhsa_float_round_mode_32 0
		.amdhsa_float_round_mode_16_64 0
		.amdhsa_float_denorm_mode_32 3
		.amdhsa_float_denorm_mode_16_64 3
		.amdhsa_dx10_clamp 1
		.amdhsa_ieee_mode 1
		.amdhsa_fp16_overflow 0
		.amdhsa_tg_split 0
		.amdhsa_exception_fp_ieee_invalid_op 0
		.amdhsa_exception_fp_denorm_src 0
		.amdhsa_exception_fp_ieee_div_zero 0
		.amdhsa_exception_fp_ieee_overflow 0
		.amdhsa_exception_fp_ieee_underflow 0
		.amdhsa_exception_fp_ieee_inexact 0
		.amdhsa_exception_int_div_zero 0
	.end_amdhsa_kernel
	.section	.text._ZL33csrmvn_symm_large_adaptive_kernelIll21rocsparse_complex_numIfES0_IdES2_S2_EvbT_PKS3_N9rocsparse24const_host_device_scalarIT4_EES5_PKT0_PKT1_PKT2_S9_PT3_21rocsparse_index_base_b,"axG",@progbits,_ZL33csrmvn_symm_large_adaptive_kernelIll21rocsparse_complex_numIfES0_IdES2_S2_EvbT_PKS3_N9rocsparse24const_host_device_scalarIT4_EES5_PKT0_PKT1_PKT2_S9_PT3_21rocsparse_index_base_b,comdat
.Lfunc_end117:
	.size	_ZL33csrmvn_symm_large_adaptive_kernelIll21rocsparse_complex_numIfES0_IdES2_S2_EvbT_PKS3_N9rocsparse24const_host_device_scalarIT4_EES5_PKT0_PKT1_PKT2_S9_PT3_21rocsparse_index_base_b, .Lfunc_end117-_ZL33csrmvn_symm_large_adaptive_kernelIll21rocsparse_complex_numIfES0_IdES2_S2_EvbT_PKS3_N9rocsparse24const_host_device_scalarIT4_EES5_PKT0_PKT1_PKT2_S9_PT3_21rocsparse_index_base_b
                                        ; -- End function
	.set _ZL33csrmvn_symm_large_adaptive_kernelIll21rocsparse_complex_numIfES0_IdES2_S2_EvbT_PKS3_N9rocsparse24const_host_device_scalarIT4_EES5_PKT0_PKT1_PKT2_S9_PT3_21rocsparse_index_base_b.num_vgpr, 28
	.set _ZL33csrmvn_symm_large_adaptive_kernelIll21rocsparse_complex_numIfES0_IdES2_S2_EvbT_PKS3_N9rocsparse24const_host_device_scalarIT4_EES5_PKT0_PKT1_PKT2_S9_PT3_21rocsparse_index_base_b.num_agpr, 0
	.set _ZL33csrmvn_symm_large_adaptive_kernelIll21rocsparse_complex_numIfES0_IdES2_S2_EvbT_PKS3_N9rocsparse24const_host_device_scalarIT4_EES5_PKT0_PKT1_PKT2_S9_PT3_21rocsparse_index_base_b.numbered_sgpr, 48
	.set _ZL33csrmvn_symm_large_adaptive_kernelIll21rocsparse_complex_numIfES0_IdES2_S2_EvbT_PKS3_N9rocsparse24const_host_device_scalarIT4_EES5_PKT0_PKT1_PKT2_S9_PT3_21rocsparse_index_base_b.num_named_barrier, 0
	.set _ZL33csrmvn_symm_large_adaptive_kernelIll21rocsparse_complex_numIfES0_IdES2_S2_EvbT_PKS3_N9rocsparse24const_host_device_scalarIT4_EES5_PKT0_PKT1_PKT2_S9_PT3_21rocsparse_index_base_b.private_seg_size, 0
	.set _ZL33csrmvn_symm_large_adaptive_kernelIll21rocsparse_complex_numIfES0_IdES2_S2_EvbT_PKS3_N9rocsparse24const_host_device_scalarIT4_EES5_PKT0_PKT1_PKT2_S9_PT3_21rocsparse_index_base_b.uses_vcc, 1
	.set _ZL33csrmvn_symm_large_adaptive_kernelIll21rocsparse_complex_numIfES0_IdES2_S2_EvbT_PKS3_N9rocsparse24const_host_device_scalarIT4_EES5_PKT0_PKT1_PKT2_S9_PT3_21rocsparse_index_base_b.uses_flat_scratch, 0
	.set _ZL33csrmvn_symm_large_adaptive_kernelIll21rocsparse_complex_numIfES0_IdES2_S2_EvbT_PKS3_N9rocsparse24const_host_device_scalarIT4_EES5_PKT0_PKT1_PKT2_S9_PT3_21rocsparse_index_base_b.has_dyn_sized_stack, 0
	.set _ZL33csrmvn_symm_large_adaptive_kernelIll21rocsparse_complex_numIfES0_IdES2_S2_EvbT_PKS3_N9rocsparse24const_host_device_scalarIT4_EES5_PKT0_PKT1_PKT2_S9_PT3_21rocsparse_index_base_b.has_recursion, 0
	.set _ZL33csrmvn_symm_large_adaptive_kernelIll21rocsparse_complex_numIfES0_IdES2_S2_EvbT_PKS3_N9rocsparse24const_host_device_scalarIT4_EES5_PKT0_PKT1_PKT2_S9_PT3_21rocsparse_index_base_b.has_indirect_call, 0
	.section	.AMDGPU.csdata,"",@progbits
; Kernel info:
; codeLenInByte = 2120
; TotalNumSgprs: 54
; NumVgprs: 28
; NumAgprs: 0
; TotalNumVgprs: 28
; ScratchSize: 0
; MemoryBound: 0
; FloatMode: 240
; IeeeMode: 1
; LDSByteSize: 16384 bytes/workgroup (compile time only)
; SGPRBlocks: 6
; VGPRBlocks: 3
; NumSGPRsForWavesPerEU: 54
; NumVGPRsForWavesPerEU: 28
; AccumOffset: 28
; Occupancy: 8
; WaveLimiterHint : 1
; COMPUTE_PGM_RSRC2:SCRATCH_EN: 0
; COMPUTE_PGM_RSRC2:USER_SGPR: 2
; COMPUTE_PGM_RSRC2:TRAP_HANDLER: 0
; COMPUTE_PGM_RSRC2:TGID_X_EN: 1
; COMPUTE_PGM_RSRC2:TGID_Y_EN: 0
; COMPUTE_PGM_RSRC2:TGID_Z_EN: 0
; COMPUTE_PGM_RSRC2:TIDIG_COMP_CNT: 0
; COMPUTE_PGM_RSRC3_GFX90A:ACCUM_OFFSET: 6
; COMPUTE_PGM_RSRC3_GFX90A:TG_SPLIT: 0
	.section	.AMDGPU.gpr_maximums,"",@progbits
	.set amdgpu.max_num_vgpr, 0
	.set amdgpu.max_num_agpr, 0
	.set amdgpu.max_num_sgpr, 0
	.section	.AMDGPU.csdata,"",@progbits
	.type	__hip_cuid_e61ff3c4283fd8a,@object ; @__hip_cuid_e61ff3c4283fd8a
	.section	.bss,"aw",@nobits
	.globl	__hip_cuid_e61ff3c4283fd8a
__hip_cuid_e61ff3c4283fd8a:
	.byte	0                               ; 0x0
	.size	__hip_cuid_e61ff3c4283fd8a, 1

	.ident	"AMD clang version 22.0.0git (https://github.com/RadeonOpenCompute/llvm-project roc-7.2.4 26084 f58b06dce1f9c15707c5f808fd002e18c2accf7e)"
	.section	".note.GNU-stack","",@progbits
	.addrsig
	.addrsig_sym _ZN9rocsparse12cols_in_rowsE
	.addrsig_sym __hip_cuid_e61ff3c4283fd8a
	.amdgpu_metadata
---
amdhsa.kernels:
  - .agpr_count:     0
    .args:
      - .offset:         0
        .size:           1
        .value_kind:     by_value
      - .offset:         4
        .size:           4
        .value_kind:     by_value
      - .actual_access:  read_only
        .address_space:  global
        .offset:         8
        .size:           8
        .value_kind:     global_buffer
      - .address_space:  global
        .offset:         16
        .size:           8
        .value_kind:     global_buffer
      - .actual_access:  read_only
        .address_space:  global
        .offset:         24
        .size:           8
        .value_kind:     global_buffer
      - .offset:         32
        .size:           8
        .value_kind:     by_value
      - .actual_access:  read_only
        .address_space:  global
        .offset:         40
        .size:           8
        .value_kind:     global_buffer
      - .actual_access:  read_only
        .address_space:  global
        .offset:         48
        .size:           8
        .value_kind:     global_buffer
      - .actual_access:  read_only
        .address_space:  global
        .offset:         56
        .size:           8
        .value_kind:     global_buffer
      - .actual_access:  read_only
        .address_space:  global
        .offset:         64
        .size:           8
        .value_kind:     global_buffer
      - .offset:         72
        .size:           8
        .value_kind:     by_value
      - .address_space:  global
        .offset:         80
        .size:           8
        .value_kind:     global_buffer
      - .offset:         88
        .size:           4
        .value_kind:     by_value
      - .offset:         92
        .size:           1
        .value_kind:     by_value
    .group_segment_fixed_size: 4096
    .kernarg_segment_align: 8
    .kernarg_segment_size: 96
    .language:       OpenCL C
    .language_version:
      - 2
      - 0
    .max_flat_workgroup_size: 256
    .name:           _ZN9rocsparseL22csrmvn_adaptive_kernelIiiffffEEvbT_PKS1_PjPKT0_NS_24const_host_device_scalarIT4_EES3_S7_PKT1_PKT2_SA_PT3_21rocsparse_index_base_b
    .private_segment_fixed_size: 0
    .sgpr_count:     64
    .sgpr_spill_count: 0
    .symbol:         _ZN9rocsparseL22csrmvn_adaptive_kernelIiiffffEEvbT_PKS1_PjPKT0_NS_24const_host_device_scalarIT4_EES3_S7_PKT1_PKT2_SA_PT3_21rocsparse_index_base_b.kd
    .uniform_work_group_size: 1
    .uses_dynamic_stack: false
    .vgpr_count:     18
    .vgpr_spill_count: 0
    .wavefront_size: 64
  - .agpr_count:     0
    .args:
      - .offset:         0
        .size:           4
        .value_kind:     by_value
      - .offset:         4
        .size:           4
        .value_kind:     by_value
      - .offset:         8
        .size:           4
        .value_kind:     by_value
      - .offset:         16
        .size:           8
        .value_kind:     by_value
      - .address_space:  global
        .offset:         24
        .size:           8
        .value_kind:     global_buffer
      - .offset:         32
        .size:           1
        .value_kind:     by_value
    .group_segment_fixed_size: 0
    .kernarg_segment_align: 8
    .kernarg_segment_size: 36
    .language:       OpenCL C
    .language_version:
      - 2
      - 0
    .max_flat_workgroup_size: 256
    .name:           _ZN9rocsparseL22partial_scale_y_kernelIiffEEvT_S1_S1_NS_24const_host_device_scalarIT1_EEPT0_b
    .private_segment_fixed_size: 0
    .sgpr_count:     18
    .sgpr_spill_count: 0
    .symbol:         _ZN9rocsparseL22partial_scale_y_kernelIiffEEvT_S1_S1_NS_24const_host_device_scalarIT1_EEPT0_b.kd
    .uniform_work_group_size: 1
    .uses_dynamic_stack: false
    .vgpr_count:     4
    .vgpr_spill_count: 0
    .wavefront_size: 64
  - .agpr_count:     0
    .args:
      - .offset:         0
        .size:           1
        .value_kind:     by_value
      - .offset:         4
        .size:           4
        .value_kind:     by_value
      - .offset:         8
        .size:           4
        .value_kind:     by_value
      - .actual_access:  read_only
        .address_space:  global
        .offset:         16
        .size:           8
        .value_kind:     global_buffer
      - .offset:         24
        .size:           8
        .value_kind:     by_value
      - .actual_access:  read_only
        .address_space:  global
        .offset:         32
        .size:           8
        .value_kind:     global_buffer
      - .actual_access:  read_only
        .address_space:  global
        .offset:         40
        .size:           8
        .value_kind:     global_buffer
      - .actual_access:  read_only
        .address_space:  global
        .offset:         48
        .size:           8
        .value_kind:     global_buffer
      - .actual_access:  read_only
        .address_space:  global
        .offset:         56
        .size:           8
        .value_kind:     global_buffer
      - .offset:         64
        .size:           8
        .value_kind:     by_value
      - .address_space:  global
        .offset:         72
        .size:           8
        .value_kind:     global_buffer
      - .offset:         80
        .size:           4
        .value_kind:     by_value
      - .offset:         84
        .size:           1
        .value_kind:     by_value
      - .offset:         88
        .size:           4
        .value_kind:     hidden_block_count_x
      - .offset:         92
        .size:           4
        .value_kind:     hidden_block_count_y
      - .offset:         96
        .size:           4
        .value_kind:     hidden_block_count_z
      - .offset:         100
        .size:           2
        .value_kind:     hidden_group_size_x
      - .offset:         102
        .size:           2
        .value_kind:     hidden_group_size_y
      - .offset:         104
        .size:           2
        .value_kind:     hidden_group_size_z
      - .offset:         106
        .size:           2
        .value_kind:     hidden_remainder_x
      - .offset:         108
        .size:           2
        .value_kind:     hidden_remainder_y
      - .offset:         110
        .size:           2
        .value_kind:     hidden_remainder_z
      - .offset:         128
        .size:           8
        .value_kind:     hidden_global_offset_x
      - .offset:         136
        .size:           8
        .value_kind:     hidden_global_offset_y
      - .offset:         144
        .size:           8
        .value_kind:     hidden_global_offset_z
      - .offset:         152
        .size:           2
        .value_kind:     hidden_grid_dims
      - .offset:         208
        .size:           4
        .value_kind:     hidden_dynamic_lds_size
    .group_segment_fixed_size: 4096
    .kernarg_segment_align: 8
    .kernarg_segment_size: 344
    .language:       OpenCL C
    .language_version:
      - 2
      - 0
    .max_flat_workgroup_size: 256
    .name:           _ZN9rocsparseL27csrmvn_symm_adaptive_kernelIiiffffEEvbT_S1_PKS1_NS_24const_host_device_scalarIT4_EES3_PKT0_PKT1_PKT2_S6_PT3_21rocsparse_index_base_b
    .private_segment_fixed_size: 0
    .sgpr_count:     47
    .sgpr_spill_count: 0
    .symbol:         _ZN9rocsparseL27csrmvn_symm_adaptive_kernelIiiffffEEvbT_S1_PKS1_NS_24const_host_device_scalarIT4_EES3_PKT0_PKT1_PKT2_S6_PT3_21rocsparse_index_base_b.kd
    .uniform_work_group_size: 1
    .uses_dynamic_stack: false
    .vgpr_count:     16
    .vgpr_spill_count: 0
    .wavefront_size: 64
  - .agpr_count:     0
    .args:
      - .offset:         0
        .size:           1
        .value_kind:     by_value
      - .offset:         4
        .size:           4
        .value_kind:     by_value
      - .actual_access:  read_only
        .address_space:  global
        .offset:         8
        .size:           8
        .value_kind:     global_buffer
      - .offset:         16
        .size:           8
        .value_kind:     by_value
      - .actual_access:  read_only
        .address_space:  global
        .offset:         24
        .size:           8
        .value_kind:     global_buffer
      - .actual_access:  read_only
        .address_space:  global
        .offset:         32
        .size:           8
        .value_kind:     global_buffer
      - .actual_access:  read_only
        .address_space:  global
        .offset:         40
        .size:           8
        .value_kind:     global_buffer
      - .actual_access:  read_only
        .address_space:  global
        .offset:         48
        .size:           8
        .value_kind:     global_buffer
      - .offset:         56
        .size:           8
        .value_kind:     by_value
      - .address_space:  global
        .offset:         64
        .size:           8
        .value_kind:     global_buffer
      - .offset:         72
        .size:           4
        .value_kind:     by_value
      - .offset:         76
        .size:           1
        .value_kind:     by_value
    .group_segment_fixed_size: 4096
    .kernarg_segment_align: 8
    .kernarg_segment_size: 80
    .language:       OpenCL C
    .language_version:
      - 2
      - 0
    .max_flat_workgroup_size: 256
    .name:           _ZL33csrmvn_symm_large_adaptive_kernelIiiffffEvbT_PKS0_N9rocsparse24const_host_device_scalarIT4_EES2_PKT0_PKT1_PKT2_S6_PT3_21rocsparse_index_base_b
    .private_segment_fixed_size: 0
    .sgpr_count:     42
    .sgpr_spill_count: 0
    .symbol:         _ZL33csrmvn_symm_large_adaptive_kernelIiiffffEvbT_PKS0_N9rocsparse24const_host_device_scalarIT4_EES2_PKT0_PKT1_PKT2_S6_PT3_21rocsparse_index_base_b.kd
    .uniform_work_group_size: 1
    .uses_dynamic_stack: false
    .vgpr_count:     13
    .vgpr_spill_count: 0
    .wavefront_size: 64
  - .agpr_count:     0
    .args:
      - .offset:         0
        .size:           1
        .value_kind:     by_value
      - .offset:         8
        .size:           8
        .value_kind:     by_value
      - .actual_access:  read_only
        .address_space:  global
        .offset:         16
        .size:           8
        .value_kind:     global_buffer
      - .address_space:  global
        .offset:         24
        .size:           8
        .value_kind:     global_buffer
      - .actual_access:  read_only
        .address_space:  global
        .offset:         32
        .size:           8
        .value_kind:     global_buffer
      - .offset:         40
        .size:           8
        .value_kind:     by_value
      - .actual_access:  read_only
        .address_space:  global
        .offset:         48
        .size:           8
        .value_kind:     global_buffer
      - .actual_access:  read_only
        .address_space:  global
        .offset:         56
        .size:           8
        .value_kind:     global_buffer
      - .actual_access:  read_only
        .address_space:  global
        .offset:         64
        .size:           8
        .value_kind:     global_buffer
      - .actual_access:  read_only
        .address_space:  global
        .offset:         72
        .size:           8
        .value_kind:     global_buffer
      - .offset:         80
        .size:           8
        .value_kind:     by_value
      - .address_space:  global
        .offset:         88
        .size:           8
        .value_kind:     global_buffer
      - .offset:         96
        .size:           4
        .value_kind:     by_value
      - .offset:         100
        .size:           1
        .value_kind:     by_value
    .group_segment_fixed_size: 4096
    .kernarg_segment_align: 8
    .kernarg_segment_size: 104
    .language:       OpenCL C
    .language_version:
      - 2
      - 0
    .max_flat_workgroup_size: 256
    .name:           _ZN9rocsparseL22csrmvn_adaptive_kernelIliffffEEvbT_PKS1_PjPKT0_NS_24const_host_device_scalarIT4_EES3_S7_PKT1_PKT2_SA_PT3_21rocsparse_index_base_b
    .private_segment_fixed_size: 0
    .sgpr_count:     70
    .sgpr_spill_count: 0
    .symbol:         _ZN9rocsparseL22csrmvn_adaptive_kernelIliffffEEvbT_PKS1_PjPKT0_NS_24const_host_device_scalarIT4_EES3_S7_PKT1_PKT2_SA_PT3_21rocsparse_index_base_b.kd
    .uniform_work_group_size: 1
    .uses_dynamic_stack: false
    .vgpr_count:     23
    .vgpr_spill_count: 0
    .wavefront_size: 64
  - .agpr_count:     0
    .args:
      - .offset:         0
        .size:           1
        .value_kind:     by_value
      - .offset:         8
        .size:           8
        .value_kind:     by_value
      - .offset:         16
        .size:           8
        .value_kind:     by_value
      - .actual_access:  read_only
        .address_space:  global
        .offset:         24
        .size:           8
        .value_kind:     global_buffer
      - .offset:         32
        .size:           8
        .value_kind:     by_value
      - .actual_access:  read_only
        .address_space:  global
        .offset:         40
        .size:           8
        .value_kind:     global_buffer
      - .actual_access:  read_only
        .address_space:  global
        .offset:         48
        .size:           8
        .value_kind:     global_buffer
      - .actual_access:  read_only
        .address_space:  global
        .offset:         56
        .size:           8
        .value_kind:     global_buffer
      - .actual_access:  read_only
        .address_space:  global
        .offset:         64
        .size:           8
        .value_kind:     global_buffer
      - .offset:         72
        .size:           8
        .value_kind:     by_value
      - .address_space:  global
        .offset:         80
        .size:           8
        .value_kind:     global_buffer
      - .offset:         88
        .size:           4
        .value_kind:     by_value
      - .offset:         92
        .size:           1
        .value_kind:     by_value
      - .offset:         96
        .size:           4
        .value_kind:     hidden_block_count_x
      - .offset:         100
        .size:           4
        .value_kind:     hidden_block_count_y
      - .offset:         104
        .size:           4
        .value_kind:     hidden_block_count_z
      - .offset:         108
        .size:           2
        .value_kind:     hidden_group_size_x
      - .offset:         110
        .size:           2
        .value_kind:     hidden_group_size_y
      - .offset:         112
        .size:           2
        .value_kind:     hidden_group_size_z
      - .offset:         114
        .size:           2
        .value_kind:     hidden_remainder_x
      - .offset:         116
        .size:           2
        .value_kind:     hidden_remainder_y
      - .offset:         118
        .size:           2
        .value_kind:     hidden_remainder_z
      - .offset:         136
        .size:           8
        .value_kind:     hidden_global_offset_x
      - .offset:         144
        .size:           8
        .value_kind:     hidden_global_offset_y
      - .offset:         152
        .size:           8
        .value_kind:     hidden_global_offset_z
      - .offset:         160
        .size:           2
        .value_kind:     hidden_grid_dims
      - .offset:         216
        .size:           4
        .value_kind:     hidden_dynamic_lds_size
    .group_segment_fixed_size: 4096
    .kernarg_segment_align: 8
    .kernarg_segment_size: 352
    .language:       OpenCL C
    .language_version:
      - 2
      - 0
    .max_flat_workgroup_size: 256
    .name:           _ZN9rocsparseL27csrmvn_symm_adaptive_kernelIliffffEEvbT_S1_PKS1_NS_24const_host_device_scalarIT4_EES3_PKT0_PKT1_PKT2_S6_PT3_21rocsparse_index_base_b
    .private_segment_fixed_size: 0
    .sgpr_count:     58
    .sgpr_spill_count: 0
    .symbol:         _ZN9rocsparseL27csrmvn_symm_adaptive_kernelIliffffEEvbT_S1_PKS1_NS_24const_host_device_scalarIT4_EES3_PKT0_PKT1_PKT2_S6_PT3_21rocsparse_index_base_b.kd
    .uniform_work_group_size: 1
    .uses_dynamic_stack: false
    .vgpr_count:     22
    .vgpr_spill_count: 0
    .wavefront_size: 64
  - .agpr_count:     0
    .args:
      - .offset:         0
        .size:           1
        .value_kind:     by_value
      - .offset:         8
        .size:           8
        .value_kind:     by_value
      - .actual_access:  read_only
        .address_space:  global
        .offset:         16
        .size:           8
        .value_kind:     global_buffer
      - .offset:         24
        .size:           8
        .value_kind:     by_value
      - .actual_access:  read_only
        .address_space:  global
        .offset:         32
        .size:           8
        .value_kind:     global_buffer
      - .actual_access:  read_only
        .address_space:  global
        .offset:         40
        .size:           8
        .value_kind:     global_buffer
      - .actual_access:  read_only
        .address_space:  global
        .offset:         48
        .size:           8
        .value_kind:     global_buffer
      - .actual_access:  read_only
        .address_space:  global
        .offset:         56
        .size:           8
        .value_kind:     global_buffer
      - .offset:         64
        .size:           8
        .value_kind:     by_value
      - .address_space:  global
        .offset:         72
        .size:           8
        .value_kind:     global_buffer
      - .offset:         80
        .size:           4
        .value_kind:     by_value
      - .offset:         84
        .size:           1
        .value_kind:     by_value
    .group_segment_fixed_size: 4096
    .kernarg_segment_align: 8
    .kernarg_segment_size: 88
    .language:       OpenCL C
    .language_version:
      - 2
      - 0
    .max_flat_workgroup_size: 256
    .name:           _ZL33csrmvn_symm_large_adaptive_kernelIliffffEvbT_PKS0_N9rocsparse24const_host_device_scalarIT4_EES2_PKT0_PKT1_PKT2_S6_PT3_21rocsparse_index_base_b
    .private_segment_fixed_size: 0
    .sgpr_count:     46
    .sgpr_spill_count: 0
    .symbol:         _ZL33csrmvn_symm_large_adaptive_kernelIliffffEvbT_PKS0_N9rocsparse24const_host_device_scalarIT4_EES2_PKT0_PKT1_PKT2_S6_PT3_21rocsparse_index_base_b.kd
    .uniform_work_group_size: 1
    .uses_dynamic_stack: false
    .vgpr_count:     17
    .vgpr_spill_count: 0
    .wavefront_size: 64
  - .agpr_count:     0
    .args:
      - .offset:         0
        .size:           1
        .value_kind:     by_value
      - .offset:         8
        .size:           8
        .value_kind:     by_value
      - .actual_access:  read_only
        .address_space:  global
        .offset:         16
        .size:           8
        .value_kind:     global_buffer
      - .address_space:  global
        .offset:         24
        .size:           8
        .value_kind:     global_buffer
      - .actual_access:  read_only
        .address_space:  global
        .offset:         32
        .size:           8
        .value_kind:     global_buffer
      - .offset:         40
        .size:           8
        .value_kind:     by_value
      - .actual_access:  read_only
        .address_space:  global
        .offset:         48
        .size:           8
        .value_kind:     global_buffer
      - .actual_access:  read_only
        .address_space:  global
        .offset:         56
        .size:           8
        .value_kind:     global_buffer
      - .actual_access:  read_only
        .address_space:  global
        .offset:         64
        .size:           8
        .value_kind:     global_buffer
      - .actual_access:  read_only
        .address_space:  global
        .offset:         72
        .size:           8
        .value_kind:     global_buffer
      - .offset:         80
        .size:           8
        .value_kind:     by_value
      - .address_space:  global
        .offset:         88
        .size:           8
        .value_kind:     global_buffer
      - .offset:         96
        .size:           4
        .value_kind:     by_value
      - .offset:         100
        .size:           1
        .value_kind:     by_value
    .group_segment_fixed_size: 4096
    .kernarg_segment_align: 8
    .kernarg_segment_size: 104
    .language:       OpenCL C
    .language_version:
      - 2
      - 0
    .max_flat_workgroup_size: 256
    .name:           _ZN9rocsparseL22csrmvn_adaptive_kernelIllffffEEvbT_PKS1_PjPKT0_NS_24const_host_device_scalarIT4_EES3_S7_PKT1_PKT2_SA_PT3_21rocsparse_index_base_b
    .private_segment_fixed_size: 0
    .sgpr_count:     70
    .sgpr_spill_count: 0
    .symbol:         _ZN9rocsparseL22csrmvn_adaptive_kernelIllffffEEvbT_PKS1_PjPKT0_NS_24const_host_device_scalarIT4_EES3_S7_PKT1_PKT2_SA_PT3_21rocsparse_index_base_b.kd
    .uniform_work_group_size: 1
    .uses_dynamic_stack: false
    .vgpr_count:     19
    .vgpr_spill_count: 0
    .wavefront_size: 64
  - .agpr_count:     0
    .args:
      - .offset:         0
        .size:           8
        .value_kind:     by_value
      - .offset:         8
        .size:           8
        .value_kind:     by_value
      - .offset:         16
        .size:           8
        .value_kind:     by_value
      - .offset:         24
        .size:           8
        .value_kind:     by_value
      - .address_space:  global
        .offset:         32
        .size:           8
        .value_kind:     global_buffer
      - .offset:         40
        .size:           1
        .value_kind:     by_value
    .group_segment_fixed_size: 0
    .kernarg_segment_align: 8
    .kernarg_segment_size: 44
    .language:       OpenCL C
    .language_version:
      - 2
      - 0
    .max_flat_workgroup_size: 256
    .name:           _ZN9rocsparseL22partial_scale_y_kernelIlffEEvT_S1_S1_NS_24const_host_device_scalarIT1_EEPT0_b
    .private_segment_fixed_size: 0
    .sgpr_count:     20
    .sgpr_spill_count: 0
    .symbol:         _ZN9rocsparseL22partial_scale_y_kernelIlffEEvT_S1_S1_NS_24const_host_device_scalarIT1_EEPT0_b.kd
    .uniform_work_group_size: 1
    .uses_dynamic_stack: false
    .vgpr_count:     4
    .vgpr_spill_count: 0
    .wavefront_size: 64
  - .agpr_count:     0
    .args:
      - .offset:         0
        .size:           1
        .value_kind:     by_value
      - .offset:         8
        .size:           8
        .value_kind:     by_value
      - .offset:         16
        .size:           8
        .value_kind:     by_value
      - .actual_access:  read_only
        .address_space:  global
        .offset:         24
        .size:           8
        .value_kind:     global_buffer
      - .offset:         32
        .size:           8
        .value_kind:     by_value
      - .actual_access:  read_only
        .address_space:  global
        .offset:         40
        .size:           8
        .value_kind:     global_buffer
      - .actual_access:  read_only
        .address_space:  global
        .offset:         48
        .size:           8
        .value_kind:     global_buffer
      - .actual_access:  read_only
        .address_space:  global
        .offset:         56
        .size:           8
        .value_kind:     global_buffer
      - .actual_access:  read_only
        .address_space:  global
        .offset:         64
        .size:           8
        .value_kind:     global_buffer
      - .offset:         72
        .size:           8
        .value_kind:     by_value
      - .address_space:  global
        .offset:         80
        .size:           8
        .value_kind:     global_buffer
      - .offset:         88
        .size:           4
        .value_kind:     by_value
      - .offset:         92
        .size:           1
        .value_kind:     by_value
      - .offset:         96
        .size:           4
        .value_kind:     hidden_block_count_x
      - .offset:         100
        .size:           4
        .value_kind:     hidden_block_count_y
      - .offset:         104
        .size:           4
        .value_kind:     hidden_block_count_z
      - .offset:         108
        .size:           2
        .value_kind:     hidden_group_size_x
      - .offset:         110
        .size:           2
        .value_kind:     hidden_group_size_y
      - .offset:         112
        .size:           2
        .value_kind:     hidden_group_size_z
      - .offset:         114
        .size:           2
        .value_kind:     hidden_remainder_x
      - .offset:         116
        .size:           2
        .value_kind:     hidden_remainder_y
      - .offset:         118
        .size:           2
        .value_kind:     hidden_remainder_z
      - .offset:         136
        .size:           8
        .value_kind:     hidden_global_offset_x
      - .offset:         144
        .size:           8
        .value_kind:     hidden_global_offset_y
      - .offset:         152
        .size:           8
        .value_kind:     hidden_global_offset_z
      - .offset:         160
        .size:           2
        .value_kind:     hidden_grid_dims
      - .offset:         216
        .size:           4
        .value_kind:     hidden_dynamic_lds_size
    .group_segment_fixed_size: 4096
    .kernarg_segment_align: 8
    .kernarg_segment_size: 352
    .language:       OpenCL C
    .language_version:
      - 2
      - 0
    .max_flat_workgroup_size: 256
    .name:           _ZN9rocsparseL27csrmvn_symm_adaptive_kernelIllffffEEvbT_S1_PKS1_NS_24const_host_device_scalarIT4_EES3_PKT0_PKT1_PKT2_S6_PT3_21rocsparse_index_base_b
    .private_segment_fixed_size: 0
    .sgpr_count:     58
    .sgpr_spill_count: 0
    .symbol:         _ZN9rocsparseL27csrmvn_symm_adaptive_kernelIllffffEEvbT_S1_PKS1_NS_24const_host_device_scalarIT4_EES3_PKT0_PKT1_PKT2_S6_PT3_21rocsparse_index_base_b.kd
    .uniform_work_group_size: 1
    .uses_dynamic_stack: false
    .vgpr_count:     24
    .vgpr_spill_count: 0
    .wavefront_size: 64
  - .agpr_count:     0
    .args:
      - .offset:         0
        .size:           1
        .value_kind:     by_value
      - .offset:         8
        .size:           8
        .value_kind:     by_value
      - .actual_access:  read_only
        .address_space:  global
        .offset:         16
        .size:           8
        .value_kind:     global_buffer
      - .offset:         24
        .size:           8
        .value_kind:     by_value
      - .actual_access:  read_only
        .address_space:  global
        .offset:         32
        .size:           8
        .value_kind:     global_buffer
      - .actual_access:  read_only
        .address_space:  global
        .offset:         40
        .size:           8
        .value_kind:     global_buffer
      - .actual_access:  read_only
        .address_space:  global
        .offset:         48
        .size:           8
        .value_kind:     global_buffer
      - .actual_access:  read_only
        .address_space:  global
        .offset:         56
        .size:           8
        .value_kind:     global_buffer
      - .offset:         64
        .size:           8
        .value_kind:     by_value
      - .address_space:  global
        .offset:         72
        .size:           8
        .value_kind:     global_buffer
      - .offset:         80
        .size:           4
        .value_kind:     by_value
      - .offset:         84
        .size:           1
        .value_kind:     by_value
    .group_segment_fixed_size: 4096
    .kernarg_segment_align: 8
    .kernarg_segment_size: 88
    .language:       OpenCL C
    .language_version:
      - 2
      - 0
    .max_flat_workgroup_size: 256
    .name:           _ZL33csrmvn_symm_large_adaptive_kernelIllffffEvbT_PKS0_N9rocsparse24const_host_device_scalarIT4_EES2_PKT0_PKT1_PKT2_S6_PT3_21rocsparse_index_base_b
    .private_segment_fixed_size: 0
    .sgpr_count:     50
    .sgpr_spill_count: 0
    .symbol:         _ZL33csrmvn_symm_large_adaptive_kernelIllffffEvbT_PKS0_N9rocsparse24const_host_device_scalarIT4_EES2_PKT0_PKT1_PKT2_S6_PT3_21rocsparse_index_base_b.kd
    .uniform_work_group_size: 1
    .uses_dynamic_stack: false
    .vgpr_count:     16
    .vgpr_spill_count: 0
    .wavefront_size: 64
  - .agpr_count:     0
    .args:
      - .offset:         0
        .size:           1
        .value_kind:     by_value
      - .offset:         4
        .size:           4
        .value_kind:     by_value
      - .actual_access:  read_only
        .address_space:  global
        .offset:         8
        .size:           8
        .value_kind:     global_buffer
      - .address_space:  global
        .offset:         16
        .size:           8
        .value_kind:     global_buffer
      - .actual_access:  read_only
        .address_space:  global
        .offset:         24
        .size:           8
        .value_kind:     global_buffer
      - .offset:         32
        .size:           8
        .value_kind:     by_value
      - .actual_access:  read_only
        .address_space:  global
        .offset:         40
        .size:           8
        .value_kind:     global_buffer
      - .actual_access:  read_only
        .address_space:  global
        .offset:         48
        .size:           8
        .value_kind:     global_buffer
      - .actual_access:  read_only
        .address_space:  global
        .offset:         56
        .size:           8
        .value_kind:     global_buffer
      - .actual_access:  read_only
        .address_space:  global
        .offset:         64
        .size:           8
        .value_kind:     global_buffer
      - .offset:         72
        .size:           8
        .value_kind:     by_value
      - .address_space:  global
        .offset:         80
        .size:           8
        .value_kind:     global_buffer
      - .offset:         88
        .size:           4
        .value_kind:     by_value
      - .offset:         92
        .size:           1
        .value_kind:     by_value
    .group_segment_fixed_size: 8192
    .kernarg_segment_align: 8
    .kernarg_segment_size: 96
    .language:       OpenCL C
    .language_version:
      - 2
      - 0
    .max_flat_workgroup_size: 256
    .name:           _ZN9rocsparseL22csrmvn_adaptive_kernelIiiddddEEvbT_PKS1_PjPKT0_NS_24const_host_device_scalarIT4_EES3_S7_PKT1_PKT2_SA_PT3_21rocsparse_index_base_b
    .private_segment_fixed_size: 0
    .sgpr_count:     60
    .sgpr_spill_count: 0
    .symbol:         _ZN9rocsparseL22csrmvn_adaptive_kernelIiiddddEEvbT_PKS1_PjPKT0_NS_24const_host_device_scalarIT4_EES3_S7_PKT1_PKT2_SA_PT3_21rocsparse_index_base_b.kd
    .uniform_work_group_size: 1
    .uses_dynamic_stack: false
    .vgpr_count:     32
    .vgpr_spill_count: 0
    .wavefront_size: 64
  - .agpr_count:     0
    .args:
      - .offset:         0
        .size:           4
        .value_kind:     by_value
      - .offset:         4
        .size:           4
        .value_kind:     by_value
      - .offset:         8
        .size:           4
        .value_kind:     by_value
      - .offset:         16
        .size:           8
        .value_kind:     by_value
      - .address_space:  global
        .offset:         24
        .size:           8
        .value_kind:     global_buffer
      - .offset:         32
        .size:           1
        .value_kind:     by_value
    .group_segment_fixed_size: 0
    .kernarg_segment_align: 8
    .kernarg_segment_size: 36
    .language:       OpenCL C
    .language_version:
      - 2
      - 0
    .max_flat_workgroup_size: 256
    .name:           _ZN9rocsparseL22partial_scale_y_kernelIiddEEvT_S1_S1_NS_24const_host_device_scalarIT1_EEPT0_b
    .private_segment_fixed_size: 0
    .sgpr_count:     16
    .sgpr_spill_count: 0
    .symbol:         _ZN9rocsparseL22partial_scale_y_kernelIiddEEvT_S1_S1_NS_24const_host_device_scalarIT1_EEPT0_b.kd
    .uniform_work_group_size: 1
    .uses_dynamic_stack: false
    .vgpr_count:     6
    .vgpr_spill_count: 0
    .wavefront_size: 64
  - .agpr_count:     0
    .args:
      - .offset:         0
        .size:           1
        .value_kind:     by_value
      - .offset:         4
        .size:           4
        .value_kind:     by_value
      - .offset:         8
        .size:           4
        .value_kind:     by_value
      - .actual_access:  read_only
        .address_space:  global
        .offset:         16
        .size:           8
        .value_kind:     global_buffer
      - .offset:         24
        .size:           8
        .value_kind:     by_value
      - .actual_access:  read_only
        .address_space:  global
        .offset:         32
        .size:           8
        .value_kind:     global_buffer
      - .actual_access:  read_only
        .address_space:  global
        .offset:         40
        .size:           8
        .value_kind:     global_buffer
      - .actual_access:  read_only
        .address_space:  global
        .offset:         48
        .size:           8
        .value_kind:     global_buffer
      - .actual_access:  read_only
        .address_space:  global
        .offset:         56
        .size:           8
        .value_kind:     global_buffer
      - .offset:         64
        .size:           8
        .value_kind:     by_value
      - .address_space:  global
        .offset:         72
        .size:           8
        .value_kind:     global_buffer
      - .offset:         80
        .size:           4
        .value_kind:     by_value
      - .offset:         84
        .size:           1
        .value_kind:     by_value
      - .offset:         88
        .size:           4
        .value_kind:     hidden_block_count_x
      - .offset:         92
        .size:           4
        .value_kind:     hidden_block_count_y
      - .offset:         96
        .size:           4
        .value_kind:     hidden_block_count_z
      - .offset:         100
        .size:           2
        .value_kind:     hidden_group_size_x
      - .offset:         102
        .size:           2
        .value_kind:     hidden_group_size_y
      - .offset:         104
        .size:           2
        .value_kind:     hidden_group_size_z
      - .offset:         106
        .size:           2
        .value_kind:     hidden_remainder_x
      - .offset:         108
        .size:           2
        .value_kind:     hidden_remainder_y
      - .offset:         110
        .size:           2
        .value_kind:     hidden_remainder_z
      - .offset:         128
        .size:           8
        .value_kind:     hidden_global_offset_x
      - .offset:         136
        .size:           8
        .value_kind:     hidden_global_offset_y
      - .offset:         144
        .size:           8
        .value_kind:     hidden_global_offset_z
      - .offset:         152
        .size:           2
        .value_kind:     hidden_grid_dims
      - .offset:         208
        .size:           4
        .value_kind:     hidden_dynamic_lds_size
    .group_segment_fixed_size: 8192
    .kernarg_segment_align: 8
    .kernarg_segment_size: 344
    .language:       OpenCL C
    .language_version:
      - 2
      - 0
    .max_flat_workgroup_size: 256
    .name:           _ZN9rocsparseL27csrmvn_symm_adaptive_kernelIiiddddEEvbT_S1_PKS1_NS_24const_host_device_scalarIT4_EES3_PKT0_PKT1_PKT2_S6_PT3_21rocsparse_index_base_b
    .private_segment_fixed_size: 0
    .sgpr_count:     44
    .sgpr_spill_count: 0
    .symbol:         _ZN9rocsparseL27csrmvn_symm_adaptive_kernelIiiddddEEvbT_S1_PKS1_NS_24const_host_device_scalarIT4_EES3_PKT0_PKT1_PKT2_S6_PT3_21rocsparse_index_base_b.kd
    .uniform_work_group_size: 1
    .uses_dynamic_stack: false
    .vgpr_count:     18
    .vgpr_spill_count: 0
    .wavefront_size: 64
  - .agpr_count:     0
    .args:
      - .offset:         0
        .size:           1
        .value_kind:     by_value
      - .offset:         4
        .size:           4
        .value_kind:     by_value
      - .actual_access:  read_only
        .address_space:  global
        .offset:         8
        .size:           8
        .value_kind:     global_buffer
      - .offset:         16
        .size:           8
        .value_kind:     by_value
      - .actual_access:  read_only
        .address_space:  global
        .offset:         24
        .size:           8
        .value_kind:     global_buffer
      - .actual_access:  read_only
        .address_space:  global
        .offset:         32
        .size:           8
        .value_kind:     global_buffer
      - .actual_access:  read_only
        .address_space:  global
        .offset:         40
        .size:           8
        .value_kind:     global_buffer
      - .actual_access:  read_only
        .address_space:  global
        .offset:         48
        .size:           8
        .value_kind:     global_buffer
      - .offset:         56
        .size:           8
        .value_kind:     by_value
      - .address_space:  global
        .offset:         64
        .size:           8
        .value_kind:     global_buffer
      - .offset:         72
        .size:           4
        .value_kind:     by_value
      - .offset:         76
        .size:           1
        .value_kind:     by_value
    .group_segment_fixed_size: 8192
    .kernarg_segment_align: 8
    .kernarg_segment_size: 80
    .language:       OpenCL C
    .language_version:
      - 2
      - 0
    .max_flat_workgroup_size: 256
    .name:           _ZL33csrmvn_symm_large_adaptive_kernelIiiddddEvbT_PKS0_N9rocsparse24const_host_device_scalarIT4_EES2_PKT0_PKT1_PKT2_S6_PT3_21rocsparse_index_base_b
    .private_segment_fixed_size: 0
    .sgpr_count:     42
    .sgpr_spill_count: 0
    .symbol:         _ZL33csrmvn_symm_large_adaptive_kernelIiiddddEvbT_PKS0_N9rocsparse24const_host_device_scalarIT4_EES2_PKT0_PKT1_PKT2_S6_PT3_21rocsparse_index_base_b.kd
    .uniform_work_group_size: 1
    .uses_dynamic_stack: false
    .vgpr_count:     18
    .vgpr_spill_count: 0
    .wavefront_size: 64
  - .agpr_count:     0
    .args:
      - .offset:         0
        .size:           1
        .value_kind:     by_value
      - .offset:         8
        .size:           8
        .value_kind:     by_value
      - .actual_access:  read_only
        .address_space:  global
        .offset:         16
        .size:           8
        .value_kind:     global_buffer
      - .address_space:  global
        .offset:         24
        .size:           8
        .value_kind:     global_buffer
      - .actual_access:  read_only
        .address_space:  global
        .offset:         32
        .size:           8
        .value_kind:     global_buffer
      - .offset:         40
        .size:           8
        .value_kind:     by_value
      - .actual_access:  read_only
        .address_space:  global
        .offset:         48
        .size:           8
        .value_kind:     global_buffer
      - .actual_access:  read_only
        .address_space:  global
        .offset:         56
        .size:           8
        .value_kind:     global_buffer
      - .actual_access:  read_only
        .address_space:  global
        .offset:         64
        .size:           8
        .value_kind:     global_buffer
      - .actual_access:  read_only
        .address_space:  global
        .offset:         72
        .size:           8
        .value_kind:     global_buffer
      - .offset:         80
        .size:           8
        .value_kind:     by_value
      - .address_space:  global
        .offset:         88
        .size:           8
        .value_kind:     global_buffer
      - .offset:         96
        .size:           4
        .value_kind:     by_value
      - .offset:         100
        .size:           1
        .value_kind:     by_value
    .group_segment_fixed_size: 8192
    .kernarg_segment_align: 8
    .kernarg_segment_size: 104
    .language:       OpenCL C
    .language_version:
      - 2
      - 0
    .max_flat_workgroup_size: 256
    .name:           _ZN9rocsparseL22csrmvn_adaptive_kernelIliddddEEvbT_PKS1_PjPKT0_NS_24const_host_device_scalarIT4_EES3_S7_PKT1_PKT2_SA_PT3_21rocsparse_index_base_b
    .private_segment_fixed_size: 0
    .sgpr_count:     70
    .sgpr_spill_count: 0
    .symbol:         _ZN9rocsparseL22csrmvn_adaptive_kernelIliddddEEvbT_PKS1_PjPKT0_NS_24const_host_device_scalarIT4_EES3_S7_PKT1_PKT2_SA_PT3_21rocsparse_index_base_b.kd
    .uniform_work_group_size: 1
    .uses_dynamic_stack: false
    .vgpr_count:     32
    .vgpr_spill_count: 0
    .wavefront_size: 64
  - .agpr_count:     0
    .args:
      - .offset:         0
        .size:           1
        .value_kind:     by_value
      - .offset:         8
        .size:           8
        .value_kind:     by_value
      - .offset:         16
        .size:           8
        .value_kind:     by_value
      - .actual_access:  read_only
        .address_space:  global
        .offset:         24
        .size:           8
        .value_kind:     global_buffer
      - .offset:         32
        .size:           8
        .value_kind:     by_value
      - .actual_access:  read_only
        .address_space:  global
        .offset:         40
        .size:           8
        .value_kind:     global_buffer
      - .actual_access:  read_only
        .address_space:  global
        .offset:         48
        .size:           8
        .value_kind:     global_buffer
      - .actual_access:  read_only
        .address_space:  global
        .offset:         56
        .size:           8
        .value_kind:     global_buffer
      - .actual_access:  read_only
        .address_space:  global
        .offset:         64
        .size:           8
        .value_kind:     global_buffer
      - .offset:         72
        .size:           8
        .value_kind:     by_value
      - .address_space:  global
        .offset:         80
        .size:           8
        .value_kind:     global_buffer
      - .offset:         88
        .size:           4
        .value_kind:     by_value
      - .offset:         92
        .size:           1
        .value_kind:     by_value
      - .offset:         96
        .size:           4
        .value_kind:     hidden_block_count_x
      - .offset:         100
        .size:           4
        .value_kind:     hidden_block_count_y
      - .offset:         104
        .size:           4
        .value_kind:     hidden_block_count_z
      - .offset:         108
        .size:           2
        .value_kind:     hidden_group_size_x
      - .offset:         110
        .size:           2
        .value_kind:     hidden_group_size_y
      - .offset:         112
        .size:           2
        .value_kind:     hidden_group_size_z
      - .offset:         114
        .size:           2
        .value_kind:     hidden_remainder_x
      - .offset:         116
        .size:           2
        .value_kind:     hidden_remainder_y
      - .offset:         118
        .size:           2
        .value_kind:     hidden_remainder_z
      - .offset:         136
        .size:           8
        .value_kind:     hidden_global_offset_x
      - .offset:         144
        .size:           8
        .value_kind:     hidden_global_offset_y
      - .offset:         152
        .size:           8
        .value_kind:     hidden_global_offset_z
      - .offset:         160
        .size:           2
        .value_kind:     hidden_grid_dims
      - .offset:         216
        .size:           4
        .value_kind:     hidden_dynamic_lds_size
    .group_segment_fixed_size: 8192
    .kernarg_segment_align: 8
    .kernarg_segment_size: 352
    .language:       OpenCL C
    .language_version:
      - 2
      - 0
    .max_flat_workgroup_size: 256
    .name:           _ZN9rocsparseL27csrmvn_symm_adaptive_kernelIliddddEEvbT_S1_PKS1_NS_24const_host_device_scalarIT4_EES3_PKT0_PKT1_PKT2_S6_PT3_21rocsparse_index_base_b
    .private_segment_fixed_size: 0
    .sgpr_count:     58
    .sgpr_spill_count: 0
    .symbol:         _ZN9rocsparseL27csrmvn_symm_adaptive_kernelIliddddEEvbT_S1_PKS1_NS_24const_host_device_scalarIT4_EES3_PKT0_PKT1_PKT2_S6_PT3_21rocsparse_index_base_b.kd
    .uniform_work_group_size: 1
    .uses_dynamic_stack: false
    .vgpr_count:     22
    .vgpr_spill_count: 0
    .wavefront_size: 64
  - .agpr_count:     0
    .args:
      - .offset:         0
        .size:           1
        .value_kind:     by_value
      - .offset:         8
        .size:           8
        .value_kind:     by_value
      - .actual_access:  read_only
        .address_space:  global
        .offset:         16
        .size:           8
        .value_kind:     global_buffer
      - .offset:         24
        .size:           8
        .value_kind:     by_value
      - .actual_access:  read_only
        .address_space:  global
        .offset:         32
        .size:           8
        .value_kind:     global_buffer
      - .actual_access:  read_only
        .address_space:  global
        .offset:         40
        .size:           8
        .value_kind:     global_buffer
      - .actual_access:  read_only
        .address_space:  global
        .offset:         48
        .size:           8
        .value_kind:     global_buffer
      - .actual_access:  read_only
        .address_space:  global
        .offset:         56
        .size:           8
        .value_kind:     global_buffer
      - .offset:         64
        .size:           8
        .value_kind:     by_value
      - .address_space:  global
        .offset:         72
        .size:           8
        .value_kind:     global_buffer
      - .offset:         80
        .size:           4
        .value_kind:     by_value
      - .offset:         84
        .size:           1
        .value_kind:     by_value
    .group_segment_fixed_size: 8192
    .kernarg_segment_align: 8
    .kernarg_segment_size: 88
    .language:       OpenCL C
    .language_version:
      - 2
      - 0
    .max_flat_workgroup_size: 256
    .name:           _ZL33csrmvn_symm_large_adaptive_kernelIliddddEvbT_PKS0_N9rocsparse24const_host_device_scalarIT4_EES2_PKT0_PKT1_PKT2_S6_PT3_21rocsparse_index_base_b
    .private_segment_fixed_size: 0
    .sgpr_count:     50
    .sgpr_spill_count: 0
    .symbol:         _ZL33csrmvn_symm_large_adaptive_kernelIliddddEvbT_PKS0_N9rocsparse24const_host_device_scalarIT4_EES2_PKT0_PKT1_PKT2_S6_PT3_21rocsparse_index_base_b.kd
    .uniform_work_group_size: 1
    .uses_dynamic_stack: false
    .vgpr_count:     20
    .vgpr_spill_count: 0
    .wavefront_size: 64
  - .agpr_count:     0
    .args:
      - .offset:         0
        .size:           1
        .value_kind:     by_value
      - .offset:         8
        .size:           8
        .value_kind:     by_value
      - .actual_access:  read_only
        .address_space:  global
        .offset:         16
        .size:           8
        .value_kind:     global_buffer
      - .address_space:  global
        .offset:         24
        .size:           8
        .value_kind:     global_buffer
      - .actual_access:  read_only
        .address_space:  global
        .offset:         32
        .size:           8
        .value_kind:     global_buffer
      - .offset:         40
        .size:           8
        .value_kind:     by_value
      - .actual_access:  read_only
        .address_space:  global
        .offset:         48
        .size:           8
        .value_kind:     global_buffer
      - .actual_access:  read_only
        .address_space:  global
        .offset:         56
        .size:           8
        .value_kind:     global_buffer
      - .actual_access:  read_only
        .address_space:  global
        .offset:         64
        .size:           8
        .value_kind:     global_buffer
      - .actual_access:  read_only
        .address_space:  global
        .offset:         72
        .size:           8
        .value_kind:     global_buffer
      - .offset:         80
        .size:           8
        .value_kind:     by_value
      - .address_space:  global
        .offset:         88
        .size:           8
        .value_kind:     global_buffer
      - .offset:         96
        .size:           4
        .value_kind:     by_value
      - .offset:         100
        .size:           1
        .value_kind:     by_value
    .group_segment_fixed_size: 8192
    .kernarg_segment_align: 8
    .kernarg_segment_size: 104
    .language:       OpenCL C
    .language_version:
      - 2
      - 0
    .max_flat_workgroup_size: 256
    .name:           _ZN9rocsparseL22csrmvn_adaptive_kernelIllddddEEvbT_PKS1_PjPKT0_NS_24const_host_device_scalarIT4_EES3_S7_PKT1_PKT2_SA_PT3_21rocsparse_index_base_b
    .private_segment_fixed_size: 0
    .sgpr_count:     70
    .sgpr_spill_count: 0
    .symbol:         _ZN9rocsparseL22csrmvn_adaptive_kernelIllddddEEvbT_PKS1_PjPKT0_NS_24const_host_device_scalarIT4_EES3_S7_PKT1_PKT2_SA_PT3_21rocsparse_index_base_b.kd
    .uniform_work_group_size: 1
    .uses_dynamic_stack: false
    .vgpr_count:     28
    .vgpr_spill_count: 0
    .wavefront_size: 64
  - .agpr_count:     0
    .args:
      - .offset:         0
        .size:           8
        .value_kind:     by_value
      - .offset:         8
        .size:           8
        .value_kind:     by_value
      - .offset:         16
        .size:           8
        .value_kind:     by_value
      - .offset:         24
        .size:           8
        .value_kind:     by_value
      - .address_space:  global
        .offset:         32
        .size:           8
        .value_kind:     global_buffer
      - .offset:         40
        .size:           1
        .value_kind:     by_value
    .group_segment_fixed_size: 0
    .kernarg_segment_align: 8
    .kernarg_segment_size: 44
    .language:       OpenCL C
    .language_version:
      - 2
      - 0
    .max_flat_workgroup_size: 256
    .name:           _ZN9rocsparseL22partial_scale_y_kernelIlddEEvT_S1_S1_NS_24const_host_device_scalarIT1_EEPT0_b
    .private_segment_fixed_size: 0
    .sgpr_count:     20
    .sgpr_spill_count: 0
    .symbol:         _ZN9rocsparseL22partial_scale_y_kernelIlddEEvT_S1_S1_NS_24const_host_device_scalarIT1_EEPT0_b.kd
    .uniform_work_group_size: 1
    .uses_dynamic_stack: false
    .vgpr_count:     6
    .vgpr_spill_count: 0
    .wavefront_size: 64
  - .agpr_count:     0
    .args:
      - .offset:         0
        .size:           1
        .value_kind:     by_value
      - .offset:         8
        .size:           8
        .value_kind:     by_value
      - .offset:         16
        .size:           8
        .value_kind:     by_value
      - .actual_access:  read_only
        .address_space:  global
        .offset:         24
        .size:           8
        .value_kind:     global_buffer
      - .offset:         32
        .size:           8
        .value_kind:     by_value
      - .actual_access:  read_only
        .address_space:  global
        .offset:         40
        .size:           8
        .value_kind:     global_buffer
      - .actual_access:  read_only
        .address_space:  global
        .offset:         48
        .size:           8
        .value_kind:     global_buffer
      - .actual_access:  read_only
        .address_space:  global
        .offset:         56
        .size:           8
        .value_kind:     global_buffer
      - .actual_access:  read_only
        .address_space:  global
        .offset:         64
        .size:           8
        .value_kind:     global_buffer
      - .offset:         72
        .size:           8
        .value_kind:     by_value
      - .address_space:  global
        .offset:         80
        .size:           8
        .value_kind:     global_buffer
      - .offset:         88
        .size:           4
        .value_kind:     by_value
      - .offset:         92
        .size:           1
        .value_kind:     by_value
      - .offset:         96
        .size:           4
        .value_kind:     hidden_block_count_x
      - .offset:         100
        .size:           4
        .value_kind:     hidden_block_count_y
      - .offset:         104
        .size:           4
        .value_kind:     hidden_block_count_z
      - .offset:         108
        .size:           2
        .value_kind:     hidden_group_size_x
      - .offset:         110
        .size:           2
        .value_kind:     hidden_group_size_y
      - .offset:         112
        .size:           2
        .value_kind:     hidden_group_size_z
      - .offset:         114
        .size:           2
        .value_kind:     hidden_remainder_x
      - .offset:         116
        .size:           2
        .value_kind:     hidden_remainder_y
      - .offset:         118
        .size:           2
        .value_kind:     hidden_remainder_z
      - .offset:         136
        .size:           8
        .value_kind:     hidden_global_offset_x
      - .offset:         144
        .size:           8
        .value_kind:     hidden_global_offset_y
      - .offset:         152
        .size:           8
        .value_kind:     hidden_global_offset_z
      - .offset:         160
        .size:           2
        .value_kind:     hidden_grid_dims
      - .offset:         216
        .size:           4
        .value_kind:     hidden_dynamic_lds_size
    .group_segment_fixed_size: 8192
    .kernarg_segment_align: 8
    .kernarg_segment_size: 352
    .language:       OpenCL C
    .language_version:
      - 2
      - 0
    .max_flat_workgroup_size: 256
    .name:           _ZN9rocsparseL27csrmvn_symm_adaptive_kernelIllddddEEvbT_S1_PKS1_NS_24const_host_device_scalarIT4_EES3_PKT0_PKT1_PKT2_S6_PT3_21rocsparse_index_base_b
    .private_segment_fixed_size: 0
    .sgpr_count:     58
    .sgpr_spill_count: 0
    .symbol:         _ZN9rocsparseL27csrmvn_symm_adaptive_kernelIllddddEEvbT_S1_PKS1_NS_24const_host_device_scalarIT4_EES3_PKT0_PKT1_PKT2_S6_PT3_21rocsparse_index_base_b.kd
    .uniform_work_group_size: 1
    .uses_dynamic_stack: false
    .vgpr_count:     22
    .vgpr_spill_count: 0
    .wavefront_size: 64
  - .agpr_count:     0
    .args:
      - .offset:         0
        .size:           1
        .value_kind:     by_value
      - .offset:         8
        .size:           8
        .value_kind:     by_value
      - .actual_access:  read_only
        .address_space:  global
        .offset:         16
        .size:           8
        .value_kind:     global_buffer
      - .offset:         24
        .size:           8
        .value_kind:     by_value
      - .actual_access:  read_only
        .address_space:  global
        .offset:         32
        .size:           8
        .value_kind:     global_buffer
      - .actual_access:  read_only
        .address_space:  global
        .offset:         40
        .size:           8
        .value_kind:     global_buffer
      - .actual_access:  read_only
        .address_space:  global
        .offset:         48
        .size:           8
        .value_kind:     global_buffer
      - .actual_access:  read_only
        .address_space:  global
        .offset:         56
        .size:           8
        .value_kind:     global_buffer
      - .offset:         64
        .size:           8
        .value_kind:     by_value
      - .address_space:  global
        .offset:         72
        .size:           8
        .value_kind:     global_buffer
      - .offset:         80
        .size:           4
        .value_kind:     by_value
      - .offset:         84
        .size:           1
        .value_kind:     by_value
    .group_segment_fixed_size: 8192
    .kernarg_segment_align: 8
    .kernarg_segment_size: 88
    .language:       OpenCL C
    .language_version:
      - 2
      - 0
    .max_flat_workgroup_size: 256
    .name:           _ZL33csrmvn_symm_large_adaptive_kernelIllddddEvbT_PKS0_N9rocsparse24const_host_device_scalarIT4_EES2_PKT0_PKT1_PKT2_S6_PT3_21rocsparse_index_base_b
    .private_segment_fixed_size: 0
    .sgpr_count:     50
    .sgpr_spill_count: 0
    .symbol:         _ZL33csrmvn_symm_large_adaptive_kernelIllddddEvbT_PKS0_N9rocsparse24const_host_device_scalarIT4_EES2_PKT0_PKT1_PKT2_S6_PT3_21rocsparse_index_base_b.kd
    .uniform_work_group_size: 1
    .uses_dynamic_stack: false
    .vgpr_count:     20
    .vgpr_spill_count: 0
    .wavefront_size: 64
  - .agpr_count:     0
    .args:
      - .offset:         0
        .size:           1
        .value_kind:     by_value
      - .offset:         4
        .size:           4
        .value_kind:     by_value
      - .actual_access:  read_only
        .address_space:  global
        .offset:         8
        .size:           8
        .value_kind:     global_buffer
      - .address_space:  global
        .offset:         16
        .size:           8
        .value_kind:     global_buffer
      - .actual_access:  read_only
        .address_space:  global
        .offset:         24
        .size:           8
        .value_kind:     global_buffer
      - .offset:         32
        .size:           8
        .value_kind:     by_value
      - .actual_access:  read_only
        .address_space:  global
        .offset:         40
        .size:           8
        .value_kind:     global_buffer
      - .actual_access:  read_only
        .address_space:  global
        .offset:         48
        .size:           8
        .value_kind:     global_buffer
      - .actual_access:  read_only
        .address_space:  global
        .offset:         56
        .size:           8
        .value_kind:     global_buffer
      - .actual_access:  read_only
        .address_space:  global
        .offset:         64
        .size:           8
        .value_kind:     global_buffer
      - .offset:         72
        .size:           8
        .value_kind:     by_value
      - .address_space:  global
        .offset:         80
        .size:           8
        .value_kind:     global_buffer
      - .offset:         88
        .size:           4
        .value_kind:     by_value
      - .offset:         92
        .size:           1
        .value_kind:     by_value
    .group_segment_fixed_size: 8192
    .kernarg_segment_align: 8
    .kernarg_segment_size: 96
    .language:       OpenCL C
    .language_version:
      - 2
      - 0
    .max_flat_workgroup_size: 256
    .name:           _ZN9rocsparseL22csrmvn_adaptive_kernelIii21rocsparse_complex_numIfES2_S2_S2_EEvbT_PKS3_PjPKT0_NS_24const_host_device_scalarIT4_EES5_S9_PKT1_PKT2_SC_PT3_21rocsparse_index_base_b
    .private_segment_fixed_size: 0
    .sgpr_count:     68
    .sgpr_spill_count: 0
    .symbol:         _ZN9rocsparseL22csrmvn_adaptive_kernelIii21rocsparse_complex_numIfES2_S2_S2_EEvbT_PKS3_PjPKT0_NS_24const_host_device_scalarIT4_EES5_S9_PKT1_PKT2_SC_PT3_21rocsparse_index_base_b.kd
    .uniform_work_group_size: 1
    .uses_dynamic_stack: false
    .vgpr_count:     34
    .vgpr_spill_count: 0
    .wavefront_size: 64
  - .agpr_count:     0
    .args:
      - .offset:         0
        .size:           4
        .value_kind:     by_value
      - .offset:         4
        .size:           4
        .value_kind:     by_value
      - .offset:         8
        .size:           4
        .value_kind:     by_value
      - .offset:         16
        .size:           8
        .value_kind:     by_value
      - .address_space:  global
        .offset:         24
        .size:           8
        .value_kind:     global_buffer
      - .offset:         32
        .size:           1
        .value_kind:     by_value
    .group_segment_fixed_size: 0
    .kernarg_segment_align: 8
    .kernarg_segment_size: 36
    .language:       OpenCL C
    .language_version:
      - 2
      - 0
    .max_flat_workgroup_size: 256
    .name:           _ZN9rocsparseL22partial_scale_y_kernelIi21rocsparse_complex_numIfES2_EEvT_S3_S3_NS_24const_host_device_scalarIT1_EEPT0_b
    .private_segment_fixed_size: 0
    .sgpr_count:     16
    .sgpr_spill_count: 0
    .symbol:         _ZN9rocsparseL22partial_scale_y_kernelIi21rocsparse_complex_numIfES2_EEvT_S3_S3_NS_24const_host_device_scalarIT1_EEPT0_b.kd
    .uniform_work_group_size: 1
    .uses_dynamic_stack: false
    .vgpr_count:     10
    .vgpr_spill_count: 0
    .wavefront_size: 64
  - .agpr_count:     0
    .args:
      - .offset:         0
        .size:           1
        .value_kind:     by_value
      - .offset:         4
        .size:           4
        .value_kind:     by_value
      - .offset:         8
        .size:           4
        .value_kind:     by_value
      - .actual_access:  read_only
        .address_space:  global
        .offset:         16
        .size:           8
        .value_kind:     global_buffer
      - .offset:         24
        .size:           8
        .value_kind:     by_value
      - .actual_access:  read_only
        .address_space:  global
        .offset:         32
        .size:           8
        .value_kind:     global_buffer
      - .actual_access:  read_only
        .address_space:  global
        .offset:         40
        .size:           8
        .value_kind:     global_buffer
      - .actual_access:  read_only
        .address_space:  global
        .offset:         48
        .size:           8
        .value_kind:     global_buffer
      - .actual_access:  read_only
        .address_space:  global
        .offset:         56
        .size:           8
        .value_kind:     global_buffer
      - .offset:         64
        .size:           8
        .value_kind:     by_value
      - .address_space:  global
        .offset:         72
        .size:           8
        .value_kind:     global_buffer
      - .offset:         80
        .size:           4
        .value_kind:     by_value
      - .offset:         84
        .size:           1
        .value_kind:     by_value
      - .offset:         88
        .size:           4
        .value_kind:     hidden_block_count_x
      - .offset:         92
        .size:           4
        .value_kind:     hidden_block_count_y
      - .offset:         96
        .size:           4
        .value_kind:     hidden_block_count_z
      - .offset:         100
        .size:           2
        .value_kind:     hidden_group_size_x
      - .offset:         102
        .size:           2
        .value_kind:     hidden_group_size_y
      - .offset:         104
        .size:           2
        .value_kind:     hidden_group_size_z
      - .offset:         106
        .size:           2
        .value_kind:     hidden_remainder_x
      - .offset:         108
        .size:           2
        .value_kind:     hidden_remainder_y
      - .offset:         110
        .size:           2
        .value_kind:     hidden_remainder_z
      - .offset:         128
        .size:           8
        .value_kind:     hidden_global_offset_x
      - .offset:         136
        .size:           8
        .value_kind:     hidden_global_offset_y
      - .offset:         144
        .size:           8
        .value_kind:     hidden_global_offset_z
      - .offset:         152
        .size:           2
        .value_kind:     hidden_grid_dims
      - .offset:         208
        .size:           4
        .value_kind:     hidden_dynamic_lds_size
    .group_segment_fixed_size: 8192
    .kernarg_segment_align: 8
    .kernarg_segment_size: 344
    .language:       OpenCL C
    .language_version:
      - 2
      - 0
    .max_flat_workgroup_size: 256
    .name:           _ZN9rocsparseL27csrmvn_symm_adaptive_kernelIii21rocsparse_complex_numIfES2_S2_S2_EEvbT_S3_PKS3_NS_24const_host_device_scalarIT4_EES5_PKT0_PKT1_PKT2_S8_PT3_21rocsparse_index_base_b
    .private_segment_fixed_size: 0
    .sgpr_count:     52
    .sgpr_spill_count: 0
    .symbol:         _ZN9rocsparseL27csrmvn_symm_adaptive_kernelIii21rocsparse_complex_numIfES2_S2_S2_EEvbT_S3_PKS3_NS_24const_host_device_scalarIT4_EES5_PKT0_PKT1_PKT2_S8_PT3_21rocsparse_index_base_b.kd
    .uniform_work_group_size: 1
    .uses_dynamic_stack: false
    .vgpr_count:     26
    .vgpr_spill_count: 0
    .wavefront_size: 64
  - .agpr_count:     0
    .args:
      - .offset:         0
        .size:           1
        .value_kind:     by_value
      - .offset:         4
        .size:           4
        .value_kind:     by_value
      - .actual_access:  read_only
        .address_space:  global
        .offset:         8
        .size:           8
        .value_kind:     global_buffer
      - .offset:         16
        .size:           8
        .value_kind:     by_value
      - .actual_access:  read_only
        .address_space:  global
        .offset:         24
        .size:           8
        .value_kind:     global_buffer
      - .actual_access:  read_only
        .address_space:  global
        .offset:         32
        .size:           8
        .value_kind:     global_buffer
      - .actual_access:  read_only
        .address_space:  global
        .offset:         40
        .size:           8
        .value_kind:     global_buffer
      - .actual_access:  read_only
        .address_space:  global
        .offset:         48
        .size:           8
        .value_kind:     global_buffer
      - .offset:         56
        .size:           8
        .value_kind:     by_value
      - .address_space:  global
        .offset:         64
        .size:           8
        .value_kind:     global_buffer
      - .offset:         72
        .size:           4
        .value_kind:     by_value
      - .offset:         76
        .size:           1
        .value_kind:     by_value
    .group_segment_fixed_size: 8192
    .kernarg_segment_align: 8
    .kernarg_segment_size: 80
    .language:       OpenCL C
    .language_version:
      - 2
      - 0
    .max_flat_workgroup_size: 256
    .name:           _ZL33csrmvn_symm_large_adaptive_kernelIii21rocsparse_complex_numIfES1_S1_S1_EvbT_PKS2_N9rocsparse24const_host_device_scalarIT4_EES4_PKT0_PKT1_PKT2_S8_PT3_21rocsparse_index_base_b
    .private_segment_fixed_size: 0
    .sgpr_count:     46
    .sgpr_spill_count: 0
    .symbol:         _ZL33csrmvn_symm_large_adaptive_kernelIii21rocsparse_complex_numIfES1_S1_S1_EvbT_PKS2_N9rocsparse24const_host_device_scalarIT4_EES4_PKT0_PKT1_PKT2_S8_PT3_21rocsparse_index_base_b.kd
    .uniform_work_group_size: 1
    .uses_dynamic_stack: false
    .vgpr_count:     20
    .vgpr_spill_count: 0
    .wavefront_size: 64
  - .agpr_count:     0
    .args:
      - .offset:         0
        .size:           1
        .value_kind:     by_value
      - .offset:         8
        .size:           8
        .value_kind:     by_value
      - .actual_access:  read_only
        .address_space:  global
        .offset:         16
        .size:           8
        .value_kind:     global_buffer
      - .address_space:  global
        .offset:         24
        .size:           8
        .value_kind:     global_buffer
      - .actual_access:  read_only
        .address_space:  global
        .offset:         32
        .size:           8
        .value_kind:     global_buffer
      - .offset:         40
        .size:           8
        .value_kind:     by_value
      - .actual_access:  read_only
        .address_space:  global
        .offset:         48
        .size:           8
        .value_kind:     global_buffer
      - .actual_access:  read_only
        .address_space:  global
        .offset:         56
        .size:           8
        .value_kind:     global_buffer
      - .actual_access:  read_only
        .address_space:  global
        .offset:         64
        .size:           8
        .value_kind:     global_buffer
      - .actual_access:  read_only
        .address_space:  global
        .offset:         72
        .size:           8
        .value_kind:     global_buffer
      - .offset:         80
        .size:           8
        .value_kind:     by_value
      - .address_space:  global
        .offset:         88
        .size:           8
        .value_kind:     global_buffer
      - .offset:         96
        .size:           4
        .value_kind:     by_value
      - .offset:         100
        .size:           1
        .value_kind:     by_value
    .group_segment_fixed_size: 8192
    .kernarg_segment_align: 8
    .kernarg_segment_size: 104
    .language:       OpenCL C
    .language_version:
      - 2
      - 0
    .max_flat_workgroup_size: 256
    .name:           _ZN9rocsparseL22csrmvn_adaptive_kernelIli21rocsparse_complex_numIfES2_S2_S2_EEvbT_PKS3_PjPKT0_NS_24const_host_device_scalarIT4_EES5_S9_PKT1_PKT2_SC_PT3_21rocsparse_index_base_b
    .private_segment_fixed_size: 0
    .sgpr_count:     76
    .sgpr_spill_count: 0
    .symbol:         _ZN9rocsparseL22csrmvn_adaptive_kernelIli21rocsparse_complex_numIfES2_S2_S2_EEvbT_PKS3_PjPKT0_NS_24const_host_device_scalarIT4_EES5_S9_PKT1_PKT2_SC_PT3_21rocsparse_index_base_b.kd
    .uniform_work_group_size: 1
    .uses_dynamic_stack: false
    .vgpr_count:     38
    .vgpr_spill_count: 0
    .wavefront_size: 64
  - .agpr_count:     0
    .args:
      - .offset:         0
        .size:           1
        .value_kind:     by_value
      - .offset:         8
        .size:           8
        .value_kind:     by_value
      - .offset:         16
        .size:           8
        .value_kind:     by_value
      - .actual_access:  read_only
        .address_space:  global
        .offset:         24
        .size:           8
        .value_kind:     global_buffer
      - .offset:         32
        .size:           8
        .value_kind:     by_value
      - .actual_access:  read_only
        .address_space:  global
        .offset:         40
        .size:           8
        .value_kind:     global_buffer
      - .actual_access:  read_only
        .address_space:  global
        .offset:         48
        .size:           8
        .value_kind:     global_buffer
      - .actual_access:  read_only
        .address_space:  global
        .offset:         56
        .size:           8
        .value_kind:     global_buffer
      - .actual_access:  read_only
        .address_space:  global
        .offset:         64
        .size:           8
        .value_kind:     global_buffer
      - .offset:         72
        .size:           8
        .value_kind:     by_value
      - .address_space:  global
        .offset:         80
        .size:           8
        .value_kind:     global_buffer
      - .offset:         88
        .size:           4
        .value_kind:     by_value
      - .offset:         92
        .size:           1
        .value_kind:     by_value
      - .offset:         96
        .size:           4
        .value_kind:     hidden_block_count_x
      - .offset:         100
        .size:           4
        .value_kind:     hidden_block_count_y
      - .offset:         104
        .size:           4
        .value_kind:     hidden_block_count_z
      - .offset:         108
        .size:           2
        .value_kind:     hidden_group_size_x
      - .offset:         110
        .size:           2
        .value_kind:     hidden_group_size_y
      - .offset:         112
        .size:           2
        .value_kind:     hidden_group_size_z
      - .offset:         114
        .size:           2
        .value_kind:     hidden_remainder_x
      - .offset:         116
        .size:           2
        .value_kind:     hidden_remainder_y
      - .offset:         118
        .size:           2
        .value_kind:     hidden_remainder_z
      - .offset:         136
        .size:           8
        .value_kind:     hidden_global_offset_x
      - .offset:         144
        .size:           8
        .value_kind:     hidden_global_offset_y
      - .offset:         152
        .size:           8
        .value_kind:     hidden_global_offset_z
      - .offset:         160
        .size:           2
        .value_kind:     hidden_grid_dims
      - .offset:         216
        .size:           4
        .value_kind:     hidden_dynamic_lds_size
    .group_segment_fixed_size: 8192
    .kernarg_segment_align: 8
    .kernarg_segment_size: 352
    .language:       OpenCL C
    .language_version:
      - 2
      - 0
    .max_flat_workgroup_size: 256
    .name:           _ZN9rocsparseL27csrmvn_symm_adaptive_kernelIli21rocsparse_complex_numIfES2_S2_S2_EEvbT_S3_PKS3_NS_24const_host_device_scalarIT4_EES5_PKT0_PKT1_PKT2_S8_PT3_21rocsparse_index_base_b
    .private_segment_fixed_size: 0
    .sgpr_count:     62
    .sgpr_spill_count: 0
    .symbol:         _ZN9rocsparseL27csrmvn_symm_adaptive_kernelIli21rocsparse_complex_numIfES2_S2_S2_EEvbT_S3_PKS3_NS_24const_host_device_scalarIT4_EES5_PKT0_PKT1_PKT2_S8_PT3_21rocsparse_index_base_b.kd
    .uniform_work_group_size: 1
    .uses_dynamic_stack: false
    .vgpr_count:     33
    .vgpr_spill_count: 0
    .wavefront_size: 64
  - .agpr_count:     0
    .args:
      - .offset:         0
        .size:           1
        .value_kind:     by_value
      - .offset:         8
        .size:           8
        .value_kind:     by_value
      - .actual_access:  read_only
        .address_space:  global
        .offset:         16
        .size:           8
        .value_kind:     global_buffer
      - .offset:         24
        .size:           8
        .value_kind:     by_value
      - .actual_access:  read_only
        .address_space:  global
        .offset:         32
        .size:           8
        .value_kind:     global_buffer
      - .actual_access:  read_only
        .address_space:  global
        .offset:         40
        .size:           8
        .value_kind:     global_buffer
      - .actual_access:  read_only
        .address_space:  global
        .offset:         48
        .size:           8
        .value_kind:     global_buffer
      - .actual_access:  read_only
        .address_space:  global
        .offset:         56
        .size:           8
        .value_kind:     global_buffer
      - .offset:         64
        .size:           8
        .value_kind:     by_value
      - .address_space:  global
        .offset:         72
        .size:           8
        .value_kind:     global_buffer
      - .offset:         80
        .size:           4
        .value_kind:     by_value
      - .offset:         84
        .size:           1
        .value_kind:     by_value
    .group_segment_fixed_size: 8192
    .kernarg_segment_align: 8
    .kernarg_segment_size: 88
    .language:       OpenCL C
    .language_version:
      - 2
      - 0
    .max_flat_workgroup_size: 256
    .name:           _ZL33csrmvn_symm_large_adaptive_kernelIli21rocsparse_complex_numIfES1_S1_S1_EvbT_PKS2_N9rocsparse24const_host_device_scalarIT4_EES4_PKT0_PKT1_PKT2_S8_PT3_21rocsparse_index_base_b
    .private_segment_fixed_size: 0
    .sgpr_count:     52
    .sgpr_spill_count: 0
    .symbol:         _ZL33csrmvn_symm_large_adaptive_kernelIli21rocsparse_complex_numIfES1_S1_S1_EvbT_PKS2_N9rocsparse24const_host_device_scalarIT4_EES4_PKT0_PKT1_PKT2_S8_PT3_21rocsparse_index_base_b.kd
    .uniform_work_group_size: 1
    .uses_dynamic_stack: false
    .vgpr_count:     22
    .vgpr_spill_count: 0
    .wavefront_size: 64
  - .agpr_count:     0
    .args:
      - .offset:         0
        .size:           1
        .value_kind:     by_value
      - .offset:         8
        .size:           8
        .value_kind:     by_value
      - .actual_access:  read_only
        .address_space:  global
        .offset:         16
        .size:           8
        .value_kind:     global_buffer
      - .address_space:  global
        .offset:         24
        .size:           8
        .value_kind:     global_buffer
      - .actual_access:  read_only
        .address_space:  global
        .offset:         32
        .size:           8
        .value_kind:     global_buffer
      - .offset:         40
        .size:           8
        .value_kind:     by_value
      - .actual_access:  read_only
        .address_space:  global
        .offset:         48
        .size:           8
        .value_kind:     global_buffer
      - .actual_access:  read_only
        .address_space:  global
        .offset:         56
        .size:           8
        .value_kind:     global_buffer
      - .actual_access:  read_only
        .address_space:  global
        .offset:         64
        .size:           8
        .value_kind:     global_buffer
      - .actual_access:  read_only
        .address_space:  global
        .offset:         72
        .size:           8
        .value_kind:     global_buffer
      - .offset:         80
        .size:           8
        .value_kind:     by_value
      - .address_space:  global
        .offset:         88
        .size:           8
        .value_kind:     global_buffer
      - .offset:         96
        .size:           4
        .value_kind:     by_value
      - .offset:         100
        .size:           1
        .value_kind:     by_value
    .group_segment_fixed_size: 8192
    .kernarg_segment_align: 8
    .kernarg_segment_size: 104
    .language:       OpenCL C
    .language_version:
      - 2
      - 0
    .max_flat_workgroup_size: 256
    .name:           _ZN9rocsparseL22csrmvn_adaptive_kernelIll21rocsparse_complex_numIfES2_S2_S2_EEvbT_PKS3_PjPKT0_NS_24const_host_device_scalarIT4_EES5_S9_PKT1_PKT2_SC_PT3_21rocsparse_index_base_b
    .private_segment_fixed_size: 0
    .sgpr_count:     78
    .sgpr_spill_count: 0
    .symbol:         _ZN9rocsparseL22csrmvn_adaptive_kernelIll21rocsparse_complex_numIfES2_S2_S2_EEvbT_PKS3_PjPKT0_NS_24const_host_device_scalarIT4_EES5_S9_PKT1_PKT2_SC_PT3_21rocsparse_index_base_b.kd
    .uniform_work_group_size: 1
    .uses_dynamic_stack: false
    .vgpr_count:     34
    .vgpr_spill_count: 0
    .wavefront_size: 64
  - .agpr_count:     0
    .args:
      - .offset:         0
        .size:           8
        .value_kind:     by_value
      - .offset:         8
        .size:           8
        .value_kind:     by_value
      - .offset:         16
        .size:           8
        .value_kind:     by_value
      - .offset:         24
        .size:           8
        .value_kind:     by_value
      - .address_space:  global
        .offset:         32
        .size:           8
        .value_kind:     global_buffer
      - .offset:         40
        .size:           1
        .value_kind:     by_value
    .group_segment_fixed_size: 0
    .kernarg_segment_align: 8
    .kernarg_segment_size: 44
    .language:       OpenCL C
    .language_version:
      - 2
      - 0
    .max_flat_workgroup_size: 256
    .name:           _ZN9rocsparseL22partial_scale_y_kernelIl21rocsparse_complex_numIfES2_EEvT_S3_S3_NS_24const_host_device_scalarIT1_EEPT0_b
    .private_segment_fixed_size: 0
    .sgpr_count:     22
    .sgpr_spill_count: 0
    .symbol:         _ZN9rocsparseL22partial_scale_y_kernelIl21rocsparse_complex_numIfES2_EEvT_S3_S3_NS_24const_host_device_scalarIT1_EEPT0_b.kd
    .uniform_work_group_size: 1
    .uses_dynamic_stack: false
    .vgpr_count:     10
    .vgpr_spill_count: 0
    .wavefront_size: 64
  - .agpr_count:     0
    .args:
      - .offset:         0
        .size:           1
        .value_kind:     by_value
      - .offset:         8
        .size:           8
        .value_kind:     by_value
      - .offset:         16
        .size:           8
        .value_kind:     by_value
      - .actual_access:  read_only
        .address_space:  global
        .offset:         24
        .size:           8
        .value_kind:     global_buffer
      - .offset:         32
        .size:           8
        .value_kind:     by_value
      - .actual_access:  read_only
        .address_space:  global
        .offset:         40
        .size:           8
        .value_kind:     global_buffer
      - .actual_access:  read_only
        .address_space:  global
        .offset:         48
        .size:           8
        .value_kind:     global_buffer
      - .actual_access:  read_only
        .address_space:  global
        .offset:         56
        .size:           8
        .value_kind:     global_buffer
      - .actual_access:  read_only
        .address_space:  global
        .offset:         64
        .size:           8
        .value_kind:     global_buffer
      - .offset:         72
        .size:           8
        .value_kind:     by_value
      - .address_space:  global
        .offset:         80
        .size:           8
        .value_kind:     global_buffer
      - .offset:         88
        .size:           4
        .value_kind:     by_value
      - .offset:         92
        .size:           1
        .value_kind:     by_value
      - .offset:         96
        .size:           4
        .value_kind:     hidden_block_count_x
      - .offset:         100
        .size:           4
        .value_kind:     hidden_block_count_y
      - .offset:         104
        .size:           4
        .value_kind:     hidden_block_count_z
      - .offset:         108
        .size:           2
        .value_kind:     hidden_group_size_x
      - .offset:         110
        .size:           2
        .value_kind:     hidden_group_size_y
      - .offset:         112
        .size:           2
        .value_kind:     hidden_group_size_z
      - .offset:         114
        .size:           2
        .value_kind:     hidden_remainder_x
      - .offset:         116
        .size:           2
        .value_kind:     hidden_remainder_y
      - .offset:         118
        .size:           2
        .value_kind:     hidden_remainder_z
      - .offset:         136
        .size:           8
        .value_kind:     hidden_global_offset_x
      - .offset:         144
        .size:           8
        .value_kind:     hidden_global_offset_y
      - .offset:         152
        .size:           8
        .value_kind:     hidden_global_offset_z
      - .offset:         160
        .size:           2
        .value_kind:     hidden_grid_dims
      - .offset:         216
        .size:           4
        .value_kind:     hidden_dynamic_lds_size
    .group_segment_fixed_size: 8192
    .kernarg_segment_align: 8
    .kernarg_segment_size: 352
    .language:       OpenCL C
    .language_version:
      - 2
      - 0
    .max_flat_workgroup_size: 256
    .name:           _ZN9rocsparseL27csrmvn_symm_adaptive_kernelIll21rocsparse_complex_numIfES2_S2_S2_EEvbT_S3_PKS3_NS_24const_host_device_scalarIT4_EES5_PKT0_PKT1_PKT2_S8_PT3_21rocsparse_index_base_b
    .private_segment_fixed_size: 0
    .sgpr_count:     60
    .sgpr_spill_count: 0
    .symbol:         _ZN9rocsparseL27csrmvn_symm_adaptive_kernelIll21rocsparse_complex_numIfES2_S2_S2_EEvbT_S3_PKS3_NS_24const_host_device_scalarIT4_EES5_PKT0_PKT1_PKT2_S8_PT3_21rocsparse_index_base_b.kd
    .uniform_work_group_size: 1
    .uses_dynamic_stack: false
    .vgpr_count:     33
    .vgpr_spill_count: 0
    .wavefront_size: 64
  - .agpr_count:     0
    .args:
      - .offset:         0
        .size:           1
        .value_kind:     by_value
      - .offset:         8
        .size:           8
        .value_kind:     by_value
      - .actual_access:  read_only
        .address_space:  global
        .offset:         16
        .size:           8
        .value_kind:     global_buffer
      - .offset:         24
        .size:           8
        .value_kind:     by_value
      - .actual_access:  read_only
        .address_space:  global
        .offset:         32
        .size:           8
        .value_kind:     global_buffer
      - .actual_access:  read_only
        .address_space:  global
        .offset:         40
        .size:           8
        .value_kind:     global_buffer
      - .actual_access:  read_only
        .address_space:  global
        .offset:         48
        .size:           8
        .value_kind:     global_buffer
      - .actual_access:  read_only
        .address_space:  global
        .offset:         56
        .size:           8
        .value_kind:     global_buffer
      - .offset:         64
        .size:           8
        .value_kind:     by_value
      - .address_space:  global
        .offset:         72
        .size:           8
        .value_kind:     global_buffer
      - .offset:         80
        .size:           4
        .value_kind:     by_value
      - .offset:         84
        .size:           1
        .value_kind:     by_value
    .group_segment_fixed_size: 8192
    .kernarg_segment_align: 8
    .kernarg_segment_size: 88
    .language:       OpenCL C
    .language_version:
      - 2
      - 0
    .max_flat_workgroup_size: 256
    .name:           _ZL33csrmvn_symm_large_adaptive_kernelIll21rocsparse_complex_numIfES1_S1_S1_EvbT_PKS2_N9rocsparse24const_host_device_scalarIT4_EES4_PKT0_PKT1_PKT2_S8_PT3_21rocsparse_index_base_b
    .private_segment_fixed_size: 0
    .sgpr_count:     52
    .sgpr_spill_count: 0
    .symbol:         _ZL33csrmvn_symm_large_adaptive_kernelIll21rocsparse_complex_numIfES1_S1_S1_EvbT_PKS2_N9rocsparse24const_host_device_scalarIT4_EES4_PKT0_PKT1_PKT2_S8_PT3_21rocsparse_index_base_b.kd
    .uniform_work_group_size: 1
    .uses_dynamic_stack: false
    .vgpr_count:     22
    .vgpr_spill_count: 0
    .wavefront_size: 64
  - .agpr_count:     0
    .args:
      - .offset:         0
        .size:           1
        .value_kind:     by_value
      - .offset:         4
        .size:           4
        .value_kind:     by_value
      - .actual_access:  read_only
        .address_space:  global
        .offset:         8
        .size:           8
        .value_kind:     global_buffer
      - .address_space:  global
        .offset:         16
        .size:           8
        .value_kind:     global_buffer
      - .actual_access:  read_only
        .address_space:  global
        .offset:         24
        .size:           8
        .value_kind:     global_buffer
      - .offset:         32
        .size:           16
        .value_kind:     by_value
      - .actual_access:  read_only
        .address_space:  global
        .offset:         48
        .size:           8
        .value_kind:     global_buffer
      - .actual_access:  read_only
        .address_space:  global
        .offset:         56
        .size:           8
        .value_kind:     global_buffer
      - .actual_access:  read_only
        .address_space:  global
        .offset:         64
        .size:           8
        .value_kind:     global_buffer
      - .actual_access:  read_only
        .address_space:  global
        .offset:         72
        .size:           8
        .value_kind:     global_buffer
      - .offset:         80
        .size:           16
        .value_kind:     by_value
      - .address_space:  global
        .offset:         96
        .size:           8
        .value_kind:     global_buffer
      - .offset:         104
        .size:           4
        .value_kind:     by_value
      - .offset:         108
        .size:           1
        .value_kind:     by_value
    .group_segment_fixed_size: 16384
    .kernarg_segment_align: 8
    .kernarg_segment_size: 112
    .language:       OpenCL C
    .language_version:
      - 2
      - 0
    .max_flat_workgroup_size: 256
    .name:           _ZN9rocsparseL22csrmvn_adaptive_kernelIii21rocsparse_complex_numIdES2_S2_S2_EEvbT_PKS3_PjPKT0_NS_24const_host_device_scalarIT4_EES5_S9_PKT1_PKT2_SC_PT3_21rocsparse_index_base_b
    .private_segment_fixed_size: 0
    .sgpr_count:     66
    .sgpr_spill_count: 0
    .symbol:         _ZN9rocsparseL22csrmvn_adaptive_kernelIii21rocsparse_complex_numIdES2_S2_S2_EEvbT_PKS3_PjPKT0_NS_24const_host_device_scalarIT4_EES5_S9_PKT1_PKT2_SC_PT3_21rocsparse_index_base_b.kd
    .uniform_work_group_size: 1
    .uses_dynamic_stack: false
    .vgpr_count:     56
    .vgpr_spill_count: 0
    .wavefront_size: 64
  - .agpr_count:     0
    .args:
      - .offset:         0
        .size:           4
        .value_kind:     by_value
      - .offset:         4
        .size:           4
        .value_kind:     by_value
      - .offset:         8
        .size:           4
        .value_kind:     by_value
      - .offset:         16
        .size:           16
        .value_kind:     by_value
      - .address_space:  global
        .offset:         32
        .size:           8
        .value_kind:     global_buffer
      - .offset:         40
        .size:           1
        .value_kind:     by_value
    .group_segment_fixed_size: 0
    .kernarg_segment_align: 8
    .kernarg_segment_size: 44
    .language:       OpenCL C
    .language_version:
      - 2
      - 0
    .max_flat_workgroup_size: 256
    .name:           _ZN9rocsparseL22partial_scale_y_kernelIi21rocsparse_complex_numIdES2_EEvT_S3_S3_NS_24const_host_device_scalarIT1_EEPT0_b
    .private_segment_fixed_size: 0
    .sgpr_count:     16
    .sgpr_spill_count: 0
    .symbol:         _ZN9rocsparseL22partial_scale_y_kernelIi21rocsparse_complex_numIdES2_EEvT_S3_S3_NS_24const_host_device_scalarIT1_EEPT0_b.kd
    .uniform_work_group_size: 1
    .uses_dynamic_stack: false
    .vgpr_count:     14
    .vgpr_spill_count: 0
    .wavefront_size: 64
  - .agpr_count:     0
    .args:
      - .offset:         0
        .size:           1
        .value_kind:     by_value
      - .offset:         4
        .size:           4
        .value_kind:     by_value
      - .offset:         8
        .size:           4
        .value_kind:     by_value
      - .actual_access:  read_only
        .address_space:  global
        .offset:         16
        .size:           8
        .value_kind:     global_buffer
      - .offset:         24
        .size:           16
        .value_kind:     by_value
      - .actual_access:  read_only
        .address_space:  global
        .offset:         40
        .size:           8
        .value_kind:     global_buffer
      - .actual_access:  read_only
        .address_space:  global
        .offset:         48
        .size:           8
        .value_kind:     global_buffer
      - .actual_access:  read_only
        .address_space:  global
        .offset:         56
        .size:           8
        .value_kind:     global_buffer
      - .actual_access:  read_only
        .address_space:  global
        .offset:         64
        .size:           8
        .value_kind:     global_buffer
      - .offset:         72
        .size:           16
        .value_kind:     by_value
      - .address_space:  global
        .offset:         88
        .size:           8
        .value_kind:     global_buffer
      - .offset:         96
        .size:           4
        .value_kind:     by_value
      - .offset:         100
        .size:           1
        .value_kind:     by_value
      - .offset:         104
        .size:           4
        .value_kind:     hidden_block_count_x
      - .offset:         108
        .size:           4
        .value_kind:     hidden_block_count_y
      - .offset:         112
        .size:           4
        .value_kind:     hidden_block_count_z
      - .offset:         116
        .size:           2
        .value_kind:     hidden_group_size_x
      - .offset:         118
        .size:           2
        .value_kind:     hidden_group_size_y
      - .offset:         120
        .size:           2
        .value_kind:     hidden_group_size_z
      - .offset:         122
        .size:           2
        .value_kind:     hidden_remainder_x
      - .offset:         124
        .size:           2
        .value_kind:     hidden_remainder_y
      - .offset:         126
        .size:           2
        .value_kind:     hidden_remainder_z
      - .offset:         144
        .size:           8
        .value_kind:     hidden_global_offset_x
      - .offset:         152
        .size:           8
        .value_kind:     hidden_global_offset_y
      - .offset:         160
        .size:           8
        .value_kind:     hidden_global_offset_z
      - .offset:         168
        .size:           2
        .value_kind:     hidden_grid_dims
      - .offset:         224
        .size:           4
        .value_kind:     hidden_dynamic_lds_size
    .group_segment_fixed_size: 16384
    .kernarg_segment_align: 8
    .kernarg_segment_size: 360
    .language:       OpenCL C
    .language_version:
      - 2
      - 0
    .max_flat_workgroup_size: 256
    .name:           _ZN9rocsparseL27csrmvn_symm_adaptive_kernelIii21rocsparse_complex_numIdES2_S2_S2_EEvbT_S3_PKS3_NS_24const_host_device_scalarIT4_EES5_PKT0_PKT1_PKT2_S8_PT3_21rocsparse_index_base_b
    .private_segment_fixed_size: 0
    .sgpr_count:     54
    .sgpr_spill_count: 0
    .symbol:         _ZN9rocsparseL27csrmvn_symm_adaptive_kernelIii21rocsparse_complex_numIdES2_S2_S2_EEvbT_S3_PKS3_NS_24const_host_device_scalarIT4_EES5_PKT0_PKT1_PKT2_S8_PT3_21rocsparse_index_base_b.kd
    .uniform_work_group_size: 1
    .uses_dynamic_stack: false
    .vgpr_count:     34
    .vgpr_spill_count: 0
    .wavefront_size: 64
  - .agpr_count:     0
    .args:
      - .offset:         0
        .size:           1
        .value_kind:     by_value
      - .offset:         4
        .size:           4
        .value_kind:     by_value
      - .actual_access:  read_only
        .address_space:  global
        .offset:         8
        .size:           8
        .value_kind:     global_buffer
      - .offset:         16
        .size:           16
        .value_kind:     by_value
      - .actual_access:  read_only
        .address_space:  global
        .offset:         32
        .size:           8
        .value_kind:     global_buffer
      - .actual_access:  read_only
        .address_space:  global
        .offset:         40
        .size:           8
        .value_kind:     global_buffer
      - .actual_access:  read_only
        .address_space:  global
        .offset:         48
        .size:           8
        .value_kind:     global_buffer
      - .actual_access:  read_only
        .address_space:  global
        .offset:         56
        .size:           8
        .value_kind:     global_buffer
      - .offset:         64
        .size:           16
        .value_kind:     by_value
      - .address_space:  global
        .offset:         80
        .size:           8
        .value_kind:     global_buffer
      - .offset:         88
        .size:           4
        .value_kind:     by_value
      - .offset:         92
        .size:           1
        .value_kind:     by_value
    .group_segment_fixed_size: 16384
    .kernarg_segment_align: 8
    .kernarg_segment_size: 96
    .language:       OpenCL C
    .language_version:
      - 2
      - 0
    .max_flat_workgroup_size: 256
    .name:           _ZL33csrmvn_symm_large_adaptive_kernelIii21rocsparse_complex_numIdES1_S1_S1_EvbT_PKS2_N9rocsparse24const_host_device_scalarIT4_EES4_PKT0_PKT1_PKT2_S8_PT3_21rocsparse_index_base_b
    .private_segment_fixed_size: 0
    .sgpr_count:     48
    .sgpr_spill_count: 0
    .symbol:         _ZL33csrmvn_symm_large_adaptive_kernelIii21rocsparse_complex_numIdES1_S1_S1_EvbT_PKS2_N9rocsparse24const_host_device_scalarIT4_EES4_PKT0_PKT1_PKT2_S8_PT3_21rocsparse_index_base_b.kd
    .uniform_work_group_size: 1
    .uses_dynamic_stack: false
    .vgpr_count:     26
    .vgpr_spill_count: 0
    .wavefront_size: 64
  - .agpr_count:     0
    .args:
      - .offset:         0
        .size:           1
        .value_kind:     by_value
      - .offset:         8
        .size:           8
        .value_kind:     by_value
      - .actual_access:  read_only
        .address_space:  global
        .offset:         16
        .size:           8
        .value_kind:     global_buffer
      - .address_space:  global
        .offset:         24
        .size:           8
        .value_kind:     global_buffer
      - .actual_access:  read_only
        .address_space:  global
        .offset:         32
        .size:           8
        .value_kind:     global_buffer
      - .offset:         40
        .size:           16
        .value_kind:     by_value
      - .actual_access:  read_only
        .address_space:  global
        .offset:         56
        .size:           8
        .value_kind:     global_buffer
      - .actual_access:  read_only
        .address_space:  global
        .offset:         64
        .size:           8
        .value_kind:     global_buffer
      - .actual_access:  read_only
        .address_space:  global
        .offset:         72
        .size:           8
        .value_kind:     global_buffer
      - .actual_access:  read_only
        .address_space:  global
        .offset:         80
        .size:           8
        .value_kind:     global_buffer
      - .offset:         88
        .size:           16
        .value_kind:     by_value
      - .address_space:  global
        .offset:         104
        .size:           8
        .value_kind:     global_buffer
      - .offset:         112
        .size:           4
        .value_kind:     by_value
      - .offset:         116
        .size:           1
        .value_kind:     by_value
    .group_segment_fixed_size: 16384
    .kernarg_segment_align: 8
    .kernarg_segment_size: 120
    .language:       OpenCL C
    .language_version:
      - 2
      - 0
    .max_flat_workgroup_size: 256
    .name:           _ZN9rocsparseL22csrmvn_adaptive_kernelIli21rocsparse_complex_numIdES2_S2_S2_EEvbT_PKS3_PjPKT0_NS_24const_host_device_scalarIT4_EES5_S9_PKT1_PKT2_SC_PT3_21rocsparse_index_base_b
    .private_segment_fixed_size: 0
    .sgpr_count:     74
    .sgpr_spill_count: 0
    .symbol:         _ZN9rocsparseL22csrmvn_adaptive_kernelIli21rocsparse_complex_numIdES2_S2_S2_EEvbT_PKS3_PjPKT0_NS_24const_host_device_scalarIT4_EES5_S9_PKT1_PKT2_SC_PT3_21rocsparse_index_base_b.kd
    .uniform_work_group_size: 1
    .uses_dynamic_stack: false
    .vgpr_count:     58
    .vgpr_spill_count: 0
    .wavefront_size: 64
  - .agpr_count:     0
    .args:
      - .offset:         0
        .size:           1
        .value_kind:     by_value
      - .offset:         8
        .size:           8
        .value_kind:     by_value
      - .offset:         16
        .size:           8
        .value_kind:     by_value
      - .actual_access:  read_only
        .address_space:  global
        .offset:         24
        .size:           8
        .value_kind:     global_buffer
      - .offset:         32
        .size:           16
        .value_kind:     by_value
      - .actual_access:  read_only
        .address_space:  global
        .offset:         48
        .size:           8
        .value_kind:     global_buffer
      - .actual_access:  read_only
        .address_space:  global
        .offset:         56
        .size:           8
        .value_kind:     global_buffer
      - .actual_access:  read_only
        .address_space:  global
        .offset:         64
        .size:           8
        .value_kind:     global_buffer
      - .actual_access:  read_only
        .address_space:  global
        .offset:         72
        .size:           8
        .value_kind:     global_buffer
      - .offset:         80
        .size:           16
        .value_kind:     by_value
      - .address_space:  global
        .offset:         96
        .size:           8
        .value_kind:     global_buffer
      - .offset:         104
        .size:           4
        .value_kind:     by_value
      - .offset:         108
        .size:           1
        .value_kind:     by_value
      - .offset:         112
        .size:           4
        .value_kind:     hidden_block_count_x
      - .offset:         116
        .size:           4
        .value_kind:     hidden_block_count_y
      - .offset:         120
        .size:           4
        .value_kind:     hidden_block_count_z
      - .offset:         124
        .size:           2
        .value_kind:     hidden_group_size_x
      - .offset:         126
        .size:           2
        .value_kind:     hidden_group_size_y
      - .offset:         128
        .size:           2
        .value_kind:     hidden_group_size_z
      - .offset:         130
        .size:           2
        .value_kind:     hidden_remainder_x
      - .offset:         132
        .size:           2
        .value_kind:     hidden_remainder_y
      - .offset:         134
        .size:           2
        .value_kind:     hidden_remainder_z
      - .offset:         152
        .size:           8
        .value_kind:     hidden_global_offset_x
      - .offset:         160
        .size:           8
        .value_kind:     hidden_global_offset_y
      - .offset:         168
        .size:           8
        .value_kind:     hidden_global_offset_z
      - .offset:         176
        .size:           2
        .value_kind:     hidden_grid_dims
      - .offset:         232
        .size:           4
        .value_kind:     hidden_dynamic_lds_size
    .group_segment_fixed_size: 16384
    .kernarg_segment_align: 8
    .kernarg_segment_size: 368
    .language:       OpenCL C
    .language_version:
      - 2
      - 0
    .max_flat_workgroup_size: 256
    .name:           _ZN9rocsparseL27csrmvn_symm_adaptive_kernelIli21rocsparse_complex_numIdES2_S2_S2_EEvbT_S3_PKS3_NS_24const_host_device_scalarIT4_EES5_PKT0_PKT1_PKT2_S8_PT3_21rocsparse_index_base_b
    .private_segment_fixed_size: 0
    .sgpr_count:     60
    .sgpr_spill_count: 0
    .symbol:         _ZN9rocsparseL27csrmvn_symm_adaptive_kernelIli21rocsparse_complex_numIdES2_S2_S2_EEvbT_S3_PKS3_NS_24const_host_device_scalarIT4_EES5_PKT0_PKT1_PKT2_S8_PT3_21rocsparse_index_base_b.kd
    .uniform_work_group_size: 1
    .uses_dynamic_stack: false
    .vgpr_count:     34
    .vgpr_spill_count: 0
    .wavefront_size: 64
  - .agpr_count:     0
    .args:
      - .offset:         0
        .size:           1
        .value_kind:     by_value
      - .offset:         8
        .size:           8
        .value_kind:     by_value
      - .actual_access:  read_only
        .address_space:  global
        .offset:         16
        .size:           8
        .value_kind:     global_buffer
      - .offset:         24
        .size:           16
        .value_kind:     by_value
      - .actual_access:  read_only
        .address_space:  global
        .offset:         40
        .size:           8
        .value_kind:     global_buffer
      - .actual_access:  read_only
        .address_space:  global
        .offset:         48
        .size:           8
        .value_kind:     global_buffer
      - .actual_access:  read_only
        .address_space:  global
        .offset:         56
        .size:           8
        .value_kind:     global_buffer
      - .actual_access:  read_only
        .address_space:  global
        .offset:         64
        .size:           8
        .value_kind:     global_buffer
      - .offset:         72
        .size:           16
        .value_kind:     by_value
      - .address_space:  global
        .offset:         88
        .size:           8
        .value_kind:     global_buffer
      - .offset:         96
        .size:           4
        .value_kind:     by_value
      - .offset:         100
        .size:           1
        .value_kind:     by_value
    .group_segment_fixed_size: 16384
    .kernarg_segment_align: 8
    .kernarg_segment_size: 104
    .language:       OpenCL C
    .language_version:
      - 2
      - 0
    .max_flat_workgroup_size: 256
    .name:           _ZL33csrmvn_symm_large_adaptive_kernelIli21rocsparse_complex_numIdES1_S1_S1_EvbT_PKS2_N9rocsparse24const_host_device_scalarIT4_EES4_PKT0_PKT1_PKT2_S8_PT3_21rocsparse_index_base_b
    .private_segment_fixed_size: 0
    .sgpr_count:     54
    .sgpr_spill_count: 0
    .symbol:         _ZL33csrmvn_symm_large_adaptive_kernelIli21rocsparse_complex_numIdES1_S1_S1_EvbT_PKS2_N9rocsparse24const_host_device_scalarIT4_EES4_PKT0_PKT1_PKT2_S8_PT3_21rocsparse_index_base_b.kd
    .uniform_work_group_size: 1
    .uses_dynamic_stack: false
    .vgpr_count:     29
    .vgpr_spill_count: 0
    .wavefront_size: 64
  - .agpr_count:     0
    .args:
      - .offset:         0
        .size:           1
        .value_kind:     by_value
      - .offset:         8
        .size:           8
        .value_kind:     by_value
      - .actual_access:  read_only
        .address_space:  global
        .offset:         16
        .size:           8
        .value_kind:     global_buffer
      - .address_space:  global
        .offset:         24
        .size:           8
        .value_kind:     global_buffer
      - .actual_access:  read_only
        .address_space:  global
        .offset:         32
        .size:           8
        .value_kind:     global_buffer
      - .offset:         40
        .size:           16
        .value_kind:     by_value
      - .actual_access:  read_only
        .address_space:  global
        .offset:         56
        .size:           8
        .value_kind:     global_buffer
      - .actual_access:  read_only
        .address_space:  global
        .offset:         64
        .size:           8
        .value_kind:     global_buffer
      - .actual_access:  read_only
        .address_space:  global
        .offset:         72
        .size:           8
        .value_kind:     global_buffer
      - .actual_access:  read_only
        .address_space:  global
        .offset:         80
        .size:           8
        .value_kind:     global_buffer
      - .offset:         88
        .size:           16
        .value_kind:     by_value
      - .address_space:  global
        .offset:         104
        .size:           8
        .value_kind:     global_buffer
      - .offset:         112
        .size:           4
        .value_kind:     by_value
      - .offset:         116
        .size:           1
        .value_kind:     by_value
    .group_segment_fixed_size: 16384
    .kernarg_segment_align: 8
    .kernarg_segment_size: 120
    .language:       OpenCL C
    .language_version:
      - 2
      - 0
    .max_flat_workgroup_size: 256
    .name:           _ZN9rocsparseL22csrmvn_adaptive_kernelIll21rocsparse_complex_numIdES2_S2_S2_EEvbT_PKS3_PjPKT0_NS_24const_host_device_scalarIT4_EES5_S9_PKT1_PKT2_SC_PT3_21rocsparse_index_base_b
    .private_segment_fixed_size: 0
    .sgpr_count:     74
    .sgpr_spill_count: 0
    .symbol:         _ZN9rocsparseL22csrmvn_adaptive_kernelIll21rocsparse_complex_numIdES2_S2_S2_EEvbT_PKS3_PjPKT0_NS_24const_host_device_scalarIT4_EES5_S9_PKT1_PKT2_SC_PT3_21rocsparse_index_base_b.kd
    .uniform_work_group_size: 1
    .uses_dynamic_stack: false
    .vgpr_count:     56
    .vgpr_spill_count: 0
    .wavefront_size: 64
  - .agpr_count:     0
    .args:
      - .offset:         0
        .size:           8
        .value_kind:     by_value
      - .offset:         8
        .size:           8
        .value_kind:     by_value
      - .offset:         16
        .size:           8
        .value_kind:     by_value
      - .offset:         24
        .size:           16
        .value_kind:     by_value
      - .address_space:  global
        .offset:         40
        .size:           8
        .value_kind:     global_buffer
      - .offset:         48
        .size:           1
        .value_kind:     by_value
    .group_segment_fixed_size: 0
    .kernarg_segment_align: 8
    .kernarg_segment_size: 52
    .language:       OpenCL C
    .language_version:
      - 2
      - 0
    .max_flat_workgroup_size: 256
    .name:           _ZN9rocsparseL22partial_scale_y_kernelIl21rocsparse_complex_numIdES2_EEvT_S3_S3_NS_24const_host_device_scalarIT1_EEPT0_b
    .private_segment_fixed_size: 0
    .sgpr_count:     22
    .sgpr_spill_count: 0
    .symbol:         _ZN9rocsparseL22partial_scale_y_kernelIl21rocsparse_complex_numIdES2_EEvT_S3_S3_NS_24const_host_device_scalarIT1_EEPT0_b.kd
    .uniform_work_group_size: 1
    .uses_dynamic_stack: false
    .vgpr_count:     14
    .vgpr_spill_count: 0
    .wavefront_size: 64
  - .agpr_count:     0
    .args:
      - .offset:         0
        .size:           1
        .value_kind:     by_value
      - .offset:         8
        .size:           8
        .value_kind:     by_value
      - .offset:         16
        .size:           8
        .value_kind:     by_value
      - .actual_access:  read_only
        .address_space:  global
        .offset:         24
        .size:           8
        .value_kind:     global_buffer
      - .offset:         32
        .size:           16
        .value_kind:     by_value
      - .actual_access:  read_only
        .address_space:  global
        .offset:         48
        .size:           8
        .value_kind:     global_buffer
      - .actual_access:  read_only
        .address_space:  global
        .offset:         56
        .size:           8
        .value_kind:     global_buffer
      - .actual_access:  read_only
        .address_space:  global
        .offset:         64
        .size:           8
        .value_kind:     global_buffer
      - .actual_access:  read_only
        .address_space:  global
        .offset:         72
        .size:           8
        .value_kind:     global_buffer
      - .offset:         80
        .size:           16
        .value_kind:     by_value
      - .address_space:  global
        .offset:         96
        .size:           8
        .value_kind:     global_buffer
      - .offset:         104
        .size:           4
        .value_kind:     by_value
      - .offset:         108
        .size:           1
        .value_kind:     by_value
      - .offset:         112
        .size:           4
        .value_kind:     hidden_block_count_x
      - .offset:         116
        .size:           4
        .value_kind:     hidden_block_count_y
      - .offset:         120
        .size:           4
        .value_kind:     hidden_block_count_z
      - .offset:         124
        .size:           2
        .value_kind:     hidden_group_size_x
      - .offset:         126
        .size:           2
        .value_kind:     hidden_group_size_y
      - .offset:         128
        .size:           2
        .value_kind:     hidden_group_size_z
      - .offset:         130
        .size:           2
        .value_kind:     hidden_remainder_x
      - .offset:         132
        .size:           2
        .value_kind:     hidden_remainder_y
      - .offset:         134
        .size:           2
        .value_kind:     hidden_remainder_z
      - .offset:         152
        .size:           8
        .value_kind:     hidden_global_offset_x
      - .offset:         160
        .size:           8
        .value_kind:     hidden_global_offset_y
      - .offset:         168
        .size:           8
        .value_kind:     hidden_global_offset_z
      - .offset:         176
        .size:           2
        .value_kind:     hidden_grid_dims
      - .offset:         232
        .size:           4
        .value_kind:     hidden_dynamic_lds_size
    .group_segment_fixed_size: 16384
    .kernarg_segment_align: 8
    .kernarg_segment_size: 368
    .language:       OpenCL C
    .language_version:
      - 2
      - 0
    .max_flat_workgroup_size: 256
    .name:           _ZN9rocsparseL27csrmvn_symm_adaptive_kernelIll21rocsparse_complex_numIdES2_S2_S2_EEvbT_S3_PKS3_NS_24const_host_device_scalarIT4_EES5_PKT0_PKT1_PKT2_S8_PT3_21rocsparse_index_base_b
    .private_segment_fixed_size: 0
    .sgpr_count:     60
    .sgpr_spill_count: 0
    .symbol:         _ZN9rocsparseL27csrmvn_symm_adaptive_kernelIll21rocsparse_complex_numIdES2_S2_S2_EEvbT_S3_PKS3_NS_24const_host_device_scalarIT4_EES5_PKT0_PKT1_PKT2_S8_PT3_21rocsparse_index_base_b.kd
    .uniform_work_group_size: 1
    .uses_dynamic_stack: false
    .vgpr_count:     34
    .vgpr_spill_count: 0
    .wavefront_size: 64
  - .agpr_count:     0
    .args:
      - .offset:         0
        .size:           1
        .value_kind:     by_value
      - .offset:         8
        .size:           8
        .value_kind:     by_value
      - .actual_access:  read_only
        .address_space:  global
        .offset:         16
        .size:           8
        .value_kind:     global_buffer
      - .offset:         24
        .size:           16
        .value_kind:     by_value
      - .actual_access:  read_only
        .address_space:  global
        .offset:         40
        .size:           8
        .value_kind:     global_buffer
      - .actual_access:  read_only
        .address_space:  global
        .offset:         48
        .size:           8
        .value_kind:     global_buffer
      - .actual_access:  read_only
        .address_space:  global
        .offset:         56
        .size:           8
        .value_kind:     global_buffer
      - .actual_access:  read_only
        .address_space:  global
        .offset:         64
        .size:           8
        .value_kind:     global_buffer
      - .offset:         72
        .size:           16
        .value_kind:     by_value
      - .address_space:  global
        .offset:         88
        .size:           8
        .value_kind:     global_buffer
      - .offset:         96
        .size:           4
        .value_kind:     by_value
      - .offset:         100
        .size:           1
        .value_kind:     by_value
    .group_segment_fixed_size: 16384
    .kernarg_segment_align: 8
    .kernarg_segment_size: 104
    .language:       OpenCL C
    .language_version:
      - 2
      - 0
    .max_flat_workgroup_size: 256
    .name:           _ZL33csrmvn_symm_large_adaptive_kernelIll21rocsparse_complex_numIdES1_S1_S1_EvbT_PKS2_N9rocsparse24const_host_device_scalarIT4_EES4_PKT0_PKT1_PKT2_S8_PT3_21rocsparse_index_base_b
    .private_segment_fixed_size: 0
    .sgpr_count:     56
    .sgpr_spill_count: 0
    .symbol:         _ZL33csrmvn_symm_large_adaptive_kernelIll21rocsparse_complex_numIdES1_S1_S1_EvbT_PKS2_N9rocsparse24const_host_device_scalarIT4_EES4_PKT0_PKT1_PKT2_S8_PT3_21rocsparse_index_base_b.kd
    .uniform_work_group_size: 1
    .uses_dynamic_stack: false
    .vgpr_count:     29
    .vgpr_spill_count: 0
    .wavefront_size: 64
  - .agpr_count:     0
    .args:
      - .offset:         0
        .size:           1
        .value_kind:     by_value
      - .offset:         4
        .size:           4
        .value_kind:     by_value
      - .actual_access:  read_only
        .address_space:  global
        .offset:         8
        .size:           8
        .value_kind:     global_buffer
      - .address_space:  global
        .offset:         16
        .size:           8
        .value_kind:     global_buffer
      - .actual_access:  read_only
        .address_space:  global
        .offset:         24
        .size:           8
        .value_kind:     global_buffer
      - .offset:         32
        .size:           8
        .value_kind:     by_value
      - .actual_access:  read_only
        .address_space:  global
        .offset:         40
        .size:           8
        .value_kind:     global_buffer
      - .actual_access:  read_only
        .address_space:  global
        .offset:         48
        .size:           8
        .value_kind:     global_buffer
      - .actual_access:  read_only
        .address_space:  global
        .offset:         56
        .size:           8
        .value_kind:     global_buffer
      - .actual_access:  read_only
        .address_space:  global
        .offset:         64
        .size:           8
        .value_kind:     global_buffer
      - .offset:         72
        .size:           8
        .value_kind:     by_value
      - .address_space:  global
        .offset:         80
        .size:           8
        .value_kind:     global_buffer
      - .offset:         88
        .size:           4
        .value_kind:     by_value
      - .offset:         92
        .size:           1
        .value_kind:     by_value
    .group_segment_fixed_size: 4096
    .kernarg_segment_align: 8
    .kernarg_segment_size: 96
    .language:       OpenCL C
    .language_version:
      - 2
      - 0
    .max_flat_workgroup_size: 256
    .name:           _ZN9rocsparseL22csrmvn_adaptive_kernelIiiaaiiEEvbT_PKS1_PjPKT0_NS_24const_host_device_scalarIT4_EES3_S7_PKT1_PKT2_SA_PT3_21rocsparse_index_base_b
    .private_segment_fixed_size: 0
    .sgpr_count:     70
    .sgpr_spill_count: 0
    .symbol:         _ZN9rocsparseL22csrmvn_adaptive_kernelIiiaaiiEEvbT_PKS1_PjPKT0_NS_24const_host_device_scalarIT4_EES3_S7_PKT1_PKT2_SA_PT3_21rocsparse_index_base_b.kd
    .uniform_work_group_size: 1
    .uses_dynamic_stack: false
    .vgpr_count:     32
    .vgpr_spill_count: 0
    .wavefront_size: 64
  - .agpr_count:     0
    .args:
      - .offset:         0
        .size:           4
        .value_kind:     by_value
      - .offset:         4
        .size:           4
        .value_kind:     by_value
      - .offset:         8
        .size:           4
        .value_kind:     by_value
      - .offset:         16
        .size:           8
        .value_kind:     by_value
      - .address_space:  global
        .offset:         24
        .size:           8
        .value_kind:     global_buffer
      - .offset:         32
        .size:           1
        .value_kind:     by_value
    .group_segment_fixed_size: 0
    .kernarg_segment_align: 8
    .kernarg_segment_size: 36
    .language:       OpenCL C
    .language_version:
      - 2
      - 0
    .max_flat_workgroup_size: 256
    .name:           _ZN9rocsparseL22partial_scale_y_kernelIiiiEEvT_S1_S1_NS_24const_host_device_scalarIT1_EEPT0_b
    .private_segment_fixed_size: 0
    .sgpr_count:     17
    .sgpr_spill_count: 0
    .symbol:         _ZN9rocsparseL22partial_scale_y_kernelIiiiEEvT_S1_S1_NS_24const_host_device_scalarIT1_EEPT0_b.kd
    .uniform_work_group_size: 1
    .uses_dynamic_stack: false
    .vgpr_count:     4
    .vgpr_spill_count: 0
    .wavefront_size: 64
  - .agpr_count:     0
    .args:
      - .offset:         0
        .size:           1
        .value_kind:     by_value
      - .offset:         4
        .size:           4
        .value_kind:     by_value
      - .offset:         8
        .size:           4
        .value_kind:     by_value
      - .actual_access:  read_only
        .address_space:  global
        .offset:         16
        .size:           8
        .value_kind:     global_buffer
      - .offset:         24
        .size:           8
        .value_kind:     by_value
      - .actual_access:  read_only
        .address_space:  global
        .offset:         32
        .size:           8
        .value_kind:     global_buffer
      - .actual_access:  read_only
        .address_space:  global
        .offset:         40
        .size:           8
        .value_kind:     global_buffer
      - .actual_access:  read_only
        .address_space:  global
        .offset:         48
        .size:           8
        .value_kind:     global_buffer
      - .actual_access:  read_only
        .address_space:  global
        .offset:         56
        .size:           8
        .value_kind:     global_buffer
      - .offset:         64
        .size:           8
        .value_kind:     by_value
      - .address_space:  global
        .offset:         72
        .size:           8
        .value_kind:     global_buffer
      - .offset:         80
        .size:           4
        .value_kind:     by_value
      - .offset:         84
        .size:           1
        .value_kind:     by_value
      - .offset:         88
        .size:           4
        .value_kind:     hidden_block_count_x
      - .offset:         92
        .size:           4
        .value_kind:     hidden_block_count_y
      - .offset:         96
        .size:           4
        .value_kind:     hidden_block_count_z
      - .offset:         100
        .size:           2
        .value_kind:     hidden_group_size_x
      - .offset:         102
        .size:           2
        .value_kind:     hidden_group_size_y
      - .offset:         104
        .size:           2
        .value_kind:     hidden_group_size_z
      - .offset:         106
        .size:           2
        .value_kind:     hidden_remainder_x
      - .offset:         108
        .size:           2
        .value_kind:     hidden_remainder_y
      - .offset:         110
        .size:           2
        .value_kind:     hidden_remainder_z
      - .offset:         128
        .size:           8
        .value_kind:     hidden_global_offset_x
      - .offset:         136
        .size:           8
        .value_kind:     hidden_global_offset_y
      - .offset:         144
        .size:           8
        .value_kind:     hidden_global_offset_z
      - .offset:         152
        .size:           2
        .value_kind:     hidden_grid_dims
      - .offset:         208
        .size:           4
        .value_kind:     hidden_dynamic_lds_size
    .group_segment_fixed_size: 4096
    .kernarg_segment_align: 8
    .kernarg_segment_size: 344
    .language:       OpenCL C
    .language_version:
      - 2
      - 0
    .max_flat_workgroup_size: 256
    .name:           _ZN9rocsparseL27csrmvn_symm_adaptive_kernelIiiaaiiEEvbT_S1_PKS1_NS_24const_host_device_scalarIT4_EES3_PKT0_PKT1_PKT2_S6_PT3_21rocsparse_index_base_b
    .private_segment_fixed_size: 0
    .sgpr_count:     48
    .sgpr_spill_count: 0
    .symbol:         _ZN9rocsparseL27csrmvn_symm_adaptive_kernelIiiaaiiEEvbT_S1_PKS1_NS_24const_host_device_scalarIT4_EES3_PKT0_PKT1_PKT2_S6_PT3_21rocsparse_index_base_b.kd
    .uniform_work_group_size: 1
    .uses_dynamic_stack: false
    .vgpr_count:     34
    .vgpr_spill_count: 0
    .wavefront_size: 64
  - .agpr_count:     0
    .args:
      - .offset:         0
        .size:           1
        .value_kind:     by_value
      - .offset:         4
        .size:           4
        .value_kind:     by_value
      - .actual_access:  read_only
        .address_space:  global
        .offset:         8
        .size:           8
        .value_kind:     global_buffer
      - .offset:         16
        .size:           8
        .value_kind:     by_value
      - .actual_access:  read_only
        .address_space:  global
        .offset:         24
        .size:           8
        .value_kind:     global_buffer
      - .actual_access:  read_only
        .address_space:  global
        .offset:         32
        .size:           8
        .value_kind:     global_buffer
      - .actual_access:  read_only
        .address_space:  global
        .offset:         40
        .size:           8
        .value_kind:     global_buffer
      - .actual_access:  read_only
        .address_space:  global
        .offset:         48
        .size:           8
        .value_kind:     global_buffer
      - .offset:         56
        .size:           8
        .value_kind:     by_value
      - .address_space:  global
        .offset:         64
        .size:           8
        .value_kind:     global_buffer
      - .offset:         72
        .size:           4
        .value_kind:     by_value
      - .offset:         76
        .size:           1
        .value_kind:     by_value
    .group_segment_fixed_size: 4096
    .kernarg_segment_align: 8
    .kernarg_segment_size: 80
    .language:       OpenCL C
    .language_version:
      - 2
      - 0
    .max_flat_workgroup_size: 256
    .name:           _ZL33csrmvn_symm_large_adaptive_kernelIiiaaiiEvbT_PKS0_N9rocsparse24const_host_device_scalarIT4_EES2_PKT0_PKT1_PKT2_S6_PT3_21rocsparse_index_base_b
    .private_segment_fixed_size: 0
    .sgpr_count:     45
    .sgpr_spill_count: 0
    .symbol:         _ZL33csrmvn_symm_large_adaptive_kernelIiiaaiiEvbT_PKS0_N9rocsparse24const_host_device_scalarIT4_EES2_PKT0_PKT1_PKT2_S6_PT3_21rocsparse_index_base_b.kd
    .uniform_work_group_size: 1
    .uses_dynamic_stack: false
    .vgpr_count:     23
    .vgpr_spill_count: 0
    .wavefront_size: 64
  - .agpr_count:     0
    .args:
      - .offset:         0
        .size:           1
        .value_kind:     by_value
      - .offset:         8
        .size:           8
        .value_kind:     by_value
      - .actual_access:  read_only
        .address_space:  global
        .offset:         16
        .size:           8
        .value_kind:     global_buffer
      - .address_space:  global
        .offset:         24
        .size:           8
        .value_kind:     global_buffer
      - .actual_access:  read_only
        .address_space:  global
        .offset:         32
        .size:           8
        .value_kind:     global_buffer
      - .offset:         40
        .size:           8
        .value_kind:     by_value
      - .actual_access:  read_only
        .address_space:  global
        .offset:         48
        .size:           8
        .value_kind:     global_buffer
      - .actual_access:  read_only
        .address_space:  global
        .offset:         56
        .size:           8
        .value_kind:     global_buffer
      - .actual_access:  read_only
        .address_space:  global
        .offset:         64
        .size:           8
        .value_kind:     global_buffer
      - .actual_access:  read_only
        .address_space:  global
        .offset:         72
        .size:           8
        .value_kind:     global_buffer
      - .offset:         80
        .size:           8
        .value_kind:     by_value
      - .address_space:  global
        .offset:         88
        .size:           8
        .value_kind:     global_buffer
      - .offset:         96
        .size:           4
        .value_kind:     by_value
      - .offset:         100
        .size:           1
        .value_kind:     by_value
    .group_segment_fixed_size: 4096
    .kernarg_segment_align: 8
    .kernarg_segment_size: 104
    .language:       OpenCL C
    .language_version:
      - 2
      - 0
    .max_flat_workgroup_size: 256
    .name:           _ZN9rocsparseL22csrmvn_adaptive_kernelIliaaiiEEvbT_PKS1_PjPKT0_NS_24const_host_device_scalarIT4_EES3_S7_PKT1_PKT2_SA_PT3_21rocsparse_index_base_b
    .private_segment_fixed_size: 0
    .sgpr_count:     78
    .sgpr_spill_count: 0
    .symbol:         _ZN9rocsparseL22csrmvn_adaptive_kernelIliaaiiEEvbT_PKS1_PjPKT0_NS_24const_host_device_scalarIT4_EES3_S7_PKT1_PKT2_SA_PT3_21rocsparse_index_base_b.kd
    .uniform_work_group_size: 1
    .uses_dynamic_stack: false
    .vgpr_count:     33
    .vgpr_spill_count: 0
    .wavefront_size: 64
  - .agpr_count:     0
    .args:
      - .offset:         0
        .size:           1
        .value_kind:     by_value
      - .offset:         8
        .size:           8
        .value_kind:     by_value
      - .offset:         16
        .size:           8
        .value_kind:     by_value
      - .actual_access:  read_only
        .address_space:  global
        .offset:         24
        .size:           8
        .value_kind:     global_buffer
      - .offset:         32
        .size:           8
        .value_kind:     by_value
      - .actual_access:  read_only
        .address_space:  global
        .offset:         40
        .size:           8
        .value_kind:     global_buffer
      - .actual_access:  read_only
        .address_space:  global
        .offset:         48
        .size:           8
        .value_kind:     global_buffer
      - .actual_access:  read_only
        .address_space:  global
        .offset:         56
        .size:           8
        .value_kind:     global_buffer
      - .actual_access:  read_only
        .address_space:  global
        .offset:         64
        .size:           8
        .value_kind:     global_buffer
      - .offset:         72
        .size:           8
        .value_kind:     by_value
      - .address_space:  global
        .offset:         80
        .size:           8
        .value_kind:     global_buffer
      - .offset:         88
        .size:           4
        .value_kind:     by_value
      - .offset:         92
        .size:           1
        .value_kind:     by_value
      - .offset:         96
        .size:           4
        .value_kind:     hidden_block_count_x
      - .offset:         100
        .size:           4
        .value_kind:     hidden_block_count_y
      - .offset:         104
        .size:           4
        .value_kind:     hidden_block_count_z
      - .offset:         108
        .size:           2
        .value_kind:     hidden_group_size_x
      - .offset:         110
        .size:           2
        .value_kind:     hidden_group_size_y
      - .offset:         112
        .size:           2
        .value_kind:     hidden_group_size_z
      - .offset:         114
        .size:           2
        .value_kind:     hidden_remainder_x
      - .offset:         116
        .size:           2
        .value_kind:     hidden_remainder_y
      - .offset:         118
        .size:           2
        .value_kind:     hidden_remainder_z
      - .offset:         136
        .size:           8
        .value_kind:     hidden_global_offset_x
      - .offset:         144
        .size:           8
        .value_kind:     hidden_global_offset_y
      - .offset:         152
        .size:           8
        .value_kind:     hidden_global_offset_z
      - .offset:         160
        .size:           2
        .value_kind:     hidden_grid_dims
      - .offset:         216
        .size:           4
        .value_kind:     hidden_dynamic_lds_size
    .group_segment_fixed_size: 4096
    .kernarg_segment_align: 8
    .kernarg_segment_size: 352
    .language:       OpenCL C
    .language_version:
      - 2
      - 0
    .max_flat_workgroup_size: 256
    .name:           _ZN9rocsparseL27csrmvn_symm_adaptive_kernelIliaaiiEEvbT_S1_PKS1_NS_24const_host_device_scalarIT4_EES3_PKT0_PKT1_PKT2_S6_PT3_21rocsparse_index_base_b
    .private_segment_fixed_size: 0
    .sgpr_count:     62
    .sgpr_spill_count: 0
    .symbol:         _ZN9rocsparseL27csrmvn_symm_adaptive_kernelIliaaiiEEvbT_S1_PKS1_NS_24const_host_device_scalarIT4_EES3_PKT0_PKT1_PKT2_S6_PT3_21rocsparse_index_base_b.kd
    .uniform_work_group_size: 1
    .uses_dynamic_stack: false
    .vgpr_count:     32
    .vgpr_spill_count: 0
    .wavefront_size: 64
  - .agpr_count:     0
    .args:
      - .offset:         0
        .size:           1
        .value_kind:     by_value
      - .offset:         8
        .size:           8
        .value_kind:     by_value
      - .actual_access:  read_only
        .address_space:  global
        .offset:         16
        .size:           8
        .value_kind:     global_buffer
      - .offset:         24
        .size:           8
        .value_kind:     by_value
      - .actual_access:  read_only
        .address_space:  global
        .offset:         32
        .size:           8
        .value_kind:     global_buffer
      - .actual_access:  read_only
        .address_space:  global
        .offset:         40
        .size:           8
        .value_kind:     global_buffer
      - .actual_access:  read_only
        .address_space:  global
        .offset:         48
        .size:           8
        .value_kind:     global_buffer
      - .actual_access:  read_only
        .address_space:  global
        .offset:         56
        .size:           8
        .value_kind:     global_buffer
      - .offset:         64
        .size:           8
        .value_kind:     by_value
      - .address_space:  global
        .offset:         72
        .size:           8
        .value_kind:     global_buffer
      - .offset:         80
        .size:           4
        .value_kind:     by_value
      - .offset:         84
        .size:           1
        .value_kind:     by_value
    .group_segment_fixed_size: 4096
    .kernarg_segment_align: 8
    .kernarg_segment_size: 88
    .language:       OpenCL C
    .language_version:
      - 2
      - 0
    .max_flat_workgroup_size: 256
    .name:           _ZL33csrmvn_symm_large_adaptive_kernelIliaaiiEvbT_PKS0_N9rocsparse24const_host_device_scalarIT4_EES2_PKT0_PKT1_PKT2_S6_PT3_21rocsparse_index_base_b
    .private_segment_fixed_size: 0
    .sgpr_count:     56
    .sgpr_spill_count: 0
    .symbol:         _ZL33csrmvn_symm_large_adaptive_kernelIliaaiiEvbT_PKS0_N9rocsparse24const_host_device_scalarIT4_EES2_PKT0_PKT1_PKT2_S6_PT3_21rocsparse_index_base_b.kd
    .uniform_work_group_size: 1
    .uses_dynamic_stack: false
    .vgpr_count:     32
    .vgpr_spill_count: 0
    .wavefront_size: 64
  - .agpr_count:     0
    .args:
      - .offset:         0
        .size:           1
        .value_kind:     by_value
      - .offset:         8
        .size:           8
        .value_kind:     by_value
      - .actual_access:  read_only
        .address_space:  global
        .offset:         16
        .size:           8
        .value_kind:     global_buffer
      - .address_space:  global
        .offset:         24
        .size:           8
        .value_kind:     global_buffer
      - .actual_access:  read_only
        .address_space:  global
        .offset:         32
        .size:           8
        .value_kind:     global_buffer
      - .offset:         40
        .size:           8
        .value_kind:     by_value
      - .actual_access:  read_only
        .address_space:  global
        .offset:         48
        .size:           8
        .value_kind:     global_buffer
      - .actual_access:  read_only
        .address_space:  global
        .offset:         56
        .size:           8
        .value_kind:     global_buffer
      - .actual_access:  read_only
        .address_space:  global
        .offset:         64
        .size:           8
        .value_kind:     global_buffer
      - .actual_access:  read_only
        .address_space:  global
        .offset:         72
        .size:           8
        .value_kind:     global_buffer
      - .offset:         80
        .size:           8
        .value_kind:     by_value
      - .address_space:  global
        .offset:         88
        .size:           8
        .value_kind:     global_buffer
      - .offset:         96
        .size:           4
        .value_kind:     by_value
      - .offset:         100
        .size:           1
        .value_kind:     by_value
    .group_segment_fixed_size: 4096
    .kernarg_segment_align: 8
    .kernarg_segment_size: 104
    .language:       OpenCL C
    .language_version:
      - 2
      - 0
    .max_flat_workgroup_size: 256
    .name:           _ZN9rocsparseL22csrmvn_adaptive_kernelIllaaiiEEvbT_PKS1_PjPKT0_NS_24const_host_device_scalarIT4_EES3_S7_PKT1_PKT2_SA_PT3_21rocsparse_index_base_b
    .private_segment_fixed_size: 0
    .sgpr_count:     66
    .sgpr_spill_count: 0
    .symbol:         _ZN9rocsparseL22csrmvn_adaptive_kernelIllaaiiEEvbT_PKS1_PjPKT0_NS_24const_host_device_scalarIT4_EES3_S7_PKT1_PKT2_SA_PT3_21rocsparse_index_base_b.kd
    .uniform_work_group_size: 1
    .uses_dynamic_stack: false
    .vgpr_count:     20
    .vgpr_spill_count: 0
    .wavefront_size: 64
  - .agpr_count:     0
    .args:
      - .offset:         0
        .size:           8
        .value_kind:     by_value
      - .offset:         8
        .size:           8
        .value_kind:     by_value
      - .offset:         16
        .size:           8
        .value_kind:     by_value
      - .offset:         24
        .size:           8
        .value_kind:     by_value
      - .address_space:  global
        .offset:         32
        .size:           8
        .value_kind:     global_buffer
      - .offset:         40
        .size:           1
        .value_kind:     by_value
    .group_segment_fixed_size: 0
    .kernarg_segment_align: 8
    .kernarg_segment_size: 44
    .language:       OpenCL C
    .language_version:
      - 2
      - 0
    .max_flat_workgroup_size: 256
    .name:           _ZN9rocsparseL22partial_scale_y_kernelIliiEEvT_S1_S1_NS_24const_host_device_scalarIT1_EEPT0_b
    .private_segment_fixed_size: 0
    .sgpr_count:     18
    .sgpr_spill_count: 0
    .symbol:         _ZN9rocsparseL22partial_scale_y_kernelIliiEEvT_S1_S1_NS_24const_host_device_scalarIT1_EEPT0_b.kd
    .uniform_work_group_size: 1
    .uses_dynamic_stack: false
    .vgpr_count:     4
    .vgpr_spill_count: 0
    .wavefront_size: 64
  - .agpr_count:     0
    .args:
      - .offset:         0
        .size:           1
        .value_kind:     by_value
      - .offset:         8
        .size:           8
        .value_kind:     by_value
      - .offset:         16
        .size:           8
        .value_kind:     by_value
      - .actual_access:  read_only
        .address_space:  global
        .offset:         24
        .size:           8
        .value_kind:     global_buffer
      - .offset:         32
        .size:           8
        .value_kind:     by_value
      - .actual_access:  read_only
        .address_space:  global
        .offset:         40
        .size:           8
        .value_kind:     global_buffer
      - .actual_access:  read_only
        .address_space:  global
        .offset:         48
        .size:           8
        .value_kind:     global_buffer
      - .actual_access:  read_only
        .address_space:  global
        .offset:         56
        .size:           8
        .value_kind:     global_buffer
      - .actual_access:  read_only
        .address_space:  global
        .offset:         64
        .size:           8
        .value_kind:     global_buffer
      - .offset:         72
        .size:           8
        .value_kind:     by_value
      - .address_space:  global
        .offset:         80
        .size:           8
        .value_kind:     global_buffer
      - .offset:         88
        .size:           4
        .value_kind:     by_value
      - .offset:         92
        .size:           1
        .value_kind:     by_value
      - .offset:         96
        .size:           4
        .value_kind:     hidden_block_count_x
      - .offset:         100
        .size:           4
        .value_kind:     hidden_block_count_y
      - .offset:         104
        .size:           4
        .value_kind:     hidden_block_count_z
      - .offset:         108
        .size:           2
        .value_kind:     hidden_group_size_x
      - .offset:         110
        .size:           2
        .value_kind:     hidden_group_size_y
      - .offset:         112
        .size:           2
        .value_kind:     hidden_group_size_z
      - .offset:         114
        .size:           2
        .value_kind:     hidden_remainder_x
      - .offset:         116
        .size:           2
        .value_kind:     hidden_remainder_y
      - .offset:         118
        .size:           2
        .value_kind:     hidden_remainder_z
      - .offset:         136
        .size:           8
        .value_kind:     hidden_global_offset_x
      - .offset:         144
        .size:           8
        .value_kind:     hidden_global_offset_y
      - .offset:         152
        .size:           8
        .value_kind:     hidden_global_offset_z
      - .offset:         160
        .size:           2
        .value_kind:     hidden_grid_dims
      - .offset:         216
        .size:           4
        .value_kind:     hidden_dynamic_lds_size
    .group_segment_fixed_size: 4096
    .kernarg_segment_align: 8
    .kernarg_segment_size: 352
    .language:       OpenCL C
    .language_version:
      - 2
      - 0
    .max_flat_workgroup_size: 256
    .name:           _ZN9rocsparseL27csrmvn_symm_adaptive_kernelIllaaiiEEvbT_S1_PKS1_NS_24const_host_device_scalarIT4_EES3_PKT0_PKT1_PKT2_S6_PT3_21rocsparse_index_base_b
    .private_segment_fixed_size: 0
    .sgpr_count:     58
    .sgpr_spill_count: 0
    .symbol:         _ZN9rocsparseL27csrmvn_symm_adaptive_kernelIllaaiiEEvbT_S1_PKS1_NS_24const_host_device_scalarIT4_EES3_PKT0_PKT1_PKT2_S6_PT3_21rocsparse_index_base_b.kd
    .uniform_work_group_size: 1
    .uses_dynamic_stack: false
    .vgpr_count:     24
    .vgpr_spill_count: 0
    .wavefront_size: 64
  - .agpr_count:     0
    .args:
      - .offset:         0
        .size:           1
        .value_kind:     by_value
      - .offset:         8
        .size:           8
        .value_kind:     by_value
      - .actual_access:  read_only
        .address_space:  global
        .offset:         16
        .size:           8
        .value_kind:     global_buffer
      - .offset:         24
        .size:           8
        .value_kind:     by_value
      - .actual_access:  read_only
        .address_space:  global
        .offset:         32
        .size:           8
        .value_kind:     global_buffer
      - .actual_access:  read_only
        .address_space:  global
        .offset:         40
        .size:           8
        .value_kind:     global_buffer
      - .actual_access:  read_only
        .address_space:  global
        .offset:         48
        .size:           8
        .value_kind:     global_buffer
      - .actual_access:  read_only
        .address_space:  global
        .offset:         56
        .size:           8
        .value_kind:     global_buffer
      - .offset:         64
        .size:           8
        .value_kind:     by_value
      - .address_space:  global
        .offset:         72
        .size:           8
        .value_kind:     global_buffer
      - .offset:         80
        .size:           4
        .value_kind:     by_value
      - .offset:         84
        .size:           1
        .value_kind:     by_value
    .group_segment_fixed_size: 4096
    .kernarg_segment_align: 8
    .kernarg_segment_size: 88
    .language:       OpenCL C
    .language_version:
      - 2
      - 0
    .max_flat_workgroup_size: 256
    .name:           _ZL33csrmvn_symm_large_adaptive_kernelIllaaiiEvbT_PKS0_N9rocsparse24const_host_device_scalarIT4_EES2_PKT0_PKT1_PKT2_S6_PT3_21rocsparse_index_base_b
    .private_segment_fixed_size: 0
    .sgpr_count:     46
    .sgpr_spill_count: 0
    .symbol:         _ZL33csrmvn_symm_large_adaptive_kernelIllaaiiEvbT_PKS0_N9rocsparse24const_host_device_scalarIT4_EES2_PKT0_PKT1_PKT2_S6_PT3_21rocsparse_index_base_b.kd
    .uniform_work_group_size: 1
    .uses_dynamic_stack: false
    .vgpr_count:     16
    .vgpr_spill_count: 0
    .wavefront_size: 64
  - .agpr_count:     0
    .args:
      - .offset:         0
        .size:           1
        .value_kind:     by_value
      - .offset:         4
        .size:           4
        .value_kind:     by_value
      - .actual_access:  read_only
        .address_space:  global
        .offset:         8
        .size:           8
        .value_kind:     global_buffer
      - .address_space:  global
        .offset:         16
        .size:           8
        .value_kind:     global_buffer
      - .actual_access:  read_only
        .address_space:  global
        .offset:         24
        .size:           8
        .value_kind:     global_buffer
      - .offset:         32
        .size:           8
        .value_kind:     by_value
      - .actual_access:  read_only
        .address_space:  global
        .offset:         40
        .size:           8
        .value_kind:     global_buffer
      - .actual_access:  read_only
        .address_space:  global
        .offset:         48
        .size:           8
        .value_kind:     global_buffer
      - .actual_access:  read_only
        .address_space:  global
        .offset:         56
        .size:           8
        .value_kind:     global_buffer
      - .actual_access:  read_only
        .address_space:  global
        .offset:         64
        .size:           8
        .value_kind:     global_buffer
      - .offset:         72
        .size:           8
        .value_kind:     by_value
      - .address_space:  global
        .offset:         80
        .size:           8
        .value_kind:     global_buffer
      - .offset:         88
        .size:           4
        .value_kind:     by_value
      - .offset:         92
        .size:           1
        .value_kind:     by_value
    .group_segment_fixed_size: 4096
    .kernarg_segment_align: 8
    .kernarg_segment_size: 96
    .language:       OpenCL C
    .language_version:
      - 2
      - 0
    .max_flat_workgroup_size: 256
    .name:           _ZN9rocsparseL22csrmvn_adaptive_kernelIiiaaffEEvbT_PKS1_PjPKT0_NS_24const_host_device_scalarIT4_EES3_S7_PKT1_PKT2_SA_PT3_21rocsparse_index_base_b
    .private_segment_fixed_size: 0
    .sgpr_count:     66
    .sgpr_spill_count: 0
    .symbol:         _ZN9rocsparseL22csrmvn_adaptive_kernelIiiaaffEEvbT_PKS1_PjPKT0_NS_24const_host_device_scalarIT4_EES3_S7_PKT1_PKT2_SA_PT3_21rocsparse_index_base_b.kd
    .uniform_work_group_size: 1
    .uses_dynamic_stack: false
    .vgpr_count:     18
    .vgpr_spill_count: 0
    .wavefront_size: 64
  - .agpr_count:     0
    .args:
      - .offset:         0
        .size:           1
        .value_kind:     by_value
      - .offset:         4
        .size:           4
        .value_kind:     by_value
      - .offset:         8
        .size:           4
        .value_kind:     by_value
      - .actual_access:  read_only
        .address_space:  global
        .offset:         16
        .size:           8
        .value_kind:     global_buffer
      - .offset:         24
        .size:           8
        .value_kind:     by_value
      - .actual_access:  read_only
        .address_space:  global
        .offset:         32
        .size:           8
        .value_kind:     global_buffer
      - .actual_access:  read_only
        .address_space:  global
        .offset:         40
        .size:           8
        .value_kind:     global_buffer
      - .actual_access:  read_only
        .address_space:  global
        .offset:         48
        .size:           8
        .value_kind:     global_buffer
      - .actual_access:  read_only
        .address_space:  global
        .offset:         56
        .size:           8
        .value_kind:     global_buffer
      - .offset:         64
        .size:           8
        .value_kind:     by_value
      - .address_space:  global
        .offset:         72
        .size:           8
        .value_kind:     global_buffer
      - .offset:         80
        .size:           4
        .value_kind:     by_value
      - .offset:         84
        .size:           1
        .value_kind:     by_value
      - .offset:         88
        .size:           4
        .value_kind:     hidden_block_count_x
      - .offset:         92
        .size:           4
        .value_kind:     hidden_block_count_y
      - .offset:         96
        .size:           4
        .value_kind:     hidden_block_count_z
      - .offset:         100
        .size:           2
        .value_kind:     hidden_group_size_x
      - .offset:         102
        .size:           2
        .value_kind:     hidden_group_size_y
      - .offset:         104
        .size:           2
        .value_kind:     hidden_group_size_z
      - .offset:         106
        .size:           2
        .value_kind:     hidden_remainder_x
      - .offset:         108
        .size:           2
        .value_kind:     hidden_remainder_y
      - .offset:         110
        .size:           2
        .value_kind:     hidden_remainder_z
      - .offset:         128
        .size:           8
        .value_kind:     hidden_global_offset_x
      - .offset:         136
        .size:           8
        .value_kind:     hidden_global_offset_y
      - .offset:         144
        .size:           8
        .value_kind:     hidden_global_offset_z
      - .offset:         152
        .size:           2
        .value_kind:     hidden_grid_dims
      - .offset:         208
        .size:           4
        .value_kind:     hidden_dynamic_lds_size
    .group_segment_fixed_size: 4096
    .kernarg_segment_align: 8
    .kernarg_segment_size: 344
    .language:       OpenCL C
    .language_version:
      - 2
      - 0
    .max_flat_workgroup_size: 256
    .name:           _ZN9rocsparseL27csrmvn_symm_adaptive_kernelIiiaaffEEvbT_S1_PKS1_NS_24const_host_device_scalarIT4_EES3_PKT0_PKT1_PKT2_S6_PT3_21rocsparse_index_base_b
    .private_segment_fixed_size: 0
    .sgpr_count:     47
    .sgpr_spill_count: 0
    .symbol:         _ZN9rocsparseL27csrmvn_symm_adaptive_kernelIiiaaffEEvbT_S1_PKS1_NS_24const_host_device_scalarIT4_EES3_PKT0_PKT1_PKT2_S6_PT3_21rocsparse_index_base_b.kd
    .uniform_work_group_size: 1
    .uses_dynamic_stack: false
    .vgpr_count:     16
    .vgpr_spill_count: 0
    .wavefront_size: 64
  - .agpr_count:     0
    .args:
      - .offset:         0
        .size:           1
        .value_kind:     by_value
      - .offset:         4
        .size:           4
        .value_kind:     by_value
      - .actual_access:  read_only
        .address_space:  global
        .offset:         8
        .size:           8
        .value_kind:     global_buffer
      - .offset:         16
        .size:           8
        .value_kind:     by_value
      - .actual_access:  read_only
        .address_space:  global
        .offset:         24
        .size:           8
        .value_kind:     global_buffer
      - .actual_access:  read_only
        .address_space:  global
        .offset:         32
        .size:           8
        .value_kind:     global_buffer
      - .actual_access:  read_only
        .address_space:  global
        .offset:         40
        .size:           8
        .value_kind:     global_buffer
      - .actual_access:  read_only
        .address_space:  global
        .offset:         48
        .size:           8
        .value_kind:     global_buffer
      - .offset:         56
        .size:           8
        .value_kind:     by_value
      - .address_space:  global
        .offset:         64
        .size:           8
        .value_kind:     global_buffer
      - .offset:         72
        .size:           4
        .value_kind:     by_value
      - .offset:         76
        .size:           1
        .value_kind:     by_value
    .group_segment_fixed_size: 4096
    .kernarg_segment_align: 8
    .kernarg_segment_size: 80
    .language:       OpenCL C
    .language_version:
      - 2
      - 0
    .max_flat_workgroup_size: 256
    .name:           _ZL33csrmvn_symm_large_adaptive_kernelIiiaaffEvbT_PKS0_N9rocsparse24const_host_device_scalarIT4_EES2_PKT0_PKT1_PKT2_S6_PT3_21rocsparse_index_base_b
    .private_segment_fixed_size: 0
    .sgpr_count:     44
    .sgpr_spill_count: 0
    .symbol:         _ZL33csrmvn_symm_large_adaptive_kernelIiiaaffEvbT_PKS0_N9rocsparse24const_host_device_scalarIT4_EES2_PKT0_PKT1_PKT2_S6_PT3_21rocsparse_index_base_b.kd
    .uniform_work_group_size: 1
    .uses_dynamic_stack: false
    .vgpr_count:     13
    .vgpr_spill_count: 0
    .wavefront_size: 64
  - .agpr_count:     0
    .args:
      - .offset:         0
        .size:           1
        .value_kind:     by_value
      - .offset:         8
        .size:           8
        .value_kind:     by_value
      - .actual_access:  read_only
        .address_space:  global
        .offset:         16
        .size:           8
        .value_kind:     global_buffer
      - .address_space:  global
        .offset:         24
        .size:           8
        .value_kind:     global_buffer
      - .actual_access:  read_only
        .address_space:  global
        .offset:         32
        .size:           8
        .value_kind:     global_buffer
      - .offset:         40
        .size:           8
        .value_kind:     by_value
      - .actual_access:  read_only
        .address_space:  global
        .offset:         48
        .size:           8
        .value_kind:     global_buffer
      - .actual_access:  read_only
        .address_space:  global
        .offset:         56
        .size:           8
        .value_kind:     global_buffer
      - .actual_access:  read_only
        .address_space:  global
        .offset:         64
        .size:           8
        .value_kind:     global_buffer
      - .actual_access:  read_only
        .address_space:  global
        .offset:         72
        .size:           8
        .value_kind:     global_buffer
      - .offset:         80
        .size:           8
        .value_kind:     by_value
      - .address_space:  global
        .offset:         88
        .size:           8
        .value_kind:     global_buffer
      - .offset:         96
        .size:           4
        .value_kind:     by_value
      - .offset:         100
        .size:           1
        .value_kind:     by_value
    .group_segment_fixed_size: 4096
    .kernarg_segment_align: 8
    .kernarg_segment_size: 104
    .language:       OpenCL C
    .language_version:
      - 2
      - 0
    .max_flat_workgroup_size: 256
    .name:           _ZN9rocsparseL22csrmvn_adaptive_kernelIliaaffEEvbT_PKS1_PjPKT0_NS_24const_host_device_scalarIT4_EES3_S7_PKT1_PKT2_SA_PT3_21rocsparse_index_base_b
    .private_segment_fixed_size: 0
    .sgpr_count:     70
    .sgpr_spill_count: 0
    .symbol:         _ZN9rocsparseL22csrmvn_adaptive_kernelIliaaffEEvbT_PKS1_PjPKT0_NS_24const_host_device_scalarIT4_EES3_S7_PKT1_PKT2_SA_PT3_21rocsparse_index_base_b.kd
    .uniform_work_group_size: 1
    .uses_dynamic_stack: false
    .vgpr_count:     23
    .vgpr_spill_count: 0
    .wavefront_size: 64
  - .agpr_count:     0
    .args:
      - .offset:         0
        .size:           1
        .value_kind:     by_value
      - .offset:         8
        .size:           8
        .value_kind:     by_value
      - .offset:         16
        .size:           8
        .value_kind:     by_value
      - .actual_access:  read_only
        .address_space:  global
        .offset:         24
        .size:           8
        .value_kind:     global_buffer
      - .offset:         32
        .size:           8
        .value_kind:     by_value
      - .actual_access:  read_only
        .address_space:  global
        .offset:         40
        .size:           8
        .value_kind:     global_buffer
      - .actual_access:  read_only
        .address_space:  global
        .offset:         48
        .size:           8
        .value_kind:     global_buffer
      - .actual_access:  read_only
        .address_space:  global
        .offset:         56
        .size:           8
        .value_kind:     global_buffer
      - .actual_access:  read_only
        .address_space:  global
        .offset:         64
        .size:           8
        .value_kind:     global_buffer
      - .offset:         72
        .size:           8
        .value_kind:     by_value
      - .address_space:  global
        .offset:         80
        .size:           8
        .value_kind:     global_buffer
      - .offset:         88
        .size:           4
        .value_kind:     by_value
      - .offset:         92
        .size:           1
        .value_kind:     by_value
      - .offset:         96
        .size:           4
        .value_kind:     hidden_block_count_x
      - .offset:         100
        .size:           4
        .value_kind:     hidden_block_count_y
      - .offset:         104
        .size:           4
        .value_kind:     hidden_block_count_z
      - .offset:         108
        .size:           2
        .value_kind:     hidden_group_size_x
      - .offset:         110
        .size:           2
        .value_kind:     hidden_group_size_y
      - .offset:         112
        .size:           2
        .value_kind:     hidden_group_size_z
      - .offset:         114
        .size:           2
        .value_kind:     hidden_remainder_x
      - .offset:         116
        .size:           2
        .value_kind:     hidden_remainder_y
      - .offset:         118
        .size:           2
        .value_kind:     hidden_remainder_z
      - .offset:         136
        .size:           8
        .value_kind:     hidden_global_offset_x
      - .offset:         144
        .size:           8
        .value_kind:     hidden_global_offset_y
      - .offset:         152
        .size:           8
        .value_kind:     hidden_global_offset_z
      - .offset:         160
        .size:           2
        .value_kind:     hidden_grid_dims
      - .offset:         216
        .size:           4
        .value_kind:     hidden_dynamic_lds_size
    .group_segment_fixed_size: 4096
    .kernarg_segment_align: 8
    .kernarg_segment_size: 352
    .language:       OpenCL C
    .language_version:
      - 2
      - 0
    .max_flat_workgroup_size: 256
    .name:           _ZN9rocsparseL27csrmvn_symm_adaptive_kernelIliaaffEEvbT_S1_PKS1_NS_24const_host_device_scalarIT4_EES3_PKT0_PKT1_PKT2_S6_PT3_21rocsparse_index_base_b
    .private_segment_fixed_size: 0
    .sgpr_count:     58
    .sgpr_spill_count: 0
    .symbol:         _ZN9rocsparseL27csrmvn_symm_adaptive_kernelIliaaffEEvbT_S1_PKS1_NS_24const_host_device_scalarIT4_EES3_PKT0_PKT1_PKT2_S6_PT3_21rocsparse_index_base_b.kd
    .uniform_work_group_size: 1
    .uses_dynamic_stack: false
    .vgpr_count:     22
    .vgpr_spill_count: 0
    .wavefront_size: 64
  - .agpr_count:     0
    .args:
      - .offset:         0
        .size:           1
        .value_kind:     by_value
      - .offset:         8
        .size:           8
        .value_kind:     by_value
      - .actual_access:  read_only
        .address_space:  global
        .offset:         16
        .size:           8
        .value_kind:     global_buffer
      - .offset:         24
        .size:           8
        .value_kind:     by_value
      - .actual_access:  read_only
        .address_space:  global
        .offset:         32
        .size:           8
        .value_kind:     global_buffer
      - .actual_access:  read_only
        .address_space:  global
        .offset:         40
        .size:           8
        .value_kind:     global_buffer
      - .actual_access:  read_only
        .address_space:  global
        .offset:         48
        .size:           8
        .value_kind:     global_buffer
      - .actual_access:  read_only
        .address_space:  global
        .offset:         56
        .size:           8
        .value_kind:     global_buffer
      - .offset:         64
        .size:           8
        .value_kind:     by_value
      - .address_space:  global
        .offset:         72
        .size:           8
        .value_kind:     global_buffer
      - .offset:         80
        .size:           4
        .value_kind:     by_value
      - .offset:         84
        .size:           1
        .value_kind:     by_value
    .group_segment_fixed_size: 4096
    .kernarg_segment_align: 8
    .kernarg_segment_size: 88
    .language:       OpenCL C
    .language_version:
      - 2
      - 0
    .max_flat_workgroup_size: 256
    .name:           _ZL33csrmvn_symm_large_adaptive_kernelIliaaffEvbT_PKS0_N9rocsparse24const_host_device_scalarIT4_EES2_PKT0_PKT1_PKT2_S6_PT3_21rocsparse_index_base_b
    .private_segment_fixed_size: 0
    .sgpr_count:     46
    .sgpr_spill_count: 0
    .symbol:         _ZL33csrmvn_symm_large_adaptive_kernelIliaaffEvbT_PKS0_N9rocsparse24const_host_device_scalarIT4_EES2_PKT0_PKT1_PKT2_S6_PT3_21rocsparse_index_base_b.kd
    .uniform_work_group_size: 1
    .uses_dynamic_stack: false
    .vgpr_count:     15
    .vgpr_spill_count: 0
    .wavefront_size: 64
  - .agpr_count:     0
    .args:
      - .offset:         0
        .size:           1
        .value_kind:     by_value
      - .offset:         8
        .size:           8
        .value_kind:     by_value
      - .actual_access:  read_only
        .address_space:  global
        .offset:         16
        .size:           8
        .value_kind:     global_buffer
      - .address_space:  global
        .offset:         24
        .size:           8
        .value_kind:     global_buffer
      - .actual_access:  read_only
        .address_space:  global
        .offset:         32
        .size:           8
        .value_kind:     global_buffer
      - .offset:         40
        .size:           8
        .value_kind:     by_value
      - .actual_access:  read_only
        .address_space:  global
        .offset:         48
        .size:           8
        .value_kind:     global_buffer
      - .actual_access:  read_only
        .address_space:  global
        .offset:         56
        .size:           8
        .value_kind:     global_buffer
      - .actual_access:  read_only
        .address_space:  global
        .offset:         64
        .size:           8
        .value_kind:     global_buffer
      - .actual_access:  read_only
        .address_space:  global
        .offset:         72
        .size:           8
        .value_kind:     global_buffer
      - .offset:         80
        .size:           8
        .value_kind:     by_value
      - .address_space:  global
        .offset:         88
        .size:           8
        .value_kind:     global_buffer
      - .offset:         96
        .size:           4
        .value_kind:     by_value
      - .offset:         100
        .size:           1
        .value_kind:     by_value
    .group_segment_fixed_size: 4096
    .kernarg_segment_align: 8
    .kernarg_segment_size: 104
    .language:       OpenCL C
    .language_version:
      - 2
      - 0
    .max_flat_workgroup_size: 256
    .name:           _ZN9rocsparseL22csrmvn_adaptive_kernelIllaaffEEvbT_PKS1_PjPKT0_NS_24const_host_device_scalarIT4_EES3_S7_PKT1_PKT2_SA_PT3_21rocsparse_index_base_b
    .private_segment_fixed_size: 0
    .sgpr_count:     70
    .sgpr_spill_count: 0
    .symbol:         _ZN9rocsparseL22csrmvn_adaptive_kernelIllaaffEEvbT_PKS1_PjPKT0_NS_24const_host_device_scalarIT4_EES3_S7_PKT1_PKT2_SA_PT3_21rocsparse_index_base_b.kd
    .uniform_work_group_size: 1
    .uses_dynamic_stack: false
    .vgpr_count:     19
    .vgpr_spill_count: 0
    .wavefront_size: 64
  - .agpr_count:     0
    .args:
      - .offset:         0
        .size:           1
        .value_kind:     by_value
      - .offset:         8
        .size:           8
        .value_kind:     by_value
      - .offset:         16
        .size:           8
        .value_kind:     by_value
      - .actual_access:  read_only
        .address_space:  global
        .offset:         24
        .size:           8
        .value_kind:     global_buffer
      - .offset:         32
        .size:           8
        .value_kind:     by_value
      - .actual_access:  read_only
        .address_space:  global
        .offset:         40
        .size:           8
        .value_kind:     global_buffer
      - .actual_access:  read_only
        .address_space:  global
        .offset:         48
        .size:           8
        .value_kind:     global_buffer
      - .actual_access:  read_only
        .address_space:  global
        .offset:         56
        .size:           8
        .value_kind:     global_buffer
      - .actual_access:  read_only
        .address_space:  global
        .offset:         64
        .size:           8
        .value_kind:     global_buffer
      - .offset:         72
        .size:           8
        .value_kind:     by_value
      - .address_space:  global
        .offset:         80
        .size:           8
        .value_kind:     global_buffer
      - .offset:         88
        .size:           4
        .value_kind:     by_value
      - .offset:         92
        .size:           1
        .value_kind:     by_value
      - .offset:         96
        .size:           4
        .value_kind:     hidden_block_count_x
      - .offset:         100
        .size:           4
        .value_kind:     hidden_block_count_y
      - .offset:         104
        .size:           4
        .value_kind:     hidden_block_count_z
      - .offset:         108
        .size:           2
        .value_kind:     hidden_group_size_x
      - .offset:         110
        .size:           2
        .value_kind:     hidden_group_size_y
      - .offset:         112
        .size:           2
        .value_kind:     hidden_group_size_z
      - .offset:         114
        .size:           2
        .value_kind:     hidden_remainder_x
      - .offset:         116
        .size:           2
        .value_kind:     hidden_remainder_y
      - .offset:         118
        .size:           2
        .value_kind:     hidden_remainder_z
      - .offset:         136
        .size:           8
        .value_kind:     hidden_global_offset_x
      - .offset:         144
        .size:           8
        .value_kind:     hidden_global_offset_y
      - .offset:         152
        .size:           8
        .value_kind:     hidden_global_offset_z
      - .offset:         160
        .size:           2
        .value_kind:     hidden_grid_dims
      - .offset:         216
        .size:           4
        .value_kind:     hidden_dynamic_lds_size
    .group_segment_fixed_size: 4096
    .kernarg_segment_align: 8
    .kernarg_segment_size: 352
    .language:       OpenCL C
    .language_version:
      - 2
      - 0
    .max_flat_workgroup_size: 256
    .name:           _ZN9rocsparseL27csrmvn_symm_adaptive_kernelIllaaffEEvbT_S1_PKS1_NS_24const_host_device_scalarIT4_EES3_PKT0_PKT1_PKT2_S6_PT3_21rocsparse_index_base_b
    .private_segment_fixed_size: 0
    .sgpr_count:     58
    .sgpr_spill_count: 0
    .symbol:         _ZN9rocsparseL27csrmvn_symm_adaptive_kernelIllaaffEEvbT_S1_PKS1_NS_24const_host_device_scalarIT4_EES3_PKT0_PKT1_PKT2_S6_PT3_21rocsparse_index_base_b.kd
    .uniform_work_group_size: 1
    .uses_dynamic_stack: false
    .vgpr_count:     24
    .vgpr_spill_count: 0
    .wavefront_size: 64
  - .agpr_count:     0
    .args:
      - .offset:         0
        .size:           1
        .value_kind:     by_value
      - .offset:         8
        .size:           8
        .value_kind:     by_value
      - .actual_access:  read_only
        .address_space:  global
        .offset:         16
        .size:           8
        .value_kind:     global_buffer
      - .offset:         24
        .size:           8
        .value_kind:     by_value
      - .actual_access:  read_only
        .address_space:  global
        .offset:         32
        .size:           8
        .value_kind:     global_buffer
      - .actual_access:  read_only
        .address_space:  global
        .offset:         40
        .size:           8
        .value_kind:     global_buffer
      - .actual_access:  read_only
        .address_space:  global
        .offset:         48
        .size:           8
        .value_kind:     global_buffer
      - .actual_access:  read_only
        .address_space:  global
        .offset:         56
        .size:           8
        .value_kind:     global_buffer
      - .offset:         64
        .size:           8
        .value_kind:     by_value
      - .address_space:  global
        .offset:         72
        .size:           8
        .value_kind:     global_buffer
      - .offset:         80
        .size:           4
        .value_kind:     by_value
      - .offset:         84
        .size:           1
        .value_kind:     by_value
    .group_segment_fixed_size: 4096
    .kernarg_segment_align: 8
    .kernarg_segment_size: 88
    .language:       OpenCL C
    .language_version:
      - 2
      - 0
    .max_flat_workgroup_size: 256
    .name:           _ZL33csrmvn_symm_large_adaptive_kernelIllaaffEvbT_PKS0_N9rocsparse24const_host_device_scalarIT4_EES2_PKT0_PKT1_PKT2_S6_PT3_21rocsparse_index_base_b
    .private_segment_fixed_size: 0
    .sgpr_count:     50
    .sgpr_spill_count: 0
    .symbol:         _ZL33csrmvn_symm_large_adaptive_kernelIllaaffEvbT_PKS0_N9rocsparse24const_host_device_scalarIT4_EES2_PKT0_PKT1_PKT2_S6_PT3_21rocsparse_index_base_b.kd
    .uniform_work_group_size: 1
    .uses_dynamic_stack: false
    .vgpr_count:     16
    .vgpr_spill_count: 0
    .wavefront_size: 64
  - .agpr_count:     0
    .args:
      - .offset:         0
        .size:           1
        .value_kind:     by_value
      - .offset:         4
        .size:           4
        .value_kind:     by_value
      - .actual_access:  read_only
        .address_space:  global
        .offset:         8
        .size:           8
        .value_kind:     global_buffer
      - .address_space:  global
        .offset:         16
        .size:           8
        .value_kind:     global_buffer
      - .actual_access:  read_only
        .address_space:  global
        .offset:         24
        .size:           8
        .value_kind:     global_buffer
      - .offset:         32
        .size:           8
        .value_kind:     by_value
      - .actual_access:  read_only
        .address_space:  global
        .offset:         40
        .size:           8
        .value_kind:     global_buffer
      - .actual_access:  read_only
        .address_space:  global
        .offset:         48
        .size:           8
        .value_kind:     global_buffer
      - .actual_access:  read_only
        .address_space:  global
        .offset:         56
        .size:           8
        .value_kind:     global_buffer
      - .actual_access:  read_only
        .address_space:  global
        .offset:         64
        .size:           8
        .value_kind:     global_buffer
      - .offset:         72
        .size:           8
        .value_kind:     by_value
      - .address_space:  global
        .offset:         80
        .size:           8
        .value_kind:     global_buffer
      - .offset:         88
        .size:           4
        .value_kind:     by_value
      - .offset:         92
        .size:           1
        .value_kind:     by_value
    .group_segment_fixed_size: 4096
    .kernarg_segment_align: 8
    .kernarg_segment_size: 96
    .language:       OpenCL C
    .language_version:
      - 2
      - 0
    .max_flat_workgroup_size: 256
    .name:           _ZN9rocsparseL22csrmvn_adaptive_kernelIiiDF16_DF16_ffEEvbT_PKS1_PjPKT0_NS_24const_host_device_scalarIT4_EES3_S7_PKT1_PKT2_SA_PT3_21rocsparse_index_base_b
    .private_segment_fixed_size: 0
    .sgpr_count:     66
    .sgpr_spill_count: 0
    .symbol:         _ZN9rocsparseL22csrmvn_adaptive_kernelIiiDF16_DF16_ffEEvbT_PKS1_PjPKT0_NS_24const_host_device_scalarIT4_EES3_S7_PKT1_PKT2_SA_PT3_21rocsparse_index_base_b.kd
    .uniform_work_group_size: 1
    .uses_dynamic_stack: false
    .vgpr_count:     18
    .vgpr_spill_count: 0
    .wavefront_size: 64
  - .agpr_count:     0
    .args:
      - .offset:         0
        .size:           1
        .value_kind:     by_value
      - .offset:         4
        .size:           4
        .value_kind:     by_value
      - .offset:         8
        .size:           4
        .value_kind:     by_value
      - .actual_access:  read_only
        .address_space:  global
        .offset:         16
        .size:           8
        .value_kind:     global_buffer
      - .offset:         24
        .size:           8
        .value_kind:     by_value
      - .actual_access:  read_only
        .address_space:  global
        .offset:         32
        .size:           8
        .value_kind:     global_buffer
      - .actual_access:  read_only
        .address_space:  global
        .offset:         40
        .size:           8
        .value_kind:     global_buffer
      - .actual_access:  read_only
        .address_space:  global
        .offset:         48
        .size:           8
        .value_kind:     global_buffer
      - .actual_access:  read_only
        .address_space:  global
        .offset:         56
        .size:           8
        .value_kind:     global_buffer
      - .offset:         64
        .size:           8
        .value_kind:     by_value
      - .address_space:  global
        .offset:         72
        .size:           8
        .value_kind:     global_buffer
      - .offset:         80
        .size:           4
        .value_kind:     by_value
      - .offset:         84
        .size:           1
        .value_kind:     by_value
      - .offset:         88
        .size:           4
        .value_kind:     hidden_block_count_x
      - .offset:         92
        .size:           4
        .value_kind:     hidden_block_count_y
      - .offset:         96
        .size:           4
        .value_kind:     hidden_block_count_z
      - .offset:         100
        .size:           2
        .value_kind:     hidden_group_size_x
      - .offset:         102
        .size:           2
        .value_kind:     hidden_group_size_y
      - .offset:         104
        .size:           2
        .value_kind:     hidden_group_size_z
      - .offset:         106
        .size:           2
        .value_kind:     hidden_remainder_x
      - .offset:         108
        .size:           2
        .value_kind:     hidden_remainder_y
      - .offset:         110
        .size:           2
        .value_kind:     hidden_remainder_z
      - .offset:         128
        .size:           8
        .value_kind:     hidden_global_offset_x
      - .offset:         136
        .size:           8
        .value_kind:     hidden_global_offset_y
      - .offset:         144
        .size:           8
        .value_kind:     hidden_global_offset_z
      - .offset:         152
        .size:           2
        .value_kind:     hidden_grid_dims
      - .offset:         208
        .size:           4
        .value_kind:     hidden_dynamic_lds_size
    .group_segment_fixed_size: 4096
    .kernarg_segment_align: 8
    .kernarg_segment_size: 344
    .language:       OpenCL C
    .language_version:
      - 2
      - 0
    .max_flat_workgroup_size: 256
    .name:           _ZN9rocsparseL27csrmvn_symm_adaptive_kernelIiiDF16_DF16_ffEEvbT_S1_PKS1_NS_24const_host_device_scalarIT4_EES3_PKT0_PKT1_PKT2_S6_PT3_21rocsparse_index_base_b
    .private_segment_fixed_size: 0
    .sgpr_count:     47
    .sgpr_spill_count: 0
    .symbol:         _ZN9rocsparseL27csrmvn_symm_adaptive_kernelIiiDF16_DF16_ffEEvbT_S1_PKS1_NS_24const_host_device_scalarIT4_EES3_PKT0_PKT1_PKT2_S6_PT3_21rocsparse_index_base_b.kd
    .uniform_work_group_size: 1
    .uses_dynamic_stack: false
    .vgpr_count:     16
    .vgpr_spill_count: 0
    .wavefront_size: 64
  - .agpr_count:     0
    .args:
      - .offset:         0
        .size:           1
        .value_kind:     by_value
      - .offset:         4
        .size:           4
        .value_kind:     by_value
      - .actual_access:  read_only
        .address_space:  global
        .offset:         8
        .size:           8
        .value_kind:     global_buffer
      - .offset:         16
        .size:           8
        .value_kind:     by_value
      - .actual_access:  read_only
        .address_space:  global
        .offset:         24
        .size:           8
        .value_kind:     global_buffer
      - .actual_access:  read_only
        .address_space:  global
        .offset:         32
        .size:           8
        .value_kind:     global_buffer
      - .actual_access:  read_only
        .address_space:  global
        .offset:         40
        .size:           8
        .value_kind:     global_buffer
      - .actual_access:  read_only
        .address_space:  global
        .offset:         48
        .size:           8
        .value_kind:     global_buffer
      - .offset:         56
        .size:           8
        .value_kind:     by_value
      - .address_space:  global
        .offset:         64
        .size:           8
        .value_kind:     global_buffer
      - .offset:         72
        .size:           4
        .value_kind:     by_value
      - .offset:         76
        .size:           1
        .value_kind:     by_value
    .group_segment_fixed_size: 4096
    .kernarg_segment_align: 8
    .kernarg_segment_size: 80
    .language:       OpenCL C
    .language_version:
      - 2
      - 0
    .max_flat_workgroup_size: 256
    .name:           _ZL33csrmvn_symm_large_adaptive_kernelIiiDF16_DF16_ffEvbT_PKS0_N9rocsparse24const_host_device_scalarIT4_EES2_PKT0_PKT1_PKT2_S6_PT3_21rocsparse_index_base_b
    .private_segment_fixed_size: 0
    .sgpr_count:     44
    .sgpr_spill_count: 0
    .symbol:         _ZL33csrmvn_symm_large_adaptive_kernelIiiDF16_DF16_ffEvbT_PKS0_N9rocsparse24const_host_device_scalarIT4_EES2_PKT0_PKT1_PKT2_S6_PT3_21rocsparse_index_base_b.kd
    .uniform_work_group_size: 1
    .uses_dynamic_stack: false
    .vgpr_count:     13
    .vgpr_spill_count: 0
    .wavefront_size: 64
  - .agpr_count:     0
    .args:
      - .offset:         0
        .size:           1
        .value_kind:     by_value
      - .offset:         8
        .size:           8
        .value_kind:     by_value
      - .actual_access:  read_only
        .address_space:  global
        .offset:         16
        .size:           8
        .value_kind:     global_buffer
      - .address_space:  global
        .offset:         24
        .size:           8
        .value_kind:     global_buffer
      - .actual_access:  read_only
        .address_space:  global
        .offset:         32
        .size:           8
        .value_kind:     global_buffer
      - .offset:         40
        .size:           8
        .value_kind:     by_value
      - .actual_access:  read_only
        .address_space:  global
        .offset:         48
        .size:           8
        .value_kind:     global_buffer
      - .actual_access:  read_only
        .address_space:  global
        .offset:         56
        .size:           8
        .value_kind:     global_buffer
      - .actual_access:  read_only
        .address_space:  global
        .offset:         64
        .size:           8
        .value_kind:     global_buffer
      - .actual_access:  read_only
        .address_space:  global
        .offset:         72
        .size:           8
        .value_kind:     global_buffer
      - .offset:         80
        .size:           8
        .value_kind:     by_value
      - .address_space:  global
        .offset:         88
        .size:           8
        .value_kind:     global_buffer
      - .offset:         96
        .size:           4
        .value_kind:     by_value
      - .offset:         100
        .size:           1
        .value_kind:     by_value
    .group_segment_fixed_size: 4096
    .kernarg_segment_align: 8
    .kernarg_segment_size: 104
    .language:       OpenCL C
    .language_version:
      - 2
      - 0
    .max_flat_workgroup_size: 256
    .name:           _ZN9rocsparseL22csrmvn_adaptive_kernelIliDF16_DF16_ffEEvbT_PKS1_PjPKT0_NS_24const_host_device_scalarIT4_EES3_S7_PKT1_PKT2_SA_PT3_21rocsparse_index_base_b
    .private_segment_fixed_size: 0
    .sgpr_count:     70
    .sgpr_spill_count: 0
    .symbol:         _ZN9rocsparseL22csrmvn_adaptive_kernelIliDF16_DF16_ffEEvbT_PKS1_PjPKT0_NS_24const_host_device_scalarIT4_EES3_S7_PKT1_PKT2_SA_PT3_21rocsparse_index_base_b.kd
    .uniform_work_group_size: 1
    .uses_dynamic_stack: false
    .vgpr_count:     23
    .vgpr_spill_count: 0
    .wavefront_size: 64
  - .agpr_count:     0
    .args:
      - .offset:         0
        .size:           1
        .value_kind:     by_value
      - .offset:         8
        .size:           8
        .value_kind:     by_value
      - .offset:         16
        .size:           8
        .value_kind:     by_value
      - .actual_access:  read_only
        .address_space:  global
        .offset:         24
        .size:           8
        .value_kind:     global_buffer
      - .offset:         32
        .size:           8
        .value_kind:     by_value
      - .actual_access:  read_only
        .address_space:  global
        .offset:         40
        .size:           8
        .value_kind:     global_buffer
      - .actual_access:  read_only
        .address_space:  global
        .offset:         48
        .size:           8
        .value_kind:     global_buffer
      - .actual_access:  read_only
        .address_space:  global
        .offset:         56
        .size:           8
        .value_kind:     global_buffer
      - .actual_access:  read_only
        .address_space:  global
        .offset:         64
        .size:           8
        .value_kind:     global_buffer
      - .offset:         72
        .size:           8
        .value_kind:     by_value
      - .address_space:  global
        .offset:         80
        .size:           8
        .value_kind:     global_buffer
      - .offset:         88
        .size:           4
        .value_kind:     by_value
      - .offset:         92
        .size:           1
        .value_kind:     by_value
      - .offset:         96
        .size:           4
        .value_kind:     hidden_block_count_x
      - .offset:         100
        .size:           4
        .value_kind:     hidden_block_count_y
      - .offset:         104
        .size:           4
        .value_kind:     hidden_block_count_z
      - .offset:         108
        .size:           2
        .value_kind:     hidden_group_size_x
      - .offset:         110
        .size:           2
        .value_kind:     hidden_group_size_y
      - .offset:         112
        .size:           2
        .value_kind:     hidden_group_size_z
      - .offset:         114
        .size:           2
        .value_kind:     hidden_remainder_x
      - .offset:         116
        .size:           2
        .value_kind:     hidden_remainder_y
      - .offset:         118
        .size:           2
        .value_kind:     hidden_remainder_z
      - .offset:         136
        .size:           8
        .value_kind:     hidden_global_offset_x
      - .offset:         144
        .size:           8
        .value_kind:     hidden_global_offset_y
      - .offset:         152
        .size:           8
        .value_kind:     hidden_global_offset_z
      - .offset:         160
        .size:           2
        .value_kind:     hidden_grid_dims
      - .offset:         216
        .size:           4
        .value_kind:     hidden_dynamic_lds_size
    .group_segment_fixed_size: 4096
    .kernarg_segment_align: 8
    .kernarg_segment_size: 352
    .language:       OpenCL C
    .language_version:
      - 2
      - 0
    .max_flat_workgroup_size: 256
    .name:           _ZN9rocsparseL27csrmvn_symm_adaptive_kernelIliDF16_DF16_ffEEvbT_S1_PKS1_NS_24const_host_device_scalarIT4_EES3_PKT0_PKT1_PKT2_S6_PT3_21rocsparse_index_base_b
    .private_segment_fixed_size: 0
    .sgpr_count:     58
    .sgpr_spill_count: 0
    .symbol:         _ZN9rocsparseL27csrmvn_symm_adaptive_kernelIliDF16_DF16_ffEEvbT_S1_PKS1_NS_24const_host_device_scalarIT4_EES3_PKT0_PKT1_PKT2_S6_PT3_21rocsparse_index_base_b.kd
    .uniform_work_group_size: 1
    .uses_dynamic_stack: false
    .vgpr_count:     22
    .vgpr_spill_count: 0
    .wavefront_size: 64
  - .agpr_count:     0
    .args:
      - .offset:         0
        .size:           1
        .value_kind:     by_value
      - .offset:         8
        .size:           8
        .value_kind:     by_value
      - .actual_access:  read_only
        .address_space:  global
        .offset:         16
        .size:           8
        .value_kind:     global_buffer
      - .offset:         24
        .size:           8
        .value_kind:     by_value
      - .actual_access:  read_only
        .address_space:  global
        .offset:         32
        .size:           8
        .value_kind:     global_buffer
      - .actual_access:  read_only
        .address_space:  global
        .offset:         40
        .size:           8
        .value_kind:     global_buffer
      - .actual_access:  read_only
        .address_space:  global
        .offset:         48
        .size:           8
        .value_kind:     global_buffer
      - .actual_access:  read_only
        .address_space:  global
        .offset:         56
        .size:           8
        .value_kind:     global_buffer
      - .offset:         64
        .size:           8
        .value_kind:     by_value
      - .address_space:  global
        .offset:         72
        .size:           8
        .value_kind:     global_buffer
      - .offset:         80
        .size:           4
        .value_kind:     by_value
      - .offset:         84
        .size:           1
        .value_kind:     by_value
    .group_segment_fixed_size: 4096
    .kernarg_segment_align: 8
    .kernarg_segment_size: 88
    .language:       OpenCL C
    .language_version:
      - 2
      - 0
    .max_flat_workgroup_size: 256
    .name:           _ZL33csrmvn_symm_large_adaptive_kernelIliDF16_DF16_ffEvbT_PKS0_N9rocsparse24const_host_device_scalarIT4_EES2_PKT0_PKT1_PKT2_S6_PT3_21rocsparse_index_base_b
    .private_segment_fixed_size: 0
    .sgpr_count:     50
    .sgpr_spill_count: 0
    .symbol:         _ZL33csrmvn_symm_large_adaptive_kernelIliDF16_DF16_ffEvbT_PKS0_N9rocsparse24const_host_device_scalarIT4_EES2_PKT0_PKT1_PKT2_S6_PT3_21rocsparse_index_base_b.kd
    .uniform_work_group_size: 1
    .uses_dynamic_stack: false
    .vgpr_count:     17
    .vgpr_spill_count: 0
    .wavefront_size: 64
  - .agpr_count:     0
    .args:
      - .offset:         0
        .size:           1
        .value_kind:     by_value
      - .offset:         8
        .size:           8
        .value_kind:     by_value
      - .actual_access:  read_only
        .address_space:  global
        .offset:         16
        .size:           8
        .value_kind:     global_buffer
      - .address_space:  global
        .offset:         24
        .size:           8
        .value_kind:     global_buffer
      - .actual_access:  read_only
        .address_space:  global
        .offset:         32
        .size:           8
        .value_kind:     global_buffer
      - .offset:         40
        .size:           8
        .value_kind:     by_value
      - .actual_access:  read_only
        .address_space:  global
        .offset:         48
        .size:           8
        .value_kind:     global_buffer
      - .actual_access:  read_only
        .address_space:  global
        .offset:         56
        .size:           8
        .value_kind:     global_buffer
      - .actual_access:  read_only
        .address_space:  global
        .offset:         64
        .size:           8
        .value_kind:     global_buffer
      - .actual_access:  read_only
        .address_space:  global
        .offset:         72
        .size:           8
        .value_kind:     global_buffer
      - .offset:         80
        .size:           8
        .value_kind:     by_value
      - .address_space:  global
        .offset:         88
        .size:           8
        .value_kind:     global_buffer
      - .offset:         96
        .size:           4
        .value_kind:     by_value
      - .offset:         100
        .size:           1
        .value_kind:     by_value
    .group_segment_fixed_size: 4096
    .kernarg_segment_align: 8
    .kernarg_segment_size: 104
    .language:       OpenCL C
    .language_version:
      - 2
      - 0
    .max_flat_workgroup_size: 256
    .name:           _ZN9rocsparseL22csrmvn_adaptive_kernelIllDF16_DF16_ffEEvbT_PKS1_PjPKT0_NS_24const_host_device_scalarIT4_EES3_S7_PKT1_PKT2_SA_PT3_21rocsparse_index_base_b
    .private_segment_fixed_size: 0
    .sgpr_count:     70
    .sgpr_spill_count: 0
    .symbol:         _ZN9rocsparseL22csrmvn_adaptive_kernelIllDF16_DF16_ffEEvbT_PKS1_PjPKT0_NS_24const_host_device_scalarIT4_EES3_S7_PKT1_PKT2_SA_PT3_21rocsparse_index_base_b.kd
    .uniform_work_group_size: 1
    .uses_dynamic_stack: false
    .vgpr_count:     19
    .vgpr_spill_count: 0
    .wavefront_size: 64
  - .agpr_count:     0
    .args:
      - .offset:         0
        .size:           1
        .value_kind:     by_value
      - .offset:         8
        .size:           8
        .value_kind:     by_value
      - .offset:         16
        .size:           8
        .value_kind:     by_value
      - .actual_access:  read_only
        .address_space:  global
        .offset:         24
        .size:           8
        .value_kind:     global_buffer
      - .offset:         32
        .size:           8
        .value_kind:     by_value
      - .actual_access:  read_only
        .address_space:  global
        .offset:         40
        .size:           8
        .value_kind:     global_buffer
      - .actual_access:  read_only
        .address_space:  global
        .offset:         48
        .size:           8
        .value_kind:     global_buffer
      - .actual_access:  read_only
        .address_space:  global
        .offset:         56
        .size:           8
        .value_kind:     global_buffer
      - .actual_access:  read_only
        .address_space:  global
        .offset:         64
        .size:           8
        .value_kind:     global_buffer
      - .offset:         72
        .size:           8
        .value_kind:     by_value
      - .address_space:  global
        .offset:         80
        .size:           8
        .value_kind:     global_buffer
      - .offset:         88
        .size:           4
        .value_kind:     by_value
      - .offset:         92
        .size:           1
        .value_kind:     by_value
      - .offset:         96
        .size:           4
        .value_kind:     hidden_block_count_x
      - .offset:         100
        .size:           4
        .value_kind:     hidden_block_count_y
      - .offset:         104
        .size:           4
        .value_kind:     hidden_block_count_z
      - .offset:         108
        .size:           2
        .value_kind:     hidden_group_size_x
      - .offset:         110
        .size:           2
        .value_kind:     hidden_group_size_y
      - .offset:         112
        .size:           2
        .value_kind:     hidden_group_size_z
      - .offset:         114
        .size:           2
        .value_kind:     hidden_remainder_x
      - .offset:         116
        .size:           2
        .value_kind:     hidden_remainder_y
      - .offset:         118
        .size:           2
        .value_kind:     hidden_remainder_z
      - .offset:         136
        .size:           8
        .value_kind:     hidden_global_offset_x
      - .offset:         144
        .size:           8
        .value_kind:     hidden_global_offset_y
      - .offset:         152
        .size:           8
        .value_kind:     hidden_global_offset_z
      - .offset:         160
        .size:           2
        .value_kind:     hidden_grid_dims
      - .offset:         216
        .size:           4
        .value_kind:     hidden_dynamic_lds_size
    .group_segment_fixed_size: 4096
    .kernarg_segment_align: 8
    .kernarg_segment_size: 352
    .language:       OpenCL C
    .language_version:
      - 2
      - 0
    .max_flat_workgroup_size: 256
    .name:           _ZN9rocsparseL27csrmvn_symm_adaptive_kernelIllDF16_DF16_ffEEvbT_S1_PKS1_NS_24const_host_device_scalarIT4_EES3_PKT0_PKT1_PKT2_S6_PT3_21rocsparse_index_base_b
    .private_segment_fixed_size: 0
    .sgpr_count:     58
    .sgpr_spill_count: 0
    .symbol:         _ZN9rocsparseL27csrmvn_symm_adaptive_kernelIllDF16_DF16_ffEEvbT_S1_PKS1_NS_24const_host_device_scalarIT4_EES3_PKT0_PKT1_PKT2_S6_PT3_21rocsparse_index_base_b.kd
    .uniform_work_group_size: 1
    .uses_dynamic_stack: false
    .vgpr_count:     24
    .vgpr_spill_count: 0
    .wavefront_size: 64
  - .agpr_count:     0
    .args:
      - .offset:         0
        .size:           1
        .value_kind:     by_value
      - .offset:         8
        .size:           8
        .value_kind:     by_value
      - .actual_access:  read_only
        .address_space:  global
        .offset:         16
        .size:           8
        .value_kind:     global_buffer
      - .offset:         24
        .size:           8
        .value_kind:     by_value
      - .actual_access:  read_only
        .address_space:  global
        .offset:         32
        .size:           8
        .value_kind:     global_buffer
      - .actual_access:  read_only
        .address_space:  global
        .offset:         40
        .size:           8
        .value_kind:     global_buffer
      - .actual_access:  read_only
        .address_space:  global
        .offset:         48
        .size:           8
        .value_kind:     global_buffer
      - .actual_access:  read_only
        .address_space:  global
        .offset:         56
        .size:           8
        .value_kind:     global_buffer
      - .offset:         64
        .size:           8
        .value_kind:     by_value
      - .address_space:  global
        .offset:         72
        .size:           8
        .value_kind:     global_buffer
      - .offset:         80
        .size:           4
        .value_kind:     by_value
      - .offset:         84
        .size:           1
        .value_kind:     by_value
    .group_segment_fixed_size: 4096
    .kernarg_segment_align: 8
    .kernarg_segment_size: 88
    .language:       OpenCL C
    .language_version:
      - 2
      - 0
    .max_flat_workgroup_size: 256
    .name:           _ZL33csrmvn_symm_large_adaptive_kernelIllDF16_DF16_ffEvbT_PKS0_N9rocsparse24const_host_device_scalarIT4_EES2_PKT0_PKT1_PKT2_S6_PT3_21rocsparse_index_base_b
    .private_segment_fixed_size: 0
    .sgpr_count:     50
    .sgpr_spill_count: 0
    .symbol:         _ZL33csrmvn_symm_large_adaptive_kernelIllDF16_DF16_ffEvbT_PKS0_N9rocsparse24const_host_device_scalarIT4_EES2_PKT0_PKT1_PKT2_S6_PT3_21rocsparse_index_base_b.kd
    .uniform_work_group_size: 1
    .uses_dynamic_stack: false
    .vgpr_count:     16
    .vgpr_spill_count: 0
    .wavefront_size: 64
  - .agpr_count:     0
    .args:
      - .offset:         0
        .size:           1
        .value_kind:     by_value
      - .offset:         4
        .size:           4
        .value_kind:     by_value
      - .actual_access:  read_only
        .address_space:  global
        .offset:         8
        .size:           8
        .value_kind:     global_buffer
      - .address_space:  global
        .offset:         16
        .size:           8
        .value_kind:     global_buffer
      - .actual_access:  read_only
        .address_space:  global
        .offset:         24
        .size:           8
        .value_kind:     global_buffer
      - .offset:         32
        .size:           8
        .value_kind:     by_value
      - .actual_access:  read_only
        .address_space:  global
        .offset:         40
        .size:           8
        .value_kind:     global_buffer
      - .actual_access:  read_only
        .address_space:  global
        .offset:         48
        .size:           8
        .value_kind:     global_buffer
      - .actual_access:  read_only
        .address_space:  global
        .offset:         56
        .size:           8
        .value_kind:     global_buffer
      - .actual_access:  read_only
        .address_space:  global
        .offset:         64
        .size:           8
        .value_kind:     global_buffer
      - .offset:         72
        .size:           8
        .value_kind:     by_value
      - .address_space:  global
        .offset:         80
        .size:           8
        .value_kind:     global_buffer
      - .offset:         88
        .size:           4
        .value_kind:     by_value
      - .offset:         92
        .size:           1
        .value_kind:     by_value
    .group_segment_fixed_size: 4096
    .kernarg_segment_align: 8
    .kernarg_segment_size: 96
    .language:       OpenCL C
    .language_version:
      - 2
      - 0
    .max_flat_workgroup_size: 256
    .name:           _ZN9rocsparseL22csrmvn_adaptive_kernelIii18rocsparse_bfloat16S1_ffEEvbT_PKS2_PjPKT0_NS_24const_host_device_scalarIT4_EES4_S8_PKT1_PKT2_SB_PT3_21rocsparse_index_base_b
    .private_segment_fixed_size: 0
    .sgpr_count:     66
    .sgpr_spill_count: 0
    .symbol:         _ZN9rocsparseL22csrmvn_adaptive_kernelIii18rocsparse_bfloat16S1_ffEEvbT_PKS2_PjPKT0_NS_24const_host_device_scalarIT4_EES4_S8_PKT1_PKT2_SB_PT3_21rocsparse_index_base_b.kd
    .uniform_work_group_size: 1
    .uses_dynamic_stack: false
    .vgpr_count:     18
    .vgpr_spill_count: 0
    .wavefront_size: 64
  - .agpr_count:     0
    .args:
      - .offset:         0
        .size:           1
        .value_kind:     by_value
      - .offset:         4
        .size:           4
        .value_kind:     by_value
      - .offset:         8
        .size:           4
        .value_kind:     by_value
      - .actual_access:  read_only
        .address_space:  global
        .offset:         16
        .size:           8
        .value_kind:     global_buffer
      - .offset:         24
        .size:           8
        .value_kind:     by_value
      - .actual_access:  read_only
        .address_space:  global
        .offset:         32
        .size:           8
        .value_kind:     global_buffer
      - .actual_access:  read_only
        .address_space:  global
        .offset:         40
        .size:           8
        .value_kind:     global_buffer
      - .actual_access:  read_only
        .address_space:  global
        .offset:         48
        .size:           8
        .value_kind:     global_buffer
      - .actual_access:  read_only
        .address_space:  global
        .offset:         56
        .size:           8
        .value_kind:     global_buffer
      - .offset:         64
        .size:           8
        .value_kind:     by_value
      - .address_space:  global
        .offset:         72
        .size:           8
        .value_kind:     global_buffer
      - .offset:         80
        .size:           4
        .value_kind:     by_value
      - .offset:         84
        .size:           1
        .value_kind:     by_value
      - .offset:         88
        .size:           4
        .value_kind:     hidden_block_count_x
      - .offset:         92
        .size:           4
        .value_kind:     hidden_block_count_y
      - .offset:         96
        .size:           4
        .value_kind:     hidden_block_count_z
      - .offset:         100
        .size:           2
        .value_kind:     hidden_group_size_x
      - .offset:         102
        .size:           2
        .value_kind:     hidden_group_size_y
      - .offset:         104
        .size:           2
        .value_kind:     hidden_group_size_z
      - .offset:         106
        .size:           2
        .value_kind:     hidden_remainder_x
      - .offset:         108
        .size:           2
        .value_kind:     hidden_remainder_y
      - .offset:         110
        .size:           2
        .value_kind:     hidden_remainder_z
      - .offset:         128
        .size:           8
        .value_kind:     hidden_global_offset_x
      - .offset:         136
        .size:           8
        .value_kind:     hidden_global_offset_y
      - .offset:         144
        .size:           8
        .value_kind:     hidden_global_offset_z
      - .offset:         152
        .size:           2
        .value_kind:     hidden_grid_dims
      - .offset:         208
        .size:           4
        .value_kind:     hidden_dynamic_lds_size
    .group_segment_fixed_size: 4096
    .kernarg_segment_align: 8
    .kernarg_segment_size: 344
    .language:       OpenCL C
    .language_version:
      - 2
      - 0
    .max_flat_workgroup_size: 256
    .name:           _ZN9rocsparseL27csrmvn_symm_adaptive_kernelIii18rocsparse_bfloat16S1_ffEEvbT_S2_PKS2_NS_24const_host_device_scalarIT4_EES4_PKT0_PKT1_PKT2_S7_PT3_21rocsparse_index_base_b
    .private_segment_fixed_size: 0
    .sgpr_count:     47
    .sgpr_spill_count: 0
    .symbol:         _ZN9rocsparseL27csrmvn_symm_adaptive_kernelIii18rocsparse_bfloat16S1_ffEEvbT_S2_PKS2_NS_24const_host_device_scalarIT4_EES4_PKT0_PKT1_PKT2_S7_PT3_21rocsparse_index_base_b.kd
    .uniform_work_group_size: 1
    .uses_dynamic_stack: false
    .vgpr_count:     15
    .vgpr_spill_count: 0
    .wavefront_size: 64
  - .agpr_count:     0
    .args:
      - .offset:         0
        .size:           1
        .value_kind:     by_value
      - .offset:         4
        .size:           4
        .value_kind:     by_value
      - .actual_access:  read_only
        .address_space:  global
        .offset:         8
        .size:           8
        .value_kind:     global_buffer
      - .offset:         16
        .size:           8
        .value_kind:     by_value
      - .actual_access:  read_only
        .address_space:  global
        .offset:         24
        .size:           8
        .value_kind:     global_buffer
      - .actual_access:  read_only
        .address_space:  global
        .offset:         32
        .size:           8
        .value_kind:     global_buffer
      - .actual_access:  read_only
        .address_space:  global
        .offset:         40
        .size:           8
        .value_kind:     global_buffer
      - .actual_access:  read_only
        .address_space:  global
        .offset:         48
        .size:           8
        .value_kind:     global_buffer
      - .offset:         56
        .size:           8
        .value_kind:     by_value
      - .address_space:  global
        .offset:         64
        .size:           8
        .value_kind:     global_buffer
      - .offset:         72
        .size:           4
        .value_kind:     by_value
      - .offset:         76
        .size:           1
        .value_kind:     by_value
    .group_segment_fixed_size: 4096
    .kernarg_segment_align: 8
    .kernarg_segment_size: 80
    .language:       OpenCL C
    .language_version:
      - 2
      - 0
    .max_flat_workgroup_size: 256
    .name:           _ZL33csrmvn_symm_large_adaptive_kernelIii18rocsparse_bfloat16S0_ffEvbT_PKS1_N9rocsparse24const_host_device_scalarIT4_EES3_PKT0_PKT1_PKT2_S7_PT3_21rocsparse_index_base_b
    .private_segment_fixed_size: 0
    .sgpr_count:     44
    .sgpr_spill_count: 0
    .symbol:         _ZL33csrmvn_symm_large_adaptive_kernelIii18rocsparse_bfloat16S0_ffEvbT_PKS1_N9rocsparse24const_host_device_scalarIT4_EES3_PKT0_PKT1_PKT2_S7_PT3_21rocsparse_index_base_b.kd
    .uniform_work_group_size: 1
    .uses_dynamic_stack: false
    .vgpr_count:     13
    .vgpr_spill_count: 0
    .wavefront_size: 64
  - .agpr_count:     0
    .args:
      - .offset:         0
        .size:           1
        .value_kind:     by_value
      - .offset:         8
        .size:           8
        .value_kind:     by_value
      - .actual_access:  read_only
        .address_space:  global
        .offset:         16
        .size:           8
        .value_kind:     global_buffer
      - .address_space:  global
        .offset:         24
        .size:           8
        .value_kind:     global_buffer
      - .actual_access:  read_only
        .address_space:  global
        .offset:         32
        .size:           8
        .value_kind:     global_buffer
      - .offset:         40
        .size:           8
        .value_kind:     by_value
      - .actual_access:  read_only
        .address_space:  global
        .offset:         48
        .size:           8
        .value_kind:     global_buffer
      - .actual_access:  read_only
        .address_space:  global
        .offset:         56
        .size:           8
        .value_kind:     global_buffer
      - .actual_access:  read_only
        .address_space:  global
        .offset:         64
        .size:           8
        .value_kind:     global_buffer
      - .actual_access:  read_only
        .address_space:  global
        .offset:         72
        .size:           8
        .value_kind:     global_buffer
      - .offset:         80
        .size:           8
        .value_kind:     by_value
      - .address_space:  global
        .offset:         88
        .size:           8
        .value_kind:     global_buffer
      - .offset:         96
        .size:           4
        .value_kind:     by_value
      - .offset:         100
        .size:           1
        .value_kind:     by_value
    .group_segment_fixed_size: 4096
    .kernarg_segment_align: 8
    .kernarg_segment_size: 104
    .language:       OpenCL C
    .language_version:
      - 2
      - 0
    .max_flat_workgroup_size: 256
    .name:           _ZN9rocsparseL22csrmvn_adaptive_kernelIli18rocsparse_bfloat16S1_ffEEvbT_PKS2_PjPKT0_NS_24const_host_device_scalarIT4_EES4_S8_PKT1_PKT2_SB_PT3_21rocsparse_index_base_b
    .private_segment_fixed_size: 0
    .sgpr_count:     70
    .sgpr_spill_count: 0
    .symbol:         _ZN9rocsparseL22csrmvn_adaptive_kernelIli18rocsparse_bfloat16S1_ffEEvbT_PKS2_PjPKT0_NS_24const_host_device_scalarIT4_EES4_S8_PKT1_PKT2_SB_PT3_21rocsparse_index_base_b.kd
    .uniform_work_group_size: 1
    .uses_dynamic_stack: false
    .vgpr_count:     23
    .vgpr_spill_count: 0
    .wavefront_size: 64
  - .agpr_count:     0
    .args:
      - .offset:         0
        .size:           1
        .value_kind:     by_value
      - .offset:         8
        .size:           8
        .value_kind:     by_value
      - .offset:         16
        .size:           8
        .value_kind:     by_value
      - .actual_access:  read_only
        .address_space:  global
        .offset:         24
        .size:           8
        .value_kind:     global_buffer
      - .offset:         32
        .size:           8
        .value_kind:     by_value
      - .actual_access:  read_only
        .address_space:  global
        .offset:         40
        .size:           8
        .value_kind:     global_buffer
      - .actual_access:  read_only
        .address_space:  global
        .offset:         48
        .size:           8
        .value_kind:     global_buffer
      - .actual_access:  read_only
        .address_space:  global
        .offset:         56
        .size:           8
        .value_kind:     global_buffer
      - .actual_access:  read_only
        .address_space:  global
        .offset:         64
        .size:           8
        .value_kind:     global_buffer
      - .offset:         72
        .size:           8
        .value_kind:     by_value
      - .address_space:  global
        .offset:         80
        .size:           8
        .value_kind:     global_buffer
      - .offset:         88
        .size:           4
        .value_kind:     by_value
      - .offset:         92
        .size:           1
        .value_kind:     by_value
      - .offset:         96
        .size:           4
        .value_kind:     hidden_block_count_x
      - .offset:         100
        .size:           4
        .value_kind:     hidden_block_count_y
      - .offset:         104
        .size:           4
        .value_kind:     hidden_block_count_z
      - .offset:         108
        .size:           2
        .value_kind:     hidden_group_size_x
      - .offset:         110
        .size:           2
        .value_kind:     hidden_group_size_y
      - .offset:         112
        .size:           2
        .value_kind:     hidden_group_size_z
      - .offset:         114
        .size:           2
        .value_kind:     hidden_remainder_x
      - .offset:         116
        .size:           2
        .value_kind:     hidden_remainder_y
      - .offset:         118
        .size:           2
        .value_kind:     hidden_remainder_z
      - .offset:         136
        .size:           8
        .value_kind:     hidden_global_offset_x
      - .offset:         144
        .size:           8
        .value_kind:     hidden_global_offset_y
      - .offset:         152
        .size:           8
        .value_kind:     hidden_global_offset_z
      - .offset:         160
        .size:           2
        .value_kind:     hidden_grid_dims
      - .offset:         216
        .size:           4
        .value_kind:     hidden_dynamic_lds_size
    .group_segment_fixed_size: 4096
    .kernarg_segment_align: 8
    .kernarg_segment_size: 352
    .language:       OpenCL C
    .language_version:
      - 2
      - 0
    .max_flat_workgroup_size: 256
    .name:           _ZN9rocsparseL27csrmvn_symm_adaptive_kernelIli18rocsparse_bfloat16S1_ffEEvbT_S2_PKS2_NS_24const_host_device_scalarIT4_EES4_PKT0_PKT1_PKT2_S7_PT3_21rocsparse_index_base_b
    .private_segment_fixed_size: 0
    .sgpr_count:     58
    .sgpr_spill_count: 0
    .symbol:         _ZN9rocsparseL27csrmvn_symm_adaptive_kernelIli18rocsparse_bfloat16S1_ffEEvbT_S2_PKS2_NS_24const_host_device_scalarIT4_EES4_PKT0_PKT1_PKT2_S7_PT3_21rocsparse_index_base_b.kd
    .uniform_work_group_size: 1
    .uses_dynamic_stack: false
    .vgpr_count:     22
    .vgpr_spill_count: 0
    .wavefront_size: 64
  - .agpr_count:     0
    .args:
      - .offset:         0
        .size:           1
        .value_kind:     by_value
      - .offset:         8
        .size:           8
        .value_kind:     by_value
      - .actual_access:  read_only
        .address_space:  global
        .offset:         16
        .size:           8
        .value_kind:     global_buffer
      - .offset:         24
        .size:           8
        .value_kind:     by_value
      - .actual_access:  read_only
        .address_space:  global
        .offset:         32
        .size:           8
        .value_kind:     global_buffer
      - .actual_access:  read_only
        .address_space:  global
        .offset:         40
        .size:           8
        .value_kind:     global_buffer
      - .actual_access:  read_only
        .address_space:  global
        .offset:         48
        .size:           8
        .value_kind:     global_buffer
      - .actual_access:  read_only
        .address_space:  global
        .offset:         56
        .size:           8
        .value_kind:     global_buffer
      - .offset:         64
        .size:           8
        .value_kind:     by_value
      - .address_space:  global
        .offset:         72
        .size:           8
        .value_kind:     global_buffer
      - .offset:         80
        .size:           4
        .value_kind:     by_value
      - .offset:         84
        .size:           1
        .value_kind:     by_value
    .group_segment_fixed_size: 4096
    .kernarg_segment_align: 8
    .kernarg_segment_size: 88
    .language:       OpenCL C
    .language_version:
      - 2
      - 0
    .max_flat_workgroup_size: 256
    .name:           _ZL33csrmvn_symm_large_adaptive_kernelIli18rocsparse_bfloat16S0_ffEvbT_PKS1_N9rocsparse24const_host_device_scalarIT4_EES3_PKT0_PKT1_PKT2_S7_PT3_21rocsparse_index_base_b
    .private_segment_fixed_size: 0
    .sgpr_count:     50
    .sgpr_spill_count: 0
    .symbol:         _ZL33csrmvn_symm_large_adaptive_kernelIli18rocsparse_bfloat16S0_ffEvbT_PKS1_N9rocsparse24const_host_device_scalarIT4_EES3_PKT0_PKT1_PKT2_S7_PT3_21rocsparse_index_base_b.kd
    .uniform_work_group_size: 1
    .uses_dynamic_stack: false
    .vgpr_count:     17
    .vgpr_spill_count: 0
    .wavefront_size: 64
  - .agpr_count:     0
    .args:
      - .offset:         0
        .size:           1
        .value_kind:     by_value
      - .offset:         8
        .size:           8
        .value_kind:     by_value
      - .actual_access:  read_only
        .address_space:  global
        .offset:         16
        .size:           8
        .value_kind:     global_buffer
      - .address_space:  global
        .offset:         24
        .size:           8
        .value_kind:     global_buffer
      - .actual_access:  read_only
        .address_space:  global
        .offset:         32
        .size:           8
        .value_kind:     global_buffer
      - .offset:         40
        .size:           8
        .value_kind:     by_value
      - .actual_access:  read_only
        .address_space:  global
        .offset:         48
        .size:           8
        .value_kind:     global_buffer
      - .actual_access:  read_only
        .address_space:  global
        .offset:         56
        .size:           8
        .value_kind:     global_buffer
      - .actual_access:  read_only
        .address_space:  global
        .offset:         64
        .size:           8
        .value_kind:     global_buffer
      - .actual_access:  read_only
        .address_space:  global
        .offset:         72
        .size:           8
        .value_kind:     global_buffer
      - .offset:         80
        .size:           8
        .value_kind:     by_value
      - .address_space:  global
        .offset:         88
        .size:           8
        .value_kind:     global_buffer
      - .offset:         96
        .size:           4
        .value_kind:     by_value
      - .offset:         100
        .size:           1
        .value_kind:     by_value
    .group_segment_fixed_size: 4096
    .kernarg_segment_align: 8
    .kernarg_segment_size: 104
    .language:       OpenCL C
    .language_version:
      - 2
      - 0
    .max_flat_workgroup_size: 256
    .name:           _ZN9rocsparseL22csrmvn_adaptive_kernelIll18rocsparse_bfloat16S1_ffEEvbT_PKS2_PjPKT0_NS_24const_host_device_scalarIT4_EES4_S8_PKT1_PKT2_SB_PT3_21rocsparse_index_base_b
    .private_segment_fixed_size: 0
    .sgpr_count:     70
    .sgpr_spill_count: 0
    .symbol:         _ZN9rocsparseL22csrmvn_adaptive_kernelIll18rocsparse_bfloat16S1_ffEEvbT_PKS2_PjPKT0_NS_24const_host_device_scalarIT4_EES4_S8_PKT1_PKT2_SB_PT3_21rocsparse_index_base_b.kd
    .uniform_work_group_size: 1
    .uses_dynamic_stack: false
    .vgpr_count:     19
    .vgpr_spill_count: 0
    .wavefront_size: 64
  - .agpr_count:     0
    .args:
      - .offset:         0
        .size:           1
        .value_kind:     by_value
      - .offset:         8
        .size:           8
        .value_kind:     by_value
      - .offset:         16
        .size:           8
        .value_kind:     by_value
      - .actual_access:  read_only
        .address_space:  global
        .offset:         24
        .size:           8
        .value_kind:     global_buffer
      - .offset:         32
        .size:           8
        .value_kind:     by_value
      - .actual_access:  read_only
        .address_space:  global
        .offset:         40
        .size:           8
        .value_kind:     global_buffer
      - .actual_access:  read_only
        .address_space:  global
        .offset:         48
        .size:           8
        .value_kind:     global_buffer
      - .actual_access:  read_only
        .address_space:  global
        .offset:         56
        .size:           8
        .value_kind:     global_buffer
      - .actual_access:  read_only
        .address_space:  global
        .offset:         64
        .size:           8
        .value_kind:     global_buffer
      - .offset:         72
        .size:           8
        .value_kind:     by_value
      - .address_space:  global
        .offset:         80
        .size:           8
        .value_kind:     global_buffer
      - .offset:         88
        .size:           4
        .value_kind:     by_value
      - .offset:         92
        .size:           1
        .value_kind:     by_value
      - .offset:         96
        .size:           4
        .value_kind:     hidden_block_count_x
      - .offset:         100
        .size:           4
        .value_kind:     hidden_block_count_y
      - .offset:         104
        .size:           4
        .value_kind:     hidden_block_count_z
      - .offset:         108
        .size:           2
        .value_kind:     hidden_group_size_x
      - .offset:         110
        .size:           2
        .value_kind:     hidden_group_size_y
      - .offset:         112
        .size:           2
        .value_kind:     hidden_group_size_z
      - .offset:         114
        .size:           2
        .value_kind:     hidden_remainder_x
      - .offset:         116
        .size:           2
        .value_kind:     hidden_remainder_y
      - .offset:         118
        .size:           2
        .value_kind:     hidden_remainder_z
      - .offset:         136
        .size:           8
        .value_kind:     hidden_global_offset_x
      - .offset:         144
        .size:           8
        .value_kind:     hidden_global_offset_y
      - .offset:         152
        .size:           8
        .value_kind:     hidden_global_offset_z
      - .offset:         160
        .size:           2
        .value_kind:     hidden_grid_dims
      - .offset:         216
        .size:           4
        .value_kind:     hidden_dynamic_lds_size
    .group_segment_fixed_size: 4096
    .kernarg_segment_align: 8
    .kernarg_segment_size: 352
    .language:       OpenCL C
    .language_version:
      - 2
      - 0
    .max_flat_workgroup_size: 256
    .name:           _ZN9rocsparseL27csrmvn_symm_adaptive_kernelIll18rocsparse_bfloat16S1_ffEEvbT_S2_PKS2_NS_24const_host_device_scalarIT4_EES4_PKT0_PKT1_PKT2_S7_PT3_21rocsparse_index_base_b
    .private_segment_fixed_size: 0
    .sgpr_count:     58
    .sgpr_spill_count: 0
    .symbol:         _ZN9rocsparseL27csrmvn_symm_adaptive_kernelIll18rocsparse_bfloat16S1_ffEEvbT_S2_PKS2_NS_24const_host_device_scalarIT4_EES4_PKT0_PKT1_PKT2_S7_PT3_21rocsparse_index_base_b.kd
    .uniform_work_group_size: 1
    .uses_dynamic_stack: false
    .vgpr_count:     22
    .vgpr_spill_count: 0
    .wavefront_size: 64
  - .agpr_count:     0
    .args:
      - .offset:         0
        .size:           1
        .value_kind:     by_value
      - .offset:         8
        .size:           8
        .value_kind:     by_value
      - .actual_access:  read_only
        .address_space:  global
        .offset:         16
        .size:           8
        .value_kind:     global_buffer
      - .offset:         24
        .size:           8
        .value_kind:     by_value
      - .actual_access:  read_only
        .address_space:  global
        .offset:         32
        .size:           8
        .value_kind:     global_buffer
      - .actual_access:  read_only
        .address_space:  global
        .offset:         40
        .size:           8
        .value_kind:     global_buffer
      - .actual_access:  read_only
        .address_space:  global
        .offset:         48
        .size:           8
        .value_kind:     global_buffer
      - .actual_access:  read_only
        .address_space:  global
        .offset:         56
        .size:           8
        .value_kind:     global_buffer
      - .offset:         64
        .size:           8
        .value_kind:     by_value
      - .address_space:  global
        .offset:         72
        .size:           8
        .value_kind:     global_buffer
      - .offset:         80
        .size:           4
        .value_kind:     by_value
      - .offset:         84
        .size:           1
        .value_kind:     by_value
    .group_segment_fixed_size: 4096
    .kernarg_segment_align: 8
    .kernarg_segment_size: 88
    .language:       OpenCL C
    .language_version:
      - 2
      - 0
    .max_flat_workgroup_size: 256
    .name:           _ZL33csrmvn_symm_large_adaptive_kernelIll18rocsparse_bfloat16S0_ffEvbT_PKS1_N9rocsparse24const_host_device_scalarIT4_EES3_PKT0_PKT1_PKT2_S7_PT3_21rocsparse_index_base_b
    .private_segment_fixed_size: 0
    .sgpr_count:     50
    .sgpr_spill_count: 0
    .symbol:         _ZL33csrmvn_symm_large_adaptive_kernelIll18rocsparse_bfloat16S0_ffEvbT_PKS1_N9rocsparse24const_host_device_scalarIT4_EES3_PKT0_PKT1_PKT2_S7_PT3_21rocsparse_index_base_b.kd
    .uniform_work_group_size: 1
    .uses_dynamic_stack: false
    .vgpr_count:     16
    .vgpr_spill_count: 0
    .wavefront_size: 64
  - .agpr_count:     0
    .args:
      - .offset:         0
        .size:           1
        .value_kind:     by_value
      - .offset:         4
        .size:           4
        .value_kind:     by_value
      - .actual_access:  read_only
        .address_space:  global
        .offset:         8
        .size:           8
        .value_kind:     global_buffer
      - .address_space:  global
        .offset:         16
        .size:           8
        .value_kind:     global_buffer
      - .actual_access:  read_only
        .address_space:  global
        .offset:         24
        .size:           8
        .value_kind:     global_buffer
      - .offset:         32
        .size:           8
        .value_kind:     by_value
      - .actual_access:  read_only
        .address_space:  global
        .offset:         40
        .size:           8
        .value_kind:     global_buffer
      - .actual_access:  read_only
        .address_space:  global
        .offset:         48
        .size:           8
        .value_kind:     global_buffer
      - .actual_access:  read_only
        .address_space:  global
        .offset:         56
        .size:           8
        .value_kind:     global_buffer
      - .actual_access:  read_only
        .address_space:  global
        .offset:         64
        .size:           8
        .value_kind:     global_buffer
      - .offset:         72
        .size:           8
        .value_kind:     by_value
      - .address_space:  global
        .offset:         80
        .size:           8
        .value_kind:     global_buffer
      - .offset:         88
        .size:           4
        .value_kind:     by_value
      - .offset:         92
        .size:           1
        .value_kind:     by_value
    .group_segment_fixed_size: 8192
    .kernarg_segment_align: 8
    .kernarg_segment_size: 96
    .language:       OpenCL C
    .language_version:
      - 2
      - 0
    .max_flat_workgroup_size: 256
    .name:           _ZN9rocsparseL22csrmvn_adaptive_kernelIiif21rocsparse_complex_numIfES2_S2_EEvbT_PKS3_PjPKT0_NS_24const_host_device_scalarIT4_EES5_S9_PKT1_PKT2_SC_PT3_21rocsparse_index_base_b
    .private_segment_fixed_size: 0
    .sgpr_count:     60
    .sgpr_spill_count: 0
    .symbol:         _ZN9rocsparseL22csrmvn_adaptive_kernelIiif21rocsparse_complex_numIfES2_S2_EEvbT_PKS3_PjPKT0_NS_24const_host_device_scalarIT4_EES5_S9_PKT1_PKT2_SC_PT3_21rocsparse_index_base_b.kd
    .uniform_work_group_size: 1
    .uses_dynamic_stack: false
    .vgpr_count:     32
    .vgpr_spill_count: 0
    .wavefront_size: 64
  - .agpr_count:     0
    .args:
      - .offset:         0
        .size:           1
        .value_kind:     by_value
      - .offset:         4
        .size:           4
        .value_kind:     by_value
      - .offset:         8
        .size:           4
        .value_kind:     by_value
      - .actual_access:  read_only
        .address_space:  global
        .offset:         16
        .size:           8
        .value_kind:     global_buffer
      - .offset:         24
        .size:           8
        .value_kind:     by_value
      - .actual_access:  read_only
        .address_space:  global
        .offset:         32
        .size:           8
        .value_kind:     global_buffer
      - .actual_access:  read_only
        .address_space:  global
        .offset:         40
        .size:           8
        .value_kind:     global_buffer
      - .actual_access:  read_only
        .address_space:  global
        .offset:         48
        .size:           8
        .value_kind:     global_buffer
      - .actual_access:  read_only
        .address_space:  global
        .offset:         56
        .size:           8
        .value_kind:     global_buffer
      - .offset:         64
        .size:           8
        .value_kind:     by_value
      - .address_space:  global
        .offset:         72
        .size:           8
        .value_kind:     global_buffer
      - .offset:         80
        .size:           4
        .value_kind:     by_value
      - .offset:         84
        .size:           1
        .value_kind:     by_value
      - .offset:         88
        .size:           4
        .value_kind:     hidden_block_count_x
      - .offset:         92
        .size:           4
        .value_kind:     hidden_block_count_y
      - .offset:         96
        .size:           4
        .value_kind:     hidden_block_count_z
      - .offset:         100
        .size:           2
        .value_kind:     hidden_group_size_x
      - .offset:         102
        .size:           2
        .value_kind:     hidden_group_size_y
      - .offset:         104
        .size:           2
        .value_kind:     hidden_group_size_z
      - .offset:         106
        .size:           2
        .value_kind:     hidden_remainder_x
      - .offset:         108
        .size:           2
        .value_kind:     hidden_remainder_y
      - .offset:         110
        .size:           2
        .value_kind:     hidden_remainder_z
      - .offset:         128
        .size:           8
        .value_kind:     hidden_global_offset_x
      - .offset:         136
        .size:           8
        .value_kind:     hidden_global_offset_y
      - .offset:         144
        .size:           8
        .value_kind:     hidden_global_offset_z
      - .offset:         152
        .size:           2
        .value_kind:     hidden_grid_dims
      - .offset:         208
        .size:           4
        .value_kind:     hidden_dynamic_lds_size
    .group_segment_fixed_size: 8192
    .kernarg_segment_align: 8
    .kernarg_segment_size: 344
    .language:       OpenCL C
    .language_version:
      - 2
      - 0
    .max_flat_workgroup_size: 256
    .name:           _ZN9rocsparseL27csrmvn_symm_adaptive_kernelIiif21rocsparse_complex_numIfES2_S2_EEvbT_S3_PKS3_NS_24const_host_device_scalarIT4_EES5_PKT0_PKT1_PKT2_S8_PT3_21rocsparse_index_base_b
    .private_segment_fixed_size: 0
    .sgpr_count:     45
    .sgpr_spill_count: 0
    .symbol:         _ZN9rocsparseL27csrmvn_symm_adaptive_kernelIiif21rocsparse_complex_numIfES2_S2_EEvbT_S3_PKS3_NS_24const_host_device_scalarIT4_EES5_PKT0_PKT1_PKT2_S8_PT3_21rocsparse_index_base_b.kd
    .uniform_work_group_size: 1
    .uses_dynamic_stack: false
    .vgpr_count:     28
    .vgpr_spill_count: 0
    .wavefront_size: 64
  - .agpr_count:     0
    .args:
      - .offset:         0
        .size:           1
        .value_kind:     by_value
      - .offset:         4
        .size:           4
        .value_kind:     by_value
      - .actual_access:  read_only
        .address_space:  global
        .offset:         8
        .size:           8
        .value_kind:     global_buffer
      - .offset:         16
        .size:           8
        .value_kind:     by_value
      - .actual_access:  read_only
        .address_space:  global
        .offset:         24
        .size:           8
        .value_kind:     global_buffer
      - .actual_access:  read_only
        .address_space:  global
        .offset:         32
        .size:           8
        .value_kind:     global_buffer
      - .actual_access:  read_only
        .address_space:  global
        .offset:         40
        .size:           8
        .value_kind:     global_buffer
      - .actual_access:  read_only
        .address_space:  global
        .offset:         48
        .size:           8
        .value_kind:     global_buffer
      - .offset:         56
        .size:           8
        .value_kind:     by_value
      - .address_space:  global
        .offset:         64
        .size:           8
        .value_kind:     global_buffer
      - .offset:         72
        .size:           4
        .value_kind:     by_value
      - .offset:         76
        .size:           1
        .value_kind:     by_value
    .group_segment_fixed_size: 8192
    .kernarg_segment_align: 8
    .kernarg_segment_size: 80
    .language:       OpenCL C
    .language_version:
      - 2
      - 0
    .max_flat_workgroup_size: 256
    .name:           _ZL33csrmvn_symm_large_adaptive_kernelIiif21rocsparse_complex_numIfES1_S1_EvbT_PKS2_N9rocsparse24const_host_device_scalarIT4_EES4_PKT0_PKT1_PKT2_S8_PT3_21rocsparse_index_base_b
    .private_segment_fixed_size: 0
    .sgpr_count:     38
    .sgpr_spill_count: 0
    .symbol:         _ZL33csrmvn_symm_large_adaptive_kernelIiif21rocsparse_complex_numIfES1_S1_EvbT_PKS2_N9rocsparse24const_host_device_scalarIT4_EES4_PKT0_PKT1_PKT2_S8_PT3_21rocsparse_index_base_b.kd
    .uniform_work_group_size: 1
    .uses_dynamic_stack: false
    .vgpr_count:     18
    .vgpr_spill_count: 0
    .wavefront_size: 64
  - .agpr_count:     0
    .args:
      - .offset:         0
        .size:           1
        .value_kind:     by_value
      - .offset:         8
        .size:           8
        .value_kind:     by_value
      - .actual_access:  read_only
        .address_space:  global
        .offset:         16
        .size:           8
        .value_kind:     global_buffer
      - .address_space:  global
        .offset:         24
        .size:           8
        .value_kind:     global_buffer
      - .actual_access:  read_only
        .address_space:  global
        .offset:         32
        .size:           8
        .value_kind:     global_buffer
      - .offset:         40
        .size:           8
        .value_kind:     by_value
      - .actual_access:  read_only
        .address_space:  global
        .offset:         48
        .size:           8
        .value_kind:     global_buffer
      - .actual_access:  read_only
        .address_space:  global
        .offset:         56
        .size:           8
        .value_kind:     global_buffer
      - .actual_access:  read_only
        .address_space:  global
        .offset:         64
        .size:           8
        .value_kind:     global_buffer
      - .actual_access:  read_only
        .address_space:  global
        .offset:         72
        .size:           8
        .value_kind:     global_buffer
      - .offset:         80
        .size:           8
        .value_kind:     by_value
      - .address_space:  global
        .offset:         88
        .size:           8
        .value_kind:     global_buffer
      - .offset:         96
        .size:           4
        .value_kind:     by_value
      - .offset:         100
        .size:           1
        .value_kind:     by_value
    .group_segment_fixed_size: 8192
    .kernarg_segment_align: 8
    .kernarg_segment_size: 104
    .language:       OpenCL C
    .language_version:
      - 2
      - 0
    .max_flat_workgroup_size: 256
    .name:           _ZN9rocsparseL22csrmvn_adaptive_kernelIlif21rocsparse_complex_numIfES2_S2_EEvbT_PKS3_PjPKT0_NS_24const_host_device_scalarIT4_EES5_S9_PKT1_PKT2_SC_PT3_21rocsparse_index_base_b
    .private_segment_fixed_size: 0
    .sgpr_count:     74
    .sgpr_spill_count: 0
    .symbol:         _ZN9rocsparseL22csrmvn_adaptive_kernelIlif21rocsparse_complex_numIfES2_S2_EEvbT_PKS3_PjPKT0_NS_24const_host_device_scalarIT4_EES5_S9_PKT1_PKT2_SC_PT3_21rocsparse_index_base_b.kd
    .uniform_work_group_size: 1
    .uses_dynamic_stack: false
    .vgpr_count:     39
    .vgpr_spill_count: 0
    .wavefront_size: 64
  - .agpr_count:     0
    .args:
      - .offset:         0
        .size:           1
        .value_kind:     by_value
      - .offset:         8
        .size:           8
        .value_kind:     by_value
      - .offset:         16
        .size:           8
        .value_kind:     by_value
      - .actual_access:  read_only
        .address_space:  global
        .offset:         24
        .size:           8
        .value_kind:     global_buffer
      - .offset:         32
        .size:           8
        .value_kind:     by_value
      - .actual_access:  read_only
        .address_space:  global
        .offset:         40
        .size:           8
        .value_kind:     global_buffer
      - .actual_access:  read_only
        .address_space:  global
        .offset:         48
        .size:           8
        .value_kind:     global_buffer
      - .actual_access:  read_only
        .address_space:  global
        .offset:         56
        .size:           8
        .value_kind:     global_buffer
      - .actual_access:  read_only
        .address_space:  global
        .offset:         64
        .size:           8
        .value_kind:     global_buffer
      - .offset:         72
        .size:           8
        .value_kind:     by_value
      - .address_space:  global
        .offset:         80
        .size:           8
        .value_kind:     global_buffer
      - .offset:         88
        .size:           4
        .value_kind:     by_value
      - .offset:         92
        .size:           1
        .value_kind:     by_value
      - .offset:         96
        .size:           4
        .value_kind:     hidden_block_count_x
      - .offset:         100
        .size:           4
        .value_kind:     hidden_block_count_y
      - .offset:         104
        .size:           4
        .value_kind:     hidden_block_count_z
      - .offset:         108
        .size:           2
        .value_kind:     hidden_group_size_x
      - .offset:         110
        .size:           2
        .value_kind:     hidden_group_size_y
      - .offset:         112
        .size:           2
        .value_kind:     hidden_group_size_z
      - .offset:         114
        .size:           2
        .value_kind:     hidden_remainder_x
      - .offset:         116
        .size:           2
        .value_kind:     hidden_remainder_y
      - .offset:         118
        .size:           2
        .value_kind:     hidden_remainder_z
      - .offset:         136
        .size:           8
        .value_kind:     hidden_global_offset_x
      - .offset:         144
        .size:           8
        .value_kind:     hidden_global_offset_y
      - .offset:         152
        .size:           8
        .value_kind:     hidden_global_offset_z
      - .offset:         160
        .size:           2
        .value_kind:     hidden_grid_dims
      - .offset:         216
        .size:           4
        .value_kind:     hidden_dynamic_lds_size
    .group_segment_fixed_size: 8192
    .kernarg_segment_align: 8
    .kernarg_segment_size: 352
    .language:       OpenCL C
    .language_version:
      - 2
      - 0
    .max_flat_workgroup_size: 256
    .name:           _ZN9rocsparseL27csrmvn_symm_adaptive_kernelIlif21rocsparse_complex_numIfES2_S2_EEvbT_S3_PKS3_NS_24const_host_device_scalarIT4_EES5_PKT0_PKT1_PKT2_S8_PT3_21rocsparse_index_base_b
    .private_segment_fixed_size: 0
    .sgpr_count:     58
    .sgpr_spill_count: 0
    .symbol:         _ZN9rocsparseL27csrmvn_symm_adaptive_kernelIlif21rocsparse_complex_numIfES2_S2_EEvbT_S3_PKS3_NS_24const_host_device_scalarIT4_EES5_PKT0_PKT1_PKT2_S8_PT3_21rocsparse_index_base_b.kd
    .uniform_work_group_size: 1
    .uses_dynamic_stack: false
    .vgpr_count:     35
    .vgpr_spill_count: 0
    .wavefront_size: 64
  - .agpr_count:     0
    .args:
      - .offset:         0
        .size:           1
        .value_kind:     by_value
      - .offset:         8
        .size:           8
        .value_kind:     by_value
      - .actual_access:  read_only
        .address_space:  global
        .offset:         16
        .size:           8
        .value_kind:     global_buffer
      - .offset:         24
        .size:           8
        .value_kind:     by_value
      - .actual_access:  read_only
        .address_space:  global
        .offset:         32
        .size:           8
        .value_kind:     global_buffer
      - .actual_access:  read_only
        .address_space:  global
        .offset:         40
        .size:           8
        .value_kind:     global_buffer
      - .actual_access:  read_only
        .address_space:  global
        .offset:         48
        .size:           8
        .value_kind:     global_buffer
      - .actual_access:  read_only
        .address_space:  global
        .offset:         56
        .size:           8
        .value_kind:     global_buffer
      - .offset:         64
        .size:           8
        .value_kind:     by_value
      - .address_space:  global
        .offset:         72
        .size:           8
        .value_kind:     global_buffer
      - .offset:         80
        .size:           4
        .value_kind:     by_value
      - .offset:         84
        .size:           1
        .value_kind:     by_value
    .group_segment_fixed_size: 8192
    .kernarg_segment_align: 8
    .kernarg_segment_size: 88
    .language:       OpenCL C
    .language_version:
      - 2
      - 0
    .max_flat_workgroup_size: 256
    .name:           _ZL33csrmvn_symm_large_adaptive_kernelIlif21rocsparse_complex_numIfES1_S1_EvbT_PKS2_N9rocsparse24const_host_device_scalarIT4_EES4_PKT0_PKT1_PKT2_S8_PT3_21rocsparse_index_base_b
    .private_segment_fixed_size: 0
    .sgpr_count:     50
    .sgpr_spill_count: 0
    .symbol:         _ZL33csrmvn_symm_large_adaptive_kernelIlif21rocsparse_complex_numIfES1_S1_EvbT_PKS2_N9rocsparse24const_host_device_scalarIT4_EES4_PKT0_PKT1_PKT2_S8_PT3_21rocsparse_index_base_b.kd
    .uniform_work_group_size: 1
    .uses_dynamic_stack: false
    .vgpr_count:     22
    .vgpr_spill_count: 0
    .wavefront_size: 64
  - .agpr_count:     0
    .args:
      - .offset:         0
        .size:           1
        .value_kind:     by_value
      - .offset:         8
        .size:           8
        .value_kind:     by_value
      - .actual_access:  read_only
        .address_space:  global
        .offset:         16
        .size:           8
        .value_kind:     global_buffer
      - .address_space:  global
        .offset:         24
        .size:           8
        .value_kind:     global_buffer
      - .actual_access:  read_only
        .address_space:  global
        .offset:         32
        .size:           8
        .value_kind:     global_buffer
      - .offset:         40
        .size:           8
        .value_kind:     by_value
      - .actual_access:  read_only
        .address_space:  global
        .offset:         48
        .size:           8
        .value_kind:     global_buffer
      - .actual_access:  read_only
        .address_space:  global
        .offset:         56
        .size:           8
        .value_kind:     global_buffer
      - .actual_access:  read_only
        .address_space:  global
        .offset:         64
        .size:           8
        .value_kind:     global_buffer
      - .actual_access:  read_only
        .address_space:  global
        .offset:         72
        .size:           8
        .value_kind:     global_buffer
      - .offset:         80
        .size:           8
        .value_kind:     by_value
      - .address_space:  global
        .offset:         88
        .size:           8
        .value_kind:     global_buffer
      - .offset:         96
        .size:           4
        .value_kind:     by_value
      - .offset:         100
        .size:           1
        .value_kind:     by_value
    .group_segment_fixed_size: 8192
    .kernarg_segment_align: 8
    .kernarg_segment_size: 104
    .language:       OpenCL C
    .language_version:
      - 2
      - 0
    .max_flat_workgroup_size: 256
    .name:           _ZN9rocsparseL22csrmvn_adaptive_kernelIllf21rocsparse_complex_numIfES2_S2_EEvbT_PKS3_PjPKT0_NS_24const_host_device_scalarIT4_EES5_S9_PKT1_PKT2_SC_PT3_21rocsparse_index_base_b
    .private_segment_fixed_size: 0
    .sgpr_count:     72
    .sgpr_spill_count: 0
    .symbol:         _ZN9rocsparseL22csrmvn_adaptive_kernelIllf21rocsparse_complex_numIfES2_S2_EEvbT_PKS3_PjPKT0_NS_24const_host_device_scalarIT4_EES5_S9_PKT1_PKT2_SC_PT3_21rocsparse_index_base_b.kd
    .uniform_work_group_size: 1
    .uses_dynamic_stack: false
    .vgpr_count:     30
    .vgpr_spill_count: 0
    .wavefront_size: 64
  - .agpr_count:     0
    .args:
      - .offset:         0
        .size:           1
        .value_kind:     by_value
      - .offset:         8
        .size:           8
        .value_kind:     by_value
      - .offset:         16
        .size:           8
        .value_kind:     by_value
      - .actual_access:  read_only
        .address_space:  global
        .offset:         24
        .size:           8
        .value_kind:     global_buffer
      - .offset:         32
        .size:           8
        .value_kind:     by_value
      - .actual_access:  read_only
        .address_space:  global
        .offset:         40
        .size:           8
        .value_kind:     global_buffer
      - .actual_access:  read_only
        .address_space:  global
        .offset:         48
        .size:           8
        .value_kind:     global_buffer
      - .actual_access:  read_only
        .address_space:  global
        .offset:         56
        .size:           8
        .value_kind:     global_buffer
      - .actual_access:  read_only
        .address_space:  global
        .offset:         64
        .size:           8
        .value_kind:     global_buffer
      - .offset:         72
        .size:           8
        .value_kind:     by_value
      - .address_space:  global
        .offset:         80
        .size:           8
        .value_kind:     global_buffer
      - .offset:         88
        .size:           4
        .value_kind:     by_value
      - .offset:         92
        .size:           1
        .value_kind:     by_value
      - .offset:         96
        .size:           4
        .value_kind:     hidden_block_count_x
      - .offset:         100
        .size:           4
        .value_kind:     hidden_block_count_y
      - .offset:         104
        .size:           4
        .value_kind:     hidden_block_count_z
      - .offset:         108
        .size:           2
        .value_kind:     hidden_group_size_x
      - .offset:         110
        .size:           2
        .value_kind:     hidden_group_size_y
      - .offset:         112
        .size:           2
        .value_kind:     hidden_group_size_z
      - .offset:         114
        .size:           2
        .value_kind:     hidden_remainder_x
      - .offset:         116
        .size:           2
        .value_kind:     hidden_remainder_y
      - .offset:         118
        .size:           2
        .value_kind:     hidden_remainder_z
      - .offset:         136
        .size:           8
        .value_kind:     hidden_global_offset_x
      - .offset:         144
        .size:           8
        .value_kind:     hidden_global_offset_y
      - .offset:         152
        .size:           8
        .value_kind:     hidden_global_offset_z
      - .offset:         160
        .size:           2
        .value_kind:     hidden_grid_dims
      - .offset:         216
        .size:           4
        .value_kind:     hidden_dynamic_lds_size
    .group_segment_fixed_size: 8192
    .kernarg_segment_align: 8
    .kernarg_segment_size: 352
    .language:       OpenCL C
    .language_version:
      - 2
      - 0
    .max_flat_workgroup_size: 256
    .name:           _ZN9rocsparseL27csrmvn_symm_adaptive_kernelIllf21rocsparse_complex_numIfES2_S2_EEvbT_S3_PKS3_NS_24const_host_device_scalarIT4_EES5_PKT0_PKT1_PKT2_S8_PT3_21rocsparse_index_base_b
    .private_segment_fixed_size: 0
    .sgpr_count:     58
    .sgpr_spill_count: 0
    .symbol:         _ZN9rocsparseL27csrmvn_symm_adaptive_kernelIllf21rocsparse_complex_numIfES2_S2_EEvbT_S3_PKS3_NS_24const_host_device_scalarIT4_EES5_PKT0_PKT1_PKT2_S8_PT3_21rocsparse_index_base_b.kd
    .uniform_work_group_size: 1
    .uses_dynamic_stack: false
    .vgpr_count:     35
    .vgpr_spill_count: 0
    .wavefront_size: 64
  - .agpr_count:     0
    .args:
      - .offset:         0
        .size:           1
        .value_kind:     by_value
      - .offset:         8
        .size:           8
        .value_kind:     by_value
      - .actual_access:  read_only
        .address_space:  global
        .offset:         16
        .size:           8
        .value_kind:     global_buffer
      - .offset:         24
        .size:           8
        .value_kind:     by_value
      - .actual_access:  read_only
        .address_space:  global
        .offset:         32
        .size:           8
        .value_kind:     global_buffer
      - .actual_access:  read_only
        .address_space:  global
        .offset:         40
        .size:           8
        .value_kind:     global_buffer
      - .actual_access:  read_only
        .address_space:  global
        .offset:         48
        .size:           8
        .value_kind:     global_buffer
      - .actual_access:  read_only
        .address_space:  global
        .offset:         56
        .size:           8
        .value_kind:     global_buffer
      - .offset:         64
        .size:           8
        .value_kind:     by_value
      - .address_space:  global
        .offset:         72
        .size:           8
        .value_kind:     global_buffer
      - .offset:         80
        .size:           4
        .value_kind:     by_value
      - .offset:         84
        .size:           1
        .value_kind:     by_value
    .group_segment_fixed_size: 8192
    .kernarg_segment_align: 8
    .kernarg_segment_size: 88
    .language:       OpenCL C
    .language_version:
      - 2
      - 0
    .max_flat_workgroup_size: 256
    .name:           _ZL33csrmvn_symm_large_adaptive_kernelIllf21rocsparse_complex_numIfES1_S1_EvbT_PKS2_N9rocsparse24const_host_device_scalarIT4_EES4_PKT0_PKT1_PKT2_S8_PT3_21rocsparse_index_base_b
    .private_segment_fixed_size: 0
    .sgpr_count:     54
    .sgpr_spill_count: 0
    .symbol:         _ZL33csrmvn_symm_large_adaptive_kernelIllf21rocsparse_complex_numIfES1_S1_EvbT_PKS2_N9rocsparse24const_host_device_scalarIT4_EES4_PKT0_PKT1_PKT2_S8_PT3_21rocsparse_index_base_b.kd
    .uniform_work_group_size: 1
    .uses_dynamic_stack: false
    .vgpr_count:     22
    .vgpr_spill_count: 0
    .wavefront_size: 64
  - .agpr_count:     0
    .args:
      - .offset:         0
        .size:           1
        .value_kind:     by_value
      - .offset:         4
        .size:           4
        .value_kind:     by_value
      - .actual_access:  read_only
        .address_space:  global
        .offset:         8
        .size:           8
        .value_kind:     global_buffer
      - .address_space:  global
        .offset:         16
        .size:           8
        .value_kind:     global_buffer
      - .actual_access:  read_only
        .address_space:  global
        .offset:         24
        .size:           8
        .value_kind:     global_buffer
      - .offset:         32
        .size:           8
        .value_kind:     by_value
      - .actual_access:  read_only
        .address_space:  global
        .offset:         40
        .size:           8
        .value_kind:     global_buffer
      - .actual_access:  read_only
        .address_space:  global
        .offset:         48
        .size:           8
        .value_kind:     global_buffer
      - .actual_access:  read_only
        .address_space:  global
        .offset:         56
        .size:           8
        .value_kind:     global_buffer
      - .actual_access:  read_only
        .address_space:  global
        .offset:         64
        .size:           8
        .value_kind:     global_buffer
      - .offset:         72
        .size:           8
        .value_kind:     by_value
      - .address_space:  global
        .offset:         80
        .size:           8
        .value_kind:     global_buffer
      - .offset:         88
        .size:           4
        .value_kind:     by_value
      - .offset:         92
        .size:           1
        .value_kind:     by_value
    .group_segment_fixed_size: 8192
    .kernarg_segment_align: 8
    .kernarg_segment_size: 96
    .language:       OpenCL C
    .language_version:
      - 2
      - 0
    .max_flat_workgroup_size: 256
    .name:           _ZN9rocsparseL22csrmvn_adaptive_kernelIiifdddEEvbT_PKS1_PjPKT0_NS_24const_host_device_scalarIT4_EES3_S7_PKT1_PKT2_SA_PT3_21rocsparse_index_base_b
    .private_segment_fixed_size: 0
    .sgpr_count:     58
    .sgpr_spill_count: 0
    .symbol:         _ZN9rocsparseL22csrmvn_adaptive_kernelIiifdddEEvbT_PKS1_PjPKT0_NS_24const_host_device_scalarIT4_EES3_S7_PKT1_PKT2_SA_PT3_21rocsparse_index_base_b.kd
    .uniform_work_group_size: 1
    .uses_dynamic_stack: false
    .vgpr_count:     28
    .vgpr_spill_count: 0
    .wavefront_size: 64
  - .agpr_count:     0
    .args:
      - .offset:         0
        .size:           1
        .value_kind:     by_value
      - .offset:         4
        .size:           4
        .value_kind:     by_value
      - .offset:         8
        .size:           4
        .value_kind:     by_value
      - .actual_access:  read_only
        .address_space:  global
        .offset:         16
        .size:           8
        .value_kind:     global_buffer
      - .offset:         24
        .size:           8
        .value_kind:     by_value
      - .actual_access:  read_only
        .address_space:  global
        .offset:         32
        .size:           8
        .value_kind:     global_buffer
      - .actual_access:  read_only
        .address_space:  global
        .offset:         40
        .size:           8
        .value_kind:     global_buffer
      - .actual_access:  read_only
        .address_space:  global
        .offset:         48
        .size:           8
        .value_kind:     global_buffer
      - .actual_access:  read_only
        .address_space:  global
        .offset:         56
        .size:           8
        .value_kind:     global_buffer
      - .offset:         64
        .size:           8
        .value_kind:     by_value
      - .address_space:  global
        .offset:         72
        .size:           8
        .value_kind:     global_buffer
      - .offset:         80
        .size:           4
        .value_kind:     by_value
      - .offset:         84
        .size:           1
        .value_kind:     by_value
      - .offset:         88
        .size:           4
        .value_kind:     hidden_block_count_x
      - .offset:         92
        .size:           4
        .value_kind:     hidden_block_count_y
      - .offset:         96
        .size:           4
        .value_kind:     hidden_block_count_z
      - .offset:         100
        .size:           2
        .value_kind:     hidden_group_size_x
      - .offset:         102
        .size:           2
        .value_kind:     hidden_group_size_y
      - .offset:         104
        .size:           2
        .value_kind:     hidden_group_size_z
      - .offset:         106
        .size:           2
        .value_kind:     hidden_remainder_x
      - .offset:         108
        .size:           2
        .value_kind:     hidden_remainder_y
      - .offset:         110
        .size:           2
        .value_kind:     hidden_remainder_z
      - .offset:         128
        .size:           8
        .value_kind:     hidden_global_offset_x
      - .offset:         136
        .size:           8
        .value_kind:     hidden_global_offset_y
      - .offset:         144
        .size:           8
        .value_kind:     hidden_global_offset_z
      - .offset:         152
        .size:           2
        .value_kind:     hidden_grid_dims
      - .offset:         208
        .size:           4
        .value_kind:     hidden_dynamic_lds_size
    .group_segment_fixed_size: 8192
    .kernarg_segment_align: 8
    .kernarg_segment_size: 344
    .language:       OpenCL C
    .language_version:
      - 2
      - 0
    .max_flat_workgroup_size: 256
    .name:           _ZN9rocsparseL27csrmvn_symm_adaptive_kernelIiifdddEEvbT_S1_PKS1_NS_24const_host_device_scalarIT4_EES3_PKT0_PKT1_PKT2_S6_PT3_21rocsparse_index_base_b
    .private_segment_fixed_size: 0
    .sgpr_count:     44
    .sgpr_spill_count: 0
    .symbol:         _ZN9rocsparseL27csrmvn_symm_adaptive_kernelIiifdddEEvbT_S1_PKS1_NS_24const_host_device_scalarIT4_EES3_PKT0_PKT1_PKT2_S6_PT3_21rocsparse_index_base_b.kd
    .uniform_work_group_size: 1
    .uses_dynamic_stack: false
    .vgpr_count:     18
    .vgpr_spill_count: 0
    .wavefront_size: 64
  - .agpr_count:     0
    .args:
      - .offset:         0
        .size:           1
        .value_kind:     by_value
      - .offset:         4
        .size:           4
        .value_kind:     by_value
      - .actual_access:  read_only
        .address_space:  global
        .offset:         8
        .size:           8
        .value_kind:     global_buffer
      - .offset:         16
        .size:           8
        .value_kind:     by_value
      - .actual_access:  read_only
        .address_space:  global
        .offset:         24
        .size:           8
        .value_kind:     global_buffer
      - .actual_access:  read_only
        .address_space:  global
        .offset:         32
        .size:           8
        .value_kind:     global_buffer
      - .actual_access:  read_only
        .address_space:  global
        .offset:         40
        .size:           8
        .value_kind:     global_buffer
      - .actual_access:  read_only
        .address_space:  global
        .offset:         48
        .size:           8
        .value_kind:     global_buffer
      - .offset:         56
        .size:           8
        .value_kind:     by_value
      - .address_space:  global
        .offset:         64
        .size:           8
        .value_kind:     global_buffer
      - .offset:         72
        .size:           4
        .value_kind:     by_value
      - .offset:         76
        .size:           1
        .value_kind:     by_value
    .group_segment_fixed_size: 8192
    .kernarg_segment_align: 8
    .kernarg_segment_size: 80
    .language:       OpenCL C
    .language_version:
      - 2
      - 0
    .max_flat_workgroup_size: 256
    .name:           _ZL33csrmvn_symm_large_adaptive_kernelIiifdddEvbT_PKS0_N9rocsparse24const_host_device_scalarIT4_EES2_PKT0_PKT1_PKT2_S6_PT3_21rocsparse_index_base_b
    .private_segment_fixed_size: 0
    .sgpr_count:     38
    .sgpr_spill_count: 0
    .symbol:         _ZL33csrmvn_symm_large_adaptive_kernelIiifdddEvbT_PKS0_N9rocsparse24const_host_device_scalarIT4_EES2_PKT0_PKT1_PKT2_S6_PT3_21rocsparse_index_base_b.kd
    .uniform_work_group_size: 1
    .uses_dynamic_stack: false
    .vgpr_count:     18
    .vgpr_spill_count: 0
    .wavefront_size: 64
  - .agpr_count:     0
    .args:
      - .offset:         0
        .size:           1
        .value_kind:     by_value
      - .offset:         8
        .size:           8
        .value_kind:     by_value
      - .actual_access:  read_only
        .address_space:  global
        .offset:         16
        .size:           8
        .value_kind:     global_buffer
      - .address_space:  global
        .offset:         24
        .size:           8
        .value_kind:     global_buffer
      - .actual_access:  read_only
        .address_space:  global
        .offset:         32
        .size:           8
        .value_kind:     global_buffer
      - .offset:         40
        .size:           8
        .value_kind:     by_value
      - .actual_access:  read_only
        .address_space:  global
        .offset:         48
        .size:           8
        .value_kind:     global_buffer
      - .actual_access:  read_only
        .address_space:  global
        .offset:         56
        .size:           8
        .value_kind:     global_buffer
      - .actual_access:  read_only
        .address_space:  global
        .offset:         64
        .size:           8
        .value_kind:     global_buffer
      - .actual_access:  read_only
        .address_space:  global
        .offset:         72
        .size:           8
        .value_kind:     global_buffer
      - .offset:         80
        .size:           8
        .value_kind:     by_value
      - .address_space:  global
        .offset:         88
        .size:           8
        .value_kind:     global_buffer
      - .offset:         96
        .size:           4
        .value_kind:     by_value
      - .offset:         100
        .size:           1
        .value_kind:     by_value
    .group_segment_fixed_size: 8192
    .kernarg_segment_align: 8
    .kernarg_segment_size: 104
    .language:       OpenCL C
    .language_version:
      - 2
      - 0
    .max_flat_workgroup_size: 256
    .name:           _ZN9rocsparseL22csrmvn_adaptive_kernelIlifdddEEvbT_PKS1_PjPKT0_NS_24const_host_device_scalarIT4_EES3_S7_PKT1_PKT2_SA_PT3_21rocsparse_index_base_b
    .private_segment_fixed_size: 0
    .sgpr_count:     70
    .sgpr_spill_count: 0
    .symbol:         _ZN9rocsparseL22csrmvn_adaptive_kernelIlifdddEEvbT_PKS1_PjPKT0_NS_24const_host_device_scalarIT4_EES3_S7_PKT1_PKT2_SA_PT3_21rocsparse_index_base_b.kd
    .uniform_work_group_size: 1
    .uses_dynamic_stack: false
    .vgpr_count:     28
    .vgpr_spill_count: 0
    .wavefront_size: 64
  - .agpr_count:     0
    .args:
      - .offset:         0
        .size:           1
        .value_kind:     by_value
      - .offset:         8
        .size:           8
        .value_kind:     by_value
      - .offset:         16
        .size:           8
        .value_kind:     by_value
      - .actual_access:  read_only
        .address_space:  global
        .offset:         24
        .size:           8
        .value_kind:     global_buffer
      - .offset:         32
        .size:           8
        .value_kind:     by_value
      - .actual_access:  read_only
        .address_space:  global
        .offset:         40
        .size:           8
        .value_kind:     global_buffer
      - .actual_access:  read_only
        .address_space:  global
        .offset:         48
        .size:           8
        .value_kind:     global_buffer
      - .actual_access:  read_only
        .address_space:  global
        .offset:         56
        .size:           8
        .value_kind:     global_buffer
      - .actual_access:  read_only
        .address_space:  global
        .offset:         64
        .size:           8
        .value_kind:     global_buffer
      - .offset:         72
        .size:           8
        .value_kind:     by_value
      - .address_space:  global
        .offset:         80
        .size:           8
        .value_kind:     global_buffer
      - .offset:         88
        .size:           4
        .value_kind:     by_value
      - .offset:         92
        .size:           1
        .value_kind:     by_value
      - .offset:         96
        .size:           4
        .value_kind:     hidden_block_count_x
      - .offset:         100
        .size:           4
        .value_kind:     hidden_block_count_y
      - .offset:         104
        .size:           4
        .value_kind:     hidden_block_count_z
      - .offset:         108
        .size:           2
        .value_kind:     hidden_group_size_x
      - .offset:         110
        .size:           2
        .value_kind:     hidden_group_size_y
      - .offset:         112
        .size:           2
        .value_kind:     hidden_group_size_z
      - .offset:         114
        .size:           2
        .value_kind:     hidden_remainder_x
      - .offset:         116
        .size:           2
        .value_kind:     hidden_remainder_y
      - .offset:         118
        .size:           2
        .value_kind:     hidden_remainder_z
      - .offset:         136
        .size:           8
        .value_kind:     hidden_global_offset_x
      - .offset:         144
        .size:           8
        .value_kind:     hidden_global_offset_y
      - .offset:         152
        .size:           8
        .value_kind:     hidden_global_offset_z
      - .offset:         160
        .size:           2
        .value_kind:     hidden_grid_dims
      - .offset:         216
        .size:           4
        .value_kind:     hidden_dynamic_lds_size
    .group_segment_fixed_size: 8192
    .kernarg_segment_align: 8
    .kernarg_segment_size: 352
    .language:       OpenCL C
    .language_version:
      - 2
      - 0
    .max_flat_workgroup_size: 256
    .name:           _ZN9rocsparseL27csrmvn_symm_adaptive_kernelIlifdddEEvbT_S1_PKS1_NS_24const_host_device_scalarIT4_EES3_PKT0_PKT1_PKT2_S6_PT3_21rocsparse_index_base_b
    .private_segment_fixed_size: 0
    .sgpr_count:     58
    .sgpr_spill_count: 0
    .symbol:         _ZN9rocsparseL27csrmvn_symm_adaptive_kernelIlifdddEEvbT_S1_PKS1_NS_24const_host_device_scalarIT4_EES3_PKT0_PKT1_PKT2_S6_PT3_21rocsparse_index_base_b.kd
    .uniform_work_group_size: 1
    .uses_dynamic_stack: false
    .vgpr_count:     22
    .vgpr_spill_count: 0
    .wavefront_size: 64
  - .agpr_count:     0
    .args:
      - .offset:         0
        .size:           1
        .value_kind:     by_value
      - .offset:         8
        .size:           8
        .value_kind:     by_value
      - .actual_access:  read_only
        .address_space:  global
        .offset:         16
        .size:           8
        .value_kind:     global_buffer
      - .offset:         24
        .size:           8
        .value_kind:     by_value
      - .actual_access:  read_only
        .address_space:  global
        .offset:         32
        .size:           8
        .value_kind:     global_buffer
      - .actual_access:  read_only
        .address_space:  global
        .offset:         40
        .size:           8
        .value_kind:     global_buffer
      - .actual_access:  read_only
        .address_space:  global
        .offset:         48
        .size:           8
        .value_kind:     global_buffer
      - .actual_access:  read_only
        .address_space:  global
        .offset:         56
        .size:           8
        .value_kind:     global_buffer
      - .offset:         64
        .size:           8
        .value_kind:     by_value
      - .address_space:  global
        .offset:         72
        .size:           8
        .value_kind:     global_buffer
      - .offset:         80
        .size:           4
        .value_kind:     by_value
      - .offset:         84
        .size:           1
        .value_kind:     by_value
    .group_segment_fixed_size: 8192
    .kernarg_segment_align: 8
    .kernarg_segment_size: 88
    .language:       OpenCL C
    .language_version:
      - 2
      - 0
    .max_flat_workgroup_size: 256
    .name:           _ZL33csrmvn_symm_large_adaptive_kernelIlifdddEvbT_PKS0_N9rocsparse24const_host_device_scalarIT4_EES2_PKT0_PKT1_PKT2_S6_PT3_21rocsparse_index_base_b
    .private_segment_fixed_size: 0
    .sgpr_count:     48
    .sgpr_spill_count: 0
    .symbol:         _ZL33csrmvn_symm_large_adaptive_kernelIlifdddEvbT_PKS0_N9rocsparse24const_host_device_scalarIT4_EES2_PKT0_PKT1_PKT2_S6_PT3_21rocsparse_index_base_b.kd
    .uniform_work_group_size: 1
    .uses_dynamic_stack: false
    .vgpr_count:     20
    .vgpr_spill_count: 0
    .wavefront_size: 64
  - .agpr_count:     0
    .args:
      - .offset:         0
        .size:           1
        .value_kind:     by_value
      - .offset:         8
        .size:           8
        .value_kind:     by_value
      - .actual_access:  read_only
        .address_space:  global
        .offset:         16
        .size:           8
        .value_kind:     global_buffer
      - .address_space:  global
        .offset:         24
        .size:           8
        .value_kind:     global_buffer
      - .actual_access:  read_only
        .address_space:  global
        .offset:         32
        .size:           8
        .value_kind:     global_buffer
      - .offset:         40
        .size:           8
        .value_kind:     by_value
      - .actual_access:  read_only
        .address_space:  global
        .offset:         48
        .size:           8
        .value_kind:     global_buffer
      - .actual_access:  read_only
        .address_space:  global
        .offset:         56
        .size:           8
        .value_kind:     global_buffer
      - .actual_access:  read_only
        .address_space:  global
        .offset:         64
        .size:           8
        .value_kind:     global_buffer
      - .actual_access:  read_only
        .address_space:  global
        .offset:         72
        .size:           8
        .value_kind:     global_buffer
      - .offset:         80
        .size:           8
        .value_kind:     by_value
      - .address_space:  global
        .offset:         88
        .size:           8
        .value_kind:     global_buffer
      - .offset:         96
        .size:           4
        .value_kind:     by_value
      - .offset:         100
        .size:           1
        .value_kind:     by_value
    .group_segment_fixed_size: 8192
    .kernarg_segment_align: 8
    .kernarg_segment_size: 104
    .language:       OpenCL C
    .language_version:
      - 2
      - 0
    .max_flat_workgroup_size: 256
    .name:           _ZN9rocsparseL22csrmvn_adaptive_kernelIllfdddEEvbT_PKS1_PjPKT0_NS_24const_host_device_scalarIT4_EES3_S7_PKT1_PKT2_SA_PT3_21rocsparse_index_base_b
    .private_segment_fixed_size: 0
    .sgpr_count:     70
    .sgpr_spill_count: 0
    .symbol:         _ZN9rocsparseL22csrmvn_adaptive_kernelIllfdddEEvbT_PKS1_PjPKT0_NS_24const_host_device_scalarIT4_EES3_S7_PKT1_PKT2_SA_PT3_21rocsparse_index_base_b.kd
    .uniform_work_group_size: 1
    .uses_dynamic_stack: false
    .vgpr_count:     24
    .vgpr_spill_count: 0
    .wavefront_size: 64
  - .agpr_count:     0
    .args:
      - .offset:         0
        .size:           1
        .value_kind:     by_value
      - .offset:         8
        .size:           8
        .value_kind:     by_value
      - .offset:         16
        .size:           8
        .value_kind:     by_value
      - .actual_access:  read_only
        .address_space:  global
        .offset:         24
        .size:           8
        .value_kind:     global_buffer
      - .offset:         32
        .size:           8
        .value_kind:     by_value
      - .actual_access:  read_only
        .address_space:  global
        .offset:         40
        .size:           8
        .value_kind:     global_buffer
      - .actual_access:  read_only
        .address_space:  global
        .offset:         48
        .size:           8
        .value_kind:     global_buffer
      - .actual_access:  read_only
        .address_space:  global
        .offset:         56
        .size:           8
        .value_kind:     global_buffer
      - .actual_access:  read_only
        .address_space:  global
        .offset:         64
        .size:           8
        .value_kind:     global_buffer
      - .offset:         72
        .size:           8
        .value_kind:     by_value
      - .address_space:  global
        .offset:         80
        .size:           8
        .value_kind:     global_buffer
      - .offset:         88
        .size:           4
        .value_kind:     by_value
      - .offset:         92
        .size:           1
        .value_kind:     by_value
      - .offset:         96
        .size:           4
        .value_kind:     hidden_block_count_x
      - .offset:         100
        .size:           4
        .value_kind:     hidden_block_count_y
      - .offset:         104
        .size:           4
        .value_kind:     hidden_block_count_z
      - .offset:         108
        .size:           2
        .value_kind:     hidden_group_size_x
      - .offset:         110
        .size:           2
        .value_kind:     hidden_group_size_y
      - .offset:         112
        .size:           2
        .value_kind:     hidden_group_size_z
      - .offset:         114
        .size:           2
        .value_kind:     hidden_remainder_x
      - .offset:         116
        .size:           2
        .value_kind:     hidden_remainder_y
      - .offset:         118
        .size:           2
        .value_kind:     hidden_remainder_z
      - .offset:         136
        .size:           8
        .value_kind:     hidden_global_offset_x
      - .offset:         144
        .size:           8
        .value_kind:     hidden_global_offset_y
      - .offset:         152
        .size:           8
        .value_kind:     hidden_global_offset_z
      - .offset:         160
        .size:           2
        .value_kind:     hidden_grid_dims
      - .offset:         216
        .size:           4
        .value_kind:     hidden_dynamic_lds_size
    .group_segment_fixed_size: 8192
    .kernarg_segment_align: 8
    .kernarg_segment_size: 352
    .language:       OpenCL C
    .language_version:
      - 2
      - 0
    .max_flat_workgroup_size: 256
    .name:           _ZN9rocsparseL27csrmvn_symm_adaptive_kernelIllfdddEEvbT_S1_PKS1_NS_24const_host_device_scalarIT4_EES3_PKT0_PKT1_PKT2_S6_PT3_21rocsparse_index_base_b
    .private_segment_fixed_size: 0
    .sgpr_count:     58
    .sgpr_spill_count: 0
    .symbol:         _ZN9rocsparseL27csrmvn_symm_adaptive_kernelIllfdddEEvbT_S1_PKS1_NS_24const_host_device_scalarIT4_EES3_PKT0_PKT1_PKT2_S6_PT3_21rocsparse_index_base_b.kd
    .uniform_work_group_size: 1
    .uses_dynamic_stack: false
    .vgpr_count:     22
    .vgpr_spill_count: 0
    .wavefront_size: 64
  - .agpr_count:     0
    .args:
      - .offset:         0
        .size:           1
        .value_kind:     by_value
      - .offset:         8
        .size:           8
        .value_kind:     by_value
      - .actual_access:  read_only
        .address_space:  global
        .offset:         16
        .size:           8
        .value_kind:     global_buffer
      - .offset:         24
        .size:           8
        .value_kind:     by_value
      - .actual_access:  read_only
        .address_space:  global
        .offset:         32
        .size:           8
        .value_kind:     global_buffer
      - .actual_access:  read_only
        .address_space:  global
        .offset:         40
        .size:           8
        .value_kind:     global_buffer
      - .actual_access:  read_only
        .address_space:  global
        .offset:         48
        .size:           8
        .value_kind:     global_buffer
      - .actual_access:  read_only
        .address_space:  global
        .offset:         56
        .size:           8
        .value_kind:     global_buffer
      - .offset:         64
        .size:           8
        .value_kind:     by_value
      - .address_space:  global
        .offset:         72
        .size:           8
        .value_kind:     global_buffer
      - .offset:         80
        .size:           4
        .value_kind:     by_value
      - .offset:         84
        .size:           1
        .value_kind:     by_value
    .group_segment_fixed_size: 8192
    .kernarg_segment_align: 8
    .kernarg_segment_size: 88
    .language:       OpenCL C
    .language_version:
      - 2
      - 0
    .max_flat_workgroup_size: 256
    .name:           _ZL33csrmvn_symm_large_adaptive_kernelIllfdddEvbT_PKS0_N9rocsparse24const_host_device_scalarIT4_EES2_PKT0_PKT1_PKT2_S6_PT3_21rocsparse_index_base_b
    .private_segment_fixed_size: 0
    .sgpr_count:     52
    .sgpr_spill_count: 0
    .symbol:         _ZL33csrmvn_symm_large_adaptive_kernelIllfdddEvbT_PKS0_N9rocsparse24const_host_device_scalarIT4_EES2_PKT0_PKT1_PKT2_S6_PT3_21rocsparse_index_base_b.kd
    .uniform_work_group_size: 1
    .uses_dynamic_stack: false
    .vgpr_count:     20
    .vgpr_spill_count: 0
    .wavefront_size: 64
  - .agpr_count:     0
    .args:
      - .offset:         0
        .size:           1
        .value_kind:     by_value
      - .offset:         4
        .size:           4
        .value_kind:     by_value
      - .actual_access:  read_only
        .address_space:  global
        .offset:         8
        .size:           8
        .value_kind:     global_buffer
      - .address_space:  global
        .offset:         16
        .size:           8
        .value_kind:     global_buffer
      - .actual_access:  read_only
        .address_space:  global
        .offset:         24
        .size:           8
        .value_kind:     global_buffer
      - .offset:         32
        .size:           16
        .value_kind:     by_value
      - .actual_access:  read_only
        .address_space:  global
        .offset:         48
        .size:           8
        .value_kind:     global_buffer
      - .actual_access:  read_only
        .address_space:  global
        .offset:         56
        .size:           8
        .value_kind:     global_buffer
      - .actual_access:  read_only
        .address_space:  global
        .offset:         64
        .size:           8
        .value_kind:     global_buffer
      - .actual_access:  read_only
        .address_space:  global
        .offset:         72
        .size:           8
        .value_kind:     global_buffer
      - .offset:         80
        .size:           16
        .value_kind:     by_value
      - .address_space:  global
        .offset:         96
        .size:           8
        .value_kind:     global_buffer
      - .offset:         104
        .size:           4
        .value_kind:     by_value
      - .offset:         108
        .size:           1
        .value_kind:     by_value
    .group_segment_fixed_size: 16384
    .kernarg_segment_align: 8
    .kernarg_segment_size: 112
    .language:       OpenCL C
    .language_version:
      - 2
      - 0
    .max_flat_workgroup_size: 256
    .name:           _ZN9rocsparseL22csrmvn_adaptive_kernelIiid21rocsparse_complex_numIdES2_S2_EEvbT_PKS3_PjPKT0_NS_24const_host_device_scalarIT4_EES5_S9_PKT1_PKT2_SC_PT3_21rocsparse_index_base_b
    .private_segment_fixed_size: 0
    .sgpr_count:     60
    .sgpr_spill_count: 0
    .symbol:         _ZN9rocsparseL22csrmvn_adaptive_kernelIiid21rocsparse_complex_numIdES2_S2_EEvbT_PKS3_PjPKT0_NS_24const_host_device_scalarIT4_EES5_S9_PKT1_PKT2_SC_PT3_21rocsparse_index_base_b.kd
    .uniform_work_group_size: 1
    .uses_dynamic_stack: false
    .vgpr_count:     54
    .vgpr_spill_count: 0
    .wavefront_size: 64
  - .agpr_count:     0
    .args:
      - .offset:         0
        .size:           1
        .value_kind:     by_value
      - .offset:         4
        .size:           4
        .value_kind:     by_value
      - .offset:         8
        .size:           4
        .value_kind:     by_value
      - .actual_access:  read_only
        .address_space:  global
        .offset:         16
        .size:           8
        .value_kind:     global_buffer
      - .offset:         24
        .size:           16
        .value_kind:     by_value
      - .actual_access:  read_only
        .address_space:  global
        .offset:         40
        .size:           8
        .value_kind:     global_buffer
      - .actual_access:  read_only
        .address_space:  global
        .offset:         48
        .size:           8
        .value_kind:     global_buffer
      - .actual_access:  read_only
        .address_space:  global
        .offset:         56
        .size:           8
        .value_kind:     global_buffer
      - .actual_access:  read_only
        .address_space:  global
        .offset:         64
        .size:           8
        .value_kind:     global_buffer
      - .offset:         72
        .size:           16
        .value_kind:     by_value
      - .address_space:  global
        .offset:         88
        .size:           8
        .value_kind:     global_buffer
      - .offset:         96
        .size:           4
        .value_kind:     by_value
      - .offset:         100
        .size:           1
        .value_kind:     by_value
      - .offset:         104
        .size:           4
        .value_kind:     hidden_block_count_x
      - .offset:         108
        .size:           4
        .value_kind:     hidden_block_count_y
      - .offset:         112
        .size:           4
        .value_kind:     hidden_block_count_z
      - .offset:         116
        .size:           2
        .value_kind:     hidden_group_size_x
      - .offset:         118
        .size:           2
        .value_kind:     hidden_group_size_y
      - .offset:         120
        .size:           2
        .value_kind:     hidden_group_size_z
      - .offset:         122
        .size:           2
        .value_kind:     hidden_remainder_x
      - .offset:         124
        .size:           2
        .value_kind:     hidden_remainder_y
      - .offset:         126
        .size:           2
        .value_kind:     hidden_remainder_z
      - .offset:         144
        .size:           8
        .value_kind:     hidden_global_offset_x
      - .offset:         152
        .size:           8
        .value_kind:     hidden_global_offset_y
      - .offset:         160
        .size:           8
        .value_kind:     hidden_global_offset_z
      - .offset:         168
        .size:           2
        .value_kind:     hidden_grid_dims
      - .offset:         224
        .size:           4
        .value_kind:     hidden_dynamic_lds_size
    .group_segment_fixed_size: 16384
    .kernarg_segment_align: 8
    .kernarg_segment_size: 360
    .language:       OpenCL C
    .language_version:
      - 2
      - 0
    .max_flat_workgroup_size: 256
    .name:           _ZN9rocsparseL27csrmvn_symm_adaptive_kernelIiid21rocsparse_complex_numIdES2_S2_EEvbT_S3_PKS3_NS_24const_host_device_scalarIT4_EES5_PKT0_PKT1_PKT2_S8_PT3_21rocsparse_index_base_b
    .private_segment_fixed_size: 0
    .sgpr_count:     46
    .sgpr_spill_count: 0
    .symbol:         _ZN9rocsparseL27csrmvn_symm_adaptive_kernelIiid21rocsparse_complex_numIdES2_S2_EEvbT_S3_PKS3_NS_24const_host_device_scalarIT4_EES5_PKT0_PKT1_PKT2_S8_PT3_21rocsparse_index_base_b.kd
    .uniform_work_group_size: 1
    .uses_dynamic_stack: false
    .vgpr_count:     26
    .vgpr_spill_count: 0
    .wavefront_size: 64
  - .agpr_count:     0
    .args:
      - .offset:         0
        .size:           1
        .value_kind:     by_value
      - .offset:         4
        .size:           4
        .value_kind:     by_value
      - .actual_access:  read_only
        .address_space:  global
        .offset:         8
        .size:           8
        .value_kind:     global_buffer
      - .offset:         16
        .size:           16
        .value_kind:     by_value
      - .actual_access:  read_only
        .address_space:  global
        .offset:         32
        .size:           8
        .value_kind:     global_buffer
      - .actual_access:  read_only
        .address_space:  global
        .offset:         40
        .size:           8
        .value_kind:     global_buffer
      - .actual_access:  read_only
        .address_space:  global
        .offset:         48
        .size:           8
        .value_kind:     global_buffer
      - .actual_access:  read_only
        .address_space:  global
        .offset:         56
        .size:           8
        .value_kind:     global_buffer
      - .offset:         64
        .size:           16
        .value_kind:     by_value
      - .address_space:  global
        .offset:         80
        .size:           8
        .value_kind:     global_buffer
      - .offset:         88
        .size:           4
        .value_kind:     by_value
      - .offset:         92
        .size:           1
        .value_kind:     by_value
    .group_segment_fixed_size: 16384
    .kernarg_segment_align: 8
    .kernarg_segment_size: 96
    .language:       OpenCL C
    .language_version:
      - 2
      - 0
    .max_flat_workgroup_size: 256
    .name:           _ZL33csrmvn_symm_large_adaptive_kernelIiid21rocsparse_complex_numIdES1_S1_EvbT_PKS2_N9rocsparse24const_host_device_scalarIT4_EES4_PKT0_PKT1_PKT2_S8_PT3_21rocsparse_index_base_b
    .private_segment_fixed_size: 0
    .sgpr_count:     44
    .sgpr_spill_count: 0
    .symbol:         _ZL33csrmvn_symm_large_adaptive_kernelIiid21rocsparse_complex_numIdES1_S1_EvbT_PKS2_N9rocsparse24const_host_device_scalarIT4_EES4_PKT0_PKT1_PKT2_S8_PT3_21rocsparse_index_base_b.kd
    .uniform_work_group_size: 1
    .uses_dynamic_stack: false
    .vgpr_count:     26
    .vgpr_spill_count: 0
    .wavefront_size: 64
  - .agpr_count:     0
    .args:
      - .offset:         0
        .size:           1
        .value_kind:     by_value
      - .offset:         8
        .size:           8
        .value_kind:     by_value
      - .actual_access:  read_only
        .address_space:  global
        .offset:         16
        .size:           8
        .value_kind:     global_buffer
      - .address_space:  global
        .offset:         24
        .size:           8
        .value_kind:     global_buffer
      - .actual_access:  read_only
        .address_space:  global
        .offset:         32
        .size:           8
        .value_kind:     global_buffer
      - .offset:         40
        .size:           16
        .value_kind:     by_value
      - .actual_access:  read_only
        .address_space:  global
        .offset:         56
        .size:           8
        .value_kind:     global_buffer
      - .actual_access:  read_only
        .address_space:  global
        .offset:         64
        .size:           8
        .value_kind:     global_buffer
      - .actual_access:  read_only
        .address_space:  global
        .offset:         72
        .size:           8
        .value_kind:     global_buffer
      - .actual_access:  read_only
        .address_space:  global
        .offset:         80
        .size:           8
        .value_kind:     global_buffer
      - .offset:         88
        .size:           16
        .value_kind:     by_value
      - .address_space:  global
        .offset:         104
        .size:           8
        .value_kind:     global_buffer
      - .offset:         112
        .size:           4
        .value_kind:     by_value
      - .offset:         116
        .size:           1
        .value_kind:     by_value
    .group_segment_fixed_size: 16384
    .kernarg_segment_align: 8
    .kernarg_segment_size: 120
    .language:       OpenCL C
    .language_version:
      - 2
      - 0
    .max_flat_workgroup_size: 256
    .name:           _ZN9rocsparseL22csrmvn_adaptive_kernelIlid21rocsparse_complex_numIdES2_S2_EEvbT_PKS3_PjPKT0_NS_24const_host_device_scalarIT4_EES5_S9_PKT1_PKT2_SC_PT3_21rocsparse_index_base_b
    .private_segment_fixed_size: 0
    .sgpr_count:     70
    .sgpr_spill_count: 0
    .symbol:         _ZN9rocsparseL22csrmvn_adaptive_kernelIlid21rocsparse_complex_numIdES2_S2_EEvbT_PKS3_PjPKT0_NS_24const_host_device_scalarIT4_EES5_S9_PKT1_PKT2_SC_PT3_21rocsparse_index_base_b.kd
    .uniform_work_group_size: 1
    .uses_dynamic_stack: false
    .vgpr_count:     54
    .vgpr_spill_count: 0
    .wavefront_size: 64
  - .agpr_count:     0
    .args:
      - .offset:         0
        .size:           1
        .value_kind:     by_value
      - .offset:         8
        .size:           8
        .value_kind:     by_value
      - .offset:         16
        .size:           8
        .value_kind:     by_value
      - .actual_access:  read_only
        .address_space:  global
        .offset:         24
        .size:           8
        .value_kind:     global_buffer
      - .offset:         32
        .size:           16
        .value_kind:     by_value
      - .actual_access:  read_only
        .address_space:  global
        .offset:         48
        .size:           8
        .value_kind:     global_buffer
      - .actual_access:  read_only
        .address_space:  global
        .offset:         56
        .size:           8
        .value_kind:     global_buffer
      - .actual_access:  read_only
        .address_space:  global
        .offset:         64
        .size:           8
        .value_kind:     global_buffer
      - .actual_access:  read_only
        .address_space:  global
        .offset:         72
        .size:           8
        .value_kind:     global_buffer
      - .offset:         80
        .size:           16
        .value_kind:     by_value
      - .address_space:  global
        .offset:         96
        .size:           8
        .value_kind:     global_buffer
      - .offset:         104
        .size:           4
        .value_kind:     by_value
      - .offset:         108
        .size:           1
        .value_kind:     by_value
      - .offset:         112
        .size:           4
        .value_kind:     hidden_block_count_x
      - .offset:         116
        .size:           4
        .value_kind:     hidden_block_count_y
      - .offset:         120
        .size:           4
        .value_kind:     hidden_block_count_z
      - .offset:         124
        .size:           2
        .value_kind:     hidden_group_size_x
      - .offset:         126
        .size:           2
        .value_kind:     hidden_group_size_y
      - .offset:         128
        .size:           2
        .value_kind:     hidden_group_size_z
      - .offset:         130
        .size:           2
        .value_kind:     hidden_remainder_x
      - .offset:         132
        .size:           2
        .value_kind:     hidden_remainder_y
      - .offset:         134
        .size:           2
        .value_kind:     hidden_remainder_z
      - .offset:         152
        .size:           8
        .value_kind:     hidden_global_offset_x
      - .offset:         160
        .size:           8
        .value_kind:     hidden_global_offset_y
      - .offset:         168
        .size:           8
        .value_kind:     hidden_global_offset_z
      - .offset:         176
        .size:           2
        .value_kind:     hidden_grid_dims
      - .offset:         232
        .size:           4
        .value_kind:     hidden_dynamic_lds_size
    .group_segment_fixed_size: 16384
    .kernarg_segment_align: 8
    .kernarg_segment_size: 368
    .language:       OpenCL C
    .language_version:
      - 2
      - 0
    .max_flat_workgroup_size: 256
    .name:           _ZN9rocsparseL27csrmvn_symm_adaptive_kernelIlid21rocsparse_complex_numIdES2_S2_EEvbT_S3_PKS3_NS_24const_host_device_scalarIT4_EES5_PKT0_PKT1_PKT2_S8_PT3_21rocsparse_index_base_b
    .private_segment_fixed_size: 0
    .sgpr_count:     58
    .sgpr_spill_count: 0
    .symbol:         _ZN9rocsparseL27csrmvn_symm_adaptive_kernelIlid21rocsparse_complex_numIdES2_S2_EEvbT_S3_PKS3_NS_24const_host_device_scalarIT4_EES5_PKT0_PKT1_PKT2_S8_PT3_21rocsparse_index_base_b.kd
    .uniform_work_group_size: 1
    .uses_dynamic_stack: false
    .vgpr_count:     30
    .vgpr_spill_count: 0
    .wavefront_size: 64
  - .agpr_count:     0
    .args:
      - .offset:         0
        .size:           1
        .value_kind:     by_value
      - .offset:         8
        .size:           8
        .value_kind:     by_value
      - .actual_access:  read_only
        .address_space:  global
        .offset:         16
        .size:           8
        .value_kind:     global_buffer
      - .offset:         24
        .size:           16
        .value_kind:     by_value
      - .actual_access:  read_only
        .address_space:  global
        .offset:         40
        .size:           8
        .value_kind:     global_buffer
      - .actual_access:  read_only
        .address_space:  global
        .offset:         48
        .size:           8
        .value_kind:     global_buffer
      - .actual_access:  read_only
        .address_space:  global
        .offset:         56
        .size:           8
        .value_kind:     global_buffer
      - .actual_access:  read_only
        .address_space:  global
        .offset:         64
        .size:           8
        .value_kind:     global_buffer
      - .offset:         72
        .size:           16
        .value_kind:     by_value
      - .address_space:  global
        .offset:         88
        .size:           8
        .value_kind:     global_buffer
      - .offset:         96
        .size:           4
        .value_kind:     by_value
      - .offset:         100
        .size:           1
        .value_kind:     by_value
    .group_segment_fixed_size: 16384
    .kernarg_segment_align: 8
    .kernarg_segment_size: 104
    .language:       OpenCL C
    .language_version:
      - 2
      - 0
    .max_flat_workgroup_size: 256
    .name:           _ZL33csrmvn_symm_large_adaptive_kernelIlid21rocsparse_complex_numIdES1_S1_EvbT_PKS2_N9rocsparse24const_host_device_scalarIT4_EES4_PKT0_PKT1_PKT2_S8_PT3_21rocsparse_index_base_b
    .private_segment_fixed_size: 0
    .sgpr_count:     50
    .sgpr_spill_count: 0
    .symbol:         _ZL33csrmvn_symm_large_adaptive_kernelIlid21rocsparse_complex_numIdES1_S1_EvbT_PKS2_N9rocsparse24const_host_device_scalarIT4_EES4_PKT0_PKT1_PKT2_S8_PT3_21rocsparse_index_base_b.kd
    .uniform_work_group_size: 1
    .uses_dynamic_stack: false
    .vgpr_count:     28
    .vgpr_spill_count: 0
    .wavefront_size: 64
  - .agpr_count:     0
    .args:
      - .offset:         0
        .size:           1
        .value_kind:     by_value
      - .offset:         8
        .size:           8
        .value_kind:     by_value
      - .actual_access:  read_only
        .address_space:  global
        .offset:         16
        .size:           8
        .value_kind:     global_buffer
      - .address_space:  global
        .offset:         24
        .size:           8
        .value_kind:     global_buffer
      - .actual_access:  read_only
        .address_space:  global
        .offset:         32
        .size:           8
        .value_kind:     global_buffer
      - .offset:         40
        .size:           16
        .value_kind:     by_value
      - .actual_access:  read_only
        .address_space:  global
        .offset:         56
        .size:           8
        .value_kind:     global_buffer
      - .actual_access:  read_only
        .address_space:  global
        .offset:         64
        .size:           8
        .value_kind:     global_buffer
      - .actual_access:  read_only
        .address_space:  global
        .offset:         72
        .size:           8
        .value_kind:     global_buffer
      - .actual_access:  read_only
        .address_space:  global
        .offset:         80
        .size:           8
        .value_kind:     global_buffer
      - .offset:         88
        .size:           16
        .value_kind:     by_value
      - .address_space:  global
        .offset:         104
        .size:           8
        .value_kind:     global_buffer
      - .offset:         112
        .size:           4
        .value_kind:     by_value
      - .offset:         116
        .size:           1
        .value_kind:     by_value
    .group_segment_fixed_size: 16384
    .kernarg_segment_align: 8
    .kernarg_segment_size: 120
    .language:       OpenCL C
    .language_version:
      - 2
      - 0
    .max_flat_workgroup_size: 256
    .name:           _ZN9rocsparseL22csrmvn_adaptive_kernelIlld21rocsparse_complex_numIdES2_S2_EEvbT_PKS3_PjPKT0_NS_24const_host_device_scalarIT4_EES5_S9_PKT1_PKT2_SC_PT3_21rocsparse_index_base_b
    .private_segment_fixed_size: 0
    .sgpr_count:     64
    .sgpr_spill_count: 0
    .symbol:         _ZN9rocsparseL22csrmvn_adaptive_kernelIlld21rocsparse_complex_numIdES2_S2_EEvbT_PKS3_PjPKT0_NS_24const_host_device_scalarIT4_EES5_S9_PKT1_PKT2_SC_PT3_21rocsparse_index_base_b.kd
    .uniform_work_group_size: 1
    .uses_dynamic_stack: false
    .vgpr_count:     50
    .vgpr_spill_count: 0
    .wavefront_size: 64
  - .agpr_count:     0
    .args:
      - .offset:         0
        .size:           1
        .value_kind:     by_value
      - .offset:         8
        .size:           8
        .value_kind:     by_value
      - .offset:         16
        .size:           8
        .value_kind:     by_value
      - .actual_access:  read_only
        .address_space:  global
        .offset:         24
        .size:           8
        .value_kind:     global_buffer
      - .offset:         32
        .size:           16
        .value_kind:     by_value
      - .actual_access:  read_only
        .address_space:  global
        .offset:         48
        .size:           8
        .value_kind:     global_buffer
      - .actual_access:  read_only
        .address_space:  global
        .offset:         56
        .size:           8
        .value_kind:     global_buffer
      - .actual_access:  read_only
        .address_space:  global
        .offset:         64
        .size:           8
        .value_kind:     global_buffer
      - .actual_access:  read_only
        .address_space:  global
        .offset:         72
        .size:           8
        .value_kind:     global_buffer
      - .offset:         80
        .size:           16
        .value_kind:     by_value
      - .address_space:  global
        .offset:         96
        .size:           8
        .value_kind:     global_buffer
      - .offset:         104
        .size:           4
        .value_kind:     by_value
      - .offset:         108
        .size:           1
        .value_kind:     by_value
      - .offset:         112
        .size:           4
        .value_kind:     hidden_block_count_x
      - .offset:         116
        .size:           4
        .value_kind:     hidden_block_count_y
      - .offset:         120
        .size:           4
        .value_kind:     hidden_block_count_z
      - .offset:         124
        .size:           2
        .value_kind:     hidden_group_size_x
      - .offset:         126
        .size:           2
        .value_kind:     hidden_group_size_y
      - .offset:         128
        .size:           2
        .value_kind:     hidden_group_size_z
      - .offset:         130
        .size:           2
        .value_kind:     hidden_remainder_x
      - .offset:         132
        .size:           2
        .value_kind:     hidden_remainder_y
      - .offset:         134
        .size:           2
        .value_kind:     hidden_remainder_z
      - .offset:         152
        .size:           8
        .value_kind:     hidden_global_offset_x
      - .offset:         160
        .size:           8
        .value_kind:     hidden_global_offset_y
      - .offset:         168
        .size:           8
        .value_kind:     hidden_global_offset_z
      - .offset:         176
        .size:           2
        .value_kind:     hidden_grid_dims
      - .offset:         232
        .size:           4
        .value_kind:     hidden_dynamic_lds_size
    .group_segment_fixed_size: 16384
    .kernarg_segment_align: 8
    .kernarg_segment_size: 368
    .language:       OpenCL C
    .language_version:
      - 2
      - 0
    .max_flat_workgroup_size: 256
    .name:           _ZN9rocsparseL27csrmvn_symm_adaptive_kernelIlld21rocsparse_complex_numIdES2_S2_EEvbT_S3_PKS3_NS_24const_host_device_scalarIT4_EES5_PKT0_PKT1_PKT2_S8_PT3_21rocsparse_index_base_b
    .private_segment_fixed_size: 0
    .sgpr_count:     58
    .sgpr_spill_count: 0
    .symbol:         _ZN9rocsparseL27csrmvn_symm_adaptive_kernelIlld21rocsparse_complex_numIdES2_S2_EEvbT_S3_PKS3_NS_24const_host_device_scalarIT4_EES5_PKT0_PKT1_PKT2_S8_PT3_21rocsparse_index_base_b.kd
    .uniform_work_group_size: 1
    .uses_dynamic_stack: false
    .vgpr_count:     30
    .vgpr_spill_count: 0
    .wavefront_size: 64
  - .agpr_count:     0
    .args:
      - .offset:         0
        .size:           1
        .value_kind:     by_value
      - .offset:         8
        .size:           8
        .value_kind:     by_value
      - .actual_access:  read_only
        .address_space:  global
        .offset:         16
        .size:           8
        .value_kind:     global_buffer
      - .offset:         24
        .size:           16
        .value_kind:     by_value
      - .actual_access:  read_only
        .address_space:  global
        .offset:         40
        .size:           8
        .value_kind:     global_buffer
      - .actual_access:  read_only
        .address_space:  global
        .offset:         48
        .size:           8
        .value_kind:     global_buffer
      - .actual_access:  read_only
        .address_space:  global
        .offset:         56
        .size:           8
        .value_kind:     global_buffer
      - .actual_access:  read_only
        .address_space:  global
        .offset:         64
        .size:           8
        .value_kind:     global_buffer
      - .offset:         72
        .size:           16
        .value_kind:     by_value
      - .address_space:  global
        .offset:         88
        .size:           8
        .value_kind:     global_buffer
      - .offset:         96
        .size:           4
        .value_kind:     by_value
      - .offset:         100
        .size:           1
        .value_kind:     by_value
    .group_segment_fixed_size: 16384
    .kernarg_segment_align: 8
    .kernarg_segment_size: 104
    .language:       OpenCL C
    .language_version:
      - 2
      - 0
    .max_flat_workgroup_size: 256
    .name:           _ZL33csrmvn_symm_large_adaptive_kernelIlld21rocsparse_complex_numIdES1_S1_EvbT_PKS2_N9rocsparse24const_host_device_scalarIT4_EES4_PKT0_PKT1_PKT2_S8_PT3_21rocsparse_index_base_b
    .private_segment_fixed_size: 0
    .sgpr_count:     50
    .sgpr_spill_count: 0
    .symbol:         _ZL33csrmvn_symm_large_adaptive_kernelIlld21rocsparse_complex_numIdES1_S1_EvbT_PKS2_N9rocsparse24const_host_device_scalarIT4_EES4_PKT0_PKT1_PKT2_S8_PT3_21rocsparse_index_base_b.kd
    .uniform_work_group_size: 1
    .uses_dynamic_stack: false
    .vgpr_count:     28
    .vgpr_spill_count: 0
    .wavefront_size: 64
  - .agpr_count:     0
    .args:
      - .offset:         0
        .size:           1
        .value_kind:     by_value
      - .offset:         4
        .size:           4
        .value_kind:     by_value
      - .actual_access:  read_only
        .address_space:  global
        .offset:         8
        .size:           8
        .value_kind:     global_buffer
      - .address_space:  global
        .offset:         16
        .size:           8
        .value_kind:     global_buffer
      - .actual_access:  read_only
        .address_space:  global
        .offset:         24
        .size:           8
        .value_kind:     global_buffer
      - .offset:         32
        .size:           16
        .value_kind:     by_value
      - .actual_access:  read_only
        .address_space:  global
        .offset:         48
        .size:           8
        .value_kind:     global_buffer
      - .actual_access:  read_only
        .address_space:  global
        .offset:         56
        .size:           8
        .value_kind:     global_buffer
      - .actual_access:  read_only
        .address_space:  global
        .offset:         64
        .size:           8
        .value_kind:     global_buffer
      - .actual_access:  read_only
        .address_space:  global
        .offset:         72
        .size:           8
        .value_kind:     global_buffer
      - .offset:         80
        .size:           16
        .value_kind:     by_value
      - .address_space:  global
        .offset:         96
        .size:           8
        .value_kind:     global_buffer
      - .offset:         104
        .size:           4
        .value_kind:     by_value
      - .offset:         108
        .size:           1
        .value_kind:     by_value
    .group_segment_fixed_size: 16384
    .kernarg_segment_align: 8
    .kernarg_segment_size: 112
    .language:       OpenCL C
    .language_version:
      - 2
      - 0
    .max_flat_workgroup_size: 256
    .name:           _ZN9rocsparseL22csrmvn_adaptive_kernelIii21rocsparse_complex_numIfES1_IdES3_S3_EEvbT_PKS4_PjPKT0_NS_24const_host_device_scalarIT4_EES6_SA_PKT1_PKT2_SD_PT3_21rocsparse_index_base_b
    .private_segment_fixed_size: 0
    .sgpr_count:     66
    .sgpr_spill_count: 0
    .symbol:         _ZN9rocsparseL22csrmvn_adaptive_kernelIii21rocsparse_complex_numIfES1_IdES3_S3_EEvbT_PKS4_PjPKT0_NS_24const_host_device_scalarIT4_EES6_SA_PKT1_PKT2_SD_PT3_21rocsparse_index_base_b.kd
    .uniform_work_group_size: 1
    .uses_dynamic_stack: false
    .vgpr_count:     54
    .vgpr_spill_count: 0
    .wavefront_size: 64
  - .agpr_count:     0
    .args:
      - .offset:         0
        .size:           1
        .value_kind:     by_value
      - .offset:         4
        .size:           4
        .value_kind:     by_value
      - .offset:         8
        .size:           4
        .value_kind:     by_value
      - .actual_access:  read_only
        .address_space:  global
        .offset:         16
        .size:           8
        .value_kind:     global_buffer
      - .offset:         24
        .size:           16
        .value_kind:     by_value
      - .actual_access:  read_only
        .address_space:  global
        .offset:         40
        .size:           8
        .value_kind:     global_buffer
      - .actual_access:  read_only
        .address_space:  global
        .offset:         48
        .size:           8
        .value_kind:     global_buffer
      - .actual_access:  read_only
        .address_space:  global
        .offset:         56
        .size:           8
        .value_kind:     global_buffer
      - .actual_access:  read_only
        .address_space:  global
        .offset:         64
        .size:           8
        .value_kind:     global_buffer
      - .offset:         72
        .size:           16
        .value_kind:     by_value
      - .address_space:  global
        .offset:         88
        .size:           8
        .value_kind:     global_buffer
      - .offset:         96
        .size:           4
        .value_kind:     by_value
      - .offset:         100
        .size:           1
        .value_kind:     by_value
      - .offset:         104
        .size:           4
        .value_kind:     hidden_block_count_x
      - .offset:         108
        .size:           4
        .value_kind:     hidden_block_count_y
      - .offset:         112
        .size:           4
        .value_kind:     hidden_block_count_z
      - .offset:         116
        .size:           2
        .value_kind:     hidden_group_size_x
      - .offset:         118
        .size:           2
        .value_kind:     hidden_group_size_y
      - .offset:         120
        .size:           2
        .value_kind:     hidden_group_size_z
      - .offset:         122
        .size:           2
        .value_kind:     hidden_remainder_x
      - .offset:         124
        .size:           2
        .value_kind:     hidden_remainder_y
      - .offset:         126
        .size:           2
        .value_kind:     hidden_remainder_z
      - .offset:         144
        .size:           8
        .value_kind:     hidden_global_offset_x
      - .offset:         152
        .size:           8
        .value_kind:     hidden_global_offset_y
      - .offset:         160
        .size:           8
        .value_kind:     hidden_global_offset_z
      - .offset:         168
        .size:           2
        .value_kind:     hidden_grid_dims
      - .offset:         224
        .size:           4
        .value_kind:     hidden_dynamic_lds_size
    .group_segment_fixed_size: 16384
    .kernarg_segment_align: 8
    .kernarg_segment_size: 360
    .language:       OpenCL C
    .language_version:
      - 2
      - 0
    .max_flat_workgroup_size: 256
    .name:           _ZN9rocsparseL27csrmvn_symm_adaptive_kernelIii21rocsparse_complex_numIfES1_IdES3_S3_EEvbT_S4_PKS4_NS_24const_host_device_scalarIT4_EES6_PKT0_PKT1_PKT2_S9_PT3_21rocsparse_index_base_b
    .private_segment_fixed_size: 0
    .sgpr_count:     54
    .sgpr_spill_count: 0
    .symbol:         _ZN9rocsparseL27csrmvn_symm_adaptive_kernelIii21rocsparse_complex_numIfES1_IdES3_S3_EEvbT_S4_PKS4_NS_24const_host_device_scalarIT4_EES6_PKT0_PKT1_PKT2_S9_PT3_21rocsparse_index_base_b.kd
    .uniform_work_group_size: 1
    .uses_dynamic_stack: false
    .vgpr_count:     32
    .vgpr_spill_count: 0
    .wavefront_size: 64
  - .agpr_count:     0
    .args:
      - .offset:         0
        .size:           1
        .value_kind:     by_value
      - .offset:         4
        .size:           4
        .value_kind:     by_value
      - .actual_access:  read_only
        .address_space:  global
        .offset:         8
        .size:           8
        .value_kind:     global_buffer
      - .offset:         16
        .size:           16
        .value_kind:     by_value
      - .actual_access:  read_only
        .address_space:  global
        .offset:         32
        .size:           8
        .value_kind:     global_buffer
      - .actual_access:  read_only
        .address_space:  global
        .offset:         40
        .size:           8
        .value_kind:     global_buffer
      - .actual_access:  read_only
        .address_space:  global
        .offset:         48
        .size:           8
        .value_kind:     global_buffer
      - .actual_access:  read_only
        .address_space:  global
        .offset:         56
        .size:           8
        .value_kind:     global_buffer
      - .offset:         64
        .size:           16
        .value_kind:     by_value
      - .address_space:  global
        .offset:         80
        .size:           8
        .value_kind:     global_buffer
      - .offset:         88
        .size:           4
        .value_kind:     by_value
      - .offset:         92
        .size:           1
        .value_kind:     by_value
    .group_segment_fixed_size: 16384
    .kernarg_segment_align: 8
    .kernarg_segment_size: 96
    .language:       OpenCL C
    .language_version:
      - 2
      - 0
    .max_flat_workgroup_size: 256
    .name:           _ZL33csrmvn_symm_large_adaptive_kernelIii21rocsparse_complex_numIfES0_IdES2_S2_EvbT_PKS3_N9rocsparse24const_host_device_scalarIT4_EES5_PKT0_PKT1_PKT2_S9_PT3_21rocsparse_index_base_b
    .private_segment_fixed_size: 0
    .sgpr_count:     48
    .sgpr_spill_count: 0
    .symbol:         _ZL33csrmvn_symm_large_adaptive_kernelIii21rocsparse_complex_numIfES0_IdES2_S2_EvbT_PKS3_N9rocsparse24const_host_device_scalarIT4_EES5_PKT0_PKT1_PKT2_S9_PT3_21rocsparse_index_base_b.kd
    .uniform_work_group_size: 1
    .uses_dynamic_stack: false
    .vgpr_count:     26
    .vgpr_spill_count: 0
    .wavefront_size: 64
  - .agpr_count:     0
    .args:
      - .offset:         0
        .size:           1
        .value_kind:     by_value
      - .offset:         8
        .size:           8
        .value_kind:     by_value
      - .actual_access:  read_only
        .address_space:  global
        .offset:         16
        .size:           8
        .value_kind:     global_buffer
      - .address_space:  global
        .offset:         24
        .size:           8
        .value_kind:     global_buffer
      - .actual_access:  read_only
        .address_space:  global
        .offset:         32
        .size:           8
        .value_kind:     global_buffer
      - .offset:         40
        .size:           16
        .value_kind:     by_value
      - .actual_access:  read_only
        .address_space:  global
        .offset:         56
        .size:           8
        .value_kind:     global_buffer
      - .actual_access:  read_only
        .address_space:  global
        .offset:         64
        .size:           8
        .value_kind:     global_buffer
      - .actual_access:  read_only
        .address_space:  global
        .offset:         72
        .size:           8
        .value_kind:     global_buffer
      - .actual_access:  read_only
        .address_space:  global
        .offset:         80
        .size:           8
        .value_kind:     global_buffer
      - .offset:         88
        .size:           16
        .value_kind:     by_value
      - .address_space:  global
        .offset:         104
        .size:           8
        .value_kind:     global_buffer
      - .offset:         112
        .size:           4
        .value_kind:     by_value
      - .offset:         116
        .size:           1
        .value_kind:     by_value
    .group_segment_fixed_size: 16384
    .kernarg_segment_align: 8
    .kernarg_segment_size: 120
    .language:       OpenCL C
    .language_version:
      - 2
      - 0
    .max_flat_workgroup_size: 256
    .name:           _ZN9rocsparseL22csrmvn_adaptive_kernelIli21rocsparse_complex_numIfES1_IdES3_S3_EEvbT_PKS4_PjPKT0_NS_24const_host_device_scalarIT4_EES6_SA_PKT1_PKT2_SD_PT3_21rocsparse_index_base_b
    .private_segment_fixed_size: 0
    .sgpr_count:     74
    .sgpr_spill_count: 0
    .symbol:         _ZN9rocsparseL22csrmvn_adaptive_kernelIli21rocsparse_complex_numIfES1_IdES3_S3_EEvbT_PKS4_PjPKT0_NS_24const_host_device_scalarIT4_EES6_SA_PKT1_PKT2_SD_PT3_21rocsparse_index_base_b.kd
    .uniform_work_group_size: 1
    .uses_dynamic_stack: false
    .vgpr_count:     54
    .vgpr_spill_count: 0
    .wavefront_size: 64
  - .agpr_count:     0
    .args:
      - .offset:         0
        .size:           1
        .value_kind:     by_value
      - .offset:         8
        .size:           8
        .value_kind:     by_value
      - .offset:         16
        .size:           8
        .value_kind:     by_value
      - .actual_access:  read_only
        .address_space:  global
        .offset:         24
        .size:           8
        .value_kind:     global_buffer
      - .offset:         32
        .size:           16
        .value_kind:     by_value
      - .actual_access:  read_only
        .address_space:  global
        .offset:         48
        .size:           8
        .value_kind:     global_buffer
      - .actual_access:  read_only
        .address_space:  global
        .offset:         56
        .size:           8
        .value_kind:     global_buffer
      - .actual_access:  read_only
        .address_space:  global
        .offset:         64
        .size:           8
        .value_kind:     global_buffer
      - .actual_access:  read_only
        .address_space:  global
        .offset:         72
        .size:           8
        .value_kind:     global_buffer
      - .offset:         80
        .size:           16
        .value_kind:     by_value
      - .address_space:  global
        .offset:         96
        .size:           8
        .value_kind:     global_buffer
      - .offset:         104
        .size:           4
        .value_kind:     by_value
      - .offset:         108
        .size:           1
        .value_kind:     by_value
      - .offset:         112
        .size:           4
        .value_kind:     hidden_block_count_x
      - .offset:         116
        .size:           4
        .value_kind:     hidden_block_count_y
      - .offset:         120
        .size:           4
        .value_kind:     hidden_block_count_z
      - .offset:         124
        .size:           2
        .value_kind:     hidden_group_size_x
      - .offset:         126
        .size:           2
        .value_kind:     hidden_group_size_y
      - .offset:         128
        .size:           2
        .value_kind:     hidden_group_size_z
      - .offset:         130
        .size:           2
        .value_kind:     hidden_remainder_x
      - .offset:         132
        .size:           2
        .value_kind:     hidden_remainder_y
      - .offset:         134
        .size:           2
        .value_kind:     hidden_remainder_z
      - .offset:         152
        .size:           8
        .value_kind:     hidden_global_offset_x
      - .offset:         160
        .size:           8
        .value_kind:     hidden_global_offset_y
      - .offset:         168
        .size:           8
        .value_kind:     hidden_global_offset_z
      - .offset:         176
        .size:           2
        .value_kind:     hidden_grid_dims
      - .offset:         232
        .size:           4
        .value_kind:     hidden_dynamic_lds_size
    .group_segment_fixed_size: 16384
    .kernarg_segment_align: 8
    .kernarg_segment_size: 368
    .language:       OpenCL C
    .language_version:
      - 2
      - 0
    .max_flat_workgroup_size: 256
    .name:           _ZN9rocsparseL27csrmvn_symm_adaptive_kernelIli21rocsparse_complex_numIfES1_IdES3_S3_EEvbT_S4_PKS4_NS_24const_host_device_scalarIT4_EES6_PKT0_PKT1_PKT2_S9_PT3_21rocsparse_index_base_b
    .private_segment_fixed_size: 0
    .sgpr_count:     60
    .sgpr_spill_count: 0
    .symbol:         _ZN9rocsparseL27csrmvn_symm_adaptive_kernelIli21rocsparse_complex_numIfES1_IdES3_S3_EEvbT_S4_PKS4_NS_24const_host_device_scalarIT4_EES6_PKT0_PKT1_PKT2_S9_PT3_21rocsparse_index_base_b.kd
    .uniform_work_group_size: 1
    .uses_dynamic_stack: false
    .vgpr_count:     32
    .vgpr_spill_count: 0
    .wavefront_size: 64
  - .agpr_count:     0
    .args:
      - .offset:         0
        .size:           1
        .value_kind:     by_value
      - .offset:         8
        .size:           8
        .value_kind:     by_value
      - .actual_access:  read_only
        .address_space:  global
        .offset:         16
        .size:           8
        .value_kind:     global_buffer
      - .offset:         24
        .size:           16
        .value_kind:     by_value
      - .actual_access:  read_only
        .address_space:  global
        .offset:         40
        .size:           8
        .value_kind:     global_buffer
      - .actual_access:  read_only
        .address_space:  global
        .offset:         48
        .size:           8
        .value_kind:     global_buffer
      - .actual_access:  read_only
        .address_space:  global
        .offset:         56
        .size:           8
        .value_kind:     global_buffer
      - .actual_access:  read_only
        .address_space:  global
        .offset:         64
        .size:           8
        .value_kind:     global_buffer
      - .offset:         72
        .size:           16
        .value_kind:     by_value
      - .address_space:  global
        .offset:         88
        .size:           8
        .value_kind:     global_buffer
      - .offset:         96
        .size:           4
        .value_kind:     by_value
      - .offset:         100
        .size:           1
        .value_kind:     by_value
    .group_segment_fixed_size: 16384
    .kernarg_segment_align: 8
    .kernarg_segment_size: 104
    .language:       OpenCL C
    .language_version:
      - 2
      - 0
    .max_flat_workgroup_size: 256
    .name:           _ZL33csrmvn_symm_large_adaptive_kernelIli21rocsparse_complex_numIfES0_IdES2_S2_EvbT_PKS3_N9rocsparse24const_host_device_scalarIT4_EES5_PKT0_PKT1_PKT2_S9_PT3_21rocsparse_index_base_b
    .private_segment_fixed_size: 0
    .sgpr_count:     54
    .sgpr_spill_count: 0
    .symbol:         _ZL33csrmvn_symm_large_adaptive_kernelIli21rocsparse_complex_numIfES0_IdES2_S2_EvbT_PKS3_N9rocsparse24const_host_device_scalarIT4_EES5_PKT0_PKT1_PKT2_S9_PT3_21rocsparse_index_base_b.kd
    .uniform_work_group_size: 1
    .uses_dynamic_stack: false
    .vgpr_count:     28
    .vgpr_spill_count: 0
    .wavefront_size: 64
  - .agpr_count:     0
    .args:
      - .offset:         0
        .size:           1
        .value_kind:     by_value
      - .offset:         8
        .size:           8
        .value_kind:     by_value
      - .actual_access:  read_only
        .address_space:  global
        .offset:         16
        .size:           8
        .value_kind:     global_buffer
      - .address_space:  global
        .offset:         24
        .size:           8
        .value_kind:     global_buffer
      - .actual_access:  read_only
        .address_space:  global
        .offset:         32
        .size:           8
        .value_kind:     global_buffer
      - .offset:         40
        .size:           16
        .value_kind:     by_value
      - .actual_access:  read_only
        .address_space:  global
        .offset:         56
        .size:           8
        .value_kind:     global_buffer
      - .actual_access:  read_only
        .address_space:  global
        .offset:         64
        .size:           8
        .value_kind:     global_buffer
      - .actual_access:  read_only
        .address_space:  global
        .offset:         72
        .size:           8
        .value_kind:     global_buffer
      - .actual_access:  read_only
        .address_space:  global
        .offset:         80
        .size:           8
        .value_kind:     global_buffer
      - .offset:         88
        .size:           16
        .value_kind:     by_value
      - .address_space:  global
        .offset:         104
        .size:           8
        .value_kind:     global_buffer
      - .offset:         112
        .size:           4
        .value_kind:     by_value
      - .offset:         116
        .size:           1
        .value_kind:     by_value
    .group_segment_fixed_size: 16384
    .kernarg_segment_align: 8
    .kernarg_segment_size: 120
    .language:       OpenCL C
    .language_version:
      - 2
      - 0
    .max_flat_workgroup_size: 256
    .name:           _ZN9rocsparseL22csrmvn_adaptive_kernelIll21rocsparse_complex_numIfES1_IdES3_S3_EEvbT_PKS4_PjPKT0_NS_24const_host_device_scalarIT4_EES6_SA_PKT1_PKT2_SD_PT3_21rocsparse_index_base_b
    .private_segment_fixed_size: 0
    .sgpr_count:     68
    .sgpr_spill_count: 0
    .symbol:         _ZN9rocsparseL22csrmvn_adaptive_kernelIll21rocsparse_complex_numIfES1_IdES3_S3_EEvbT_PKS4_PjPKT0_NS_24const_host_device_scalarIT4_EES6_SA_PKT1_PKT2_SD_PT3_21rocsparse_index_base_b.kd
    .uniform_work_group_size: 1
    .uses_dynamic_stack: false
    .vgpr_count:     52
    .vgpr_spill_count: 0
    .wavefront_size: 64
  - .agpr_count:     0
    .args:
      - .offset:         0
        .size:           1
        .value_kind:     by_value
      - .offset:         8
        .size:           8
        .value_kind:     by_value
      - .offset:         16
        .size:           8
        .value_kind:     by_value
      - .actual_access:  read_only
        .address_space:  global
        .offset:         24
        .size:           8
        .value_kind:     global_buffer
      - .offset:         32
        .size:           16
        .value_kind:     by_value
      - .actual_access:  read_only
        .address_space:  global
        .offset:         48
        .size:           8
        .value_kind:     global_buffer
      - .actual_access:  read_only
        .address_space:  global
        .offset:         56
        .size:           8
        .value_kind:     global_buffer
      - .actual_access:  read_only
        .address_space:  global
        .offset:         64
        .size:           8
        .value_kind:     global_buffer
      - .actual_access:  read_only
        .address_space:  global
        .offset:         72
        .size:           8
        .value_kind:     global_buffer
      - .offset:         80
        .size:           16
        .value_kind:     by_value
      - .address_space:  global
        .offset:         96
        .size:           8
        .value_kind:     global_buffer
      - .offset:         104
        .size:           4
        .value_kind:     by_value
      - .offset:         108
        .size:           1
        .value_kind:     by_value
      - .offset:         112
        .size:           4
        .value_kind:     hidden_block_count_x
      - .offset:         116
        .size:           4
        .value_kind:     hidden_block_count_y
      - .offset:         120
        .size:           4
        .value_kind:     hidden_block_count_z
      - .offset:         124
        .size:           2
        .value_kind:     hidden_group_size_x
      - .offset:         126
        .size:           2
        .value_kind:     hidden_group_size_y
      - .offset:         128
        .size:           2
        .value_kind:     hidden_group_size_z
      - .offset:         130
        .size:           2
        .value_kind:     hidden_remainder_x
      - .offset:         132
        .size:           2
        .value_kind:     hidden_remainder_y
      - .offset:         134
        .size:           2
        .value_kind:     hidden_remainder_z
      - .offset:         152
        .size:           8
        .value_kind:     hidden_global_offset_x
      - .offset:         160
        .size:           8
        .value_kind:     hidden_global_offset_y
      - .offset:         168
        .size:           8
        .value_kind:     hidden_global_offset_z
      - .offset:         176
        .size:           2
        .value_kind:     hidden_grid_dims
      - .offset:         232
        .size:           4
        .value_kind:     hidden_dynamic_lds_size
    .group_segment_fixed_size: 16384
    .kernarg_segment_align: 8
    .kernarg_segment_size: 368
    .language:       OpenCL C
    .language_version:
      - 2
      - 0
    .max_flat_workgroup_size: 256
    .name:           _ZN9rocsparseL27csrmvn_symm_adaptive_kernelIll21rocsparse_complex_numIfES1_IdES3_S3_EEvbT_S4_PKS4_NS_24const_host_device_scalarIT4_EES6_PKT0_PKT1_PKT2_S9_PT3_21rocsparse_index_base_b
    .private_segment_fixed_size: 0
    .sgpr_count:     58
    .sgpr_spill_count: 0
    .symbol:         _ZN9rocsparseL27csrmvn_symm_adaptive_kernelIll21rocsparse_complex_numIfES1_IdES3_S3_EEvbT_S4_PKS4_NS_24const_host_device_scalarIT4_EES6_PKT0_PKT1_PKT2_S9_PT3_21rocsparse_index_base_b.kd
    .uniform_work_group_size: 1
    .uses_dynamic_stack: false
    .vgpr_count:     32
    .vgpr_spill_count: 0
    .wavefront_size: 64
  - .agpr_count:     0
    .args:
      - .offset:         0
        .size:           1
        .value_kind:     by_value
      - .offset:         8
        .size:           8
        .value_kind:     by_value
      - .actual_access:  read_only
        .address_space:  global
        .offset:         16
        .size:           8
        .value_kind:     global_buffer
      - .offset:         24
        .size:           16
        .value_kind:     by_value
      - .actual_access:  read_only
        .address_space:  global
        .offset:         40
        .size:           8
        .value_kind:     global_buffer
      - .actual_access:  read_only
        .address_space:  global
        .offset:         48
        .size:           8
        .value_kind:     global_buffer
      - .actual_access:  read_only
        .address_space:  global
        .offset:         56
        .size:           8
        .value_kind:     global_buffer
      - .actual_access:  read_only
        .address_space:  global
        .offset:         64
        .size:           8
        .value_kind:     global_buffer
      - .offset:         72
        .size:           16
        .value_kind:     by_value
      - .address_space:  global
        .offset:         88
        .size:           8
        .value_kind:     global_buffer
      - .offset:         96
        .size:           4
        .value_kind:     by_value
      - .offset:         100
        .size:           1
        .value_kind:     by_value
    .group_segment_fixed_size: 16384
    .kernarg_segment_align: 8
    .kernarg_segment_size: 104
    .language:       OpenCL C
    .language_version:
      - 2
      - 0
    .max_flat_workgroup_size: 256
    .name:           _ZL33csrmvn_symm_large_adaptive_kernelIll21rocsparse_complex_numIfES0_IdES2_S2_EvbT_PKS3_N9rocsparse24const_host_device_scalarIT4_EES5_PKT0_PKT1_PKT2_S9_PT3_21rocsparse_index_base_b
    .private_segment_fixed_size: 0
    .sgpr_count:     54
    .sgpr_spill_count: 0
    .symbol:         _ZL33csrmvn_symm_large_adaptive_kernelIll21rocsparse_complex_numIfES0_IdES2_S2_EvbT_PKS3_N9rocsparse24const_host_device_scalarIT4_EES5_PKT0_PKT1_PKT2_S9_PT3_21rocsparse_index_base_b.kd
    .uniform_work_group_size: 1
    .uses_dynamic_stack: false
    .vgpr_count:     28
    .vgpr_spill_count: 0
    .wavefront_size: 64
amdhsa.target:   amdgcn-amd-amdhsa--gfx950
amdhsa.version:
  - 1
  - 2
...

	.end_amdgpu_metadata
